;; amdgpu-corpus repo=ROCm/rocBLAS kind=compiled arch=gfx942 opt=O3
	.text
	.amdgcn_target "amdgcn-amd-amdhsa--gfx942"
	.amdhsa_code_object_version 6
	.section	.text._ZL26rocblas_hemvn_kernel_upperILb1ELi64ELi4ELi33ELi32ELi16ElPK19rocblas_complex_numIfES3_PS1_EviT6_lT7_lT5_lS6_lS7_lS5_lT8_i,"axG",@progbits,_ZL26rocblas_hemvn_kernel_upperILb1ELi64ELi4ELi33ELi32ELi16ElPK19rocblas_complex_numIfES3_PS1_EviT6_lT7_lT5_lS6_lS7_lS5_lT8_i,comdat
	.globl	_ZL26rocblas_hemvn_kernel_upperILb1ELi64ELi4ELi33ELi32ELi16ElPK19rocblas_complex_numIfES3_PS1_EviT6_lT7_lT5_lS6_lS7_lS5_lT8_i ; -- Begin function _ZL26rocblas_hemvn_kernel_upperILb1ELi64ELi4ELi33ELi32ELi16ElPK19rocblas_complex_numIfES3_PS1_EviT6_lT7_lT5_lS6_lS7_lS5_lT8_i
	.p2align	8
	.type	_ZL26rocblas_hemvn_kernel_upperILb1ELi64ELi4ELi33ELi32ELi16ElPK19rocblas_complex_numIfES3_PS1_EviT6_lT7_lT5_lS6_lS7_lS5_lT8_i,@function
_ZL26rocblas_hemvn_kernel_upperILb1ELi64ELi4ELi33ELi32ELi16ElPK19rocblas_complex_numIfES3_PS1_EviT6_lT7_lT5_lS6_lS7_lS5_lT8_i: ; @_ZL26rocblas_hemvn_kernel_upperILb1ELi64ELi4ELi33ELi32ELi16ElPK19rocblas_complex_numIfES3_PS1_EviT6_lT7_lT5_lS6_lS7_lS5_lT8_i
; %bb.0:
	s_load_dwordx2 s[6:7], s[0:1], 0x84
	s_add_u32 s4, s0, 0x78
	s_addc_u32 s5, s1, 0
	s_waitcnt lgkmcnt(0)
	s_lshr_b32 s8, s6, 16
	s_and_b32 s6, s6, 0xffff
	s_and_b32 s7, s7, 0xffff
	s_mul_i32 s6, s8, s6
	s_mul_i32 s6, s6, s7
	s_cmpk_lg_i32 s6, 0x100
	s_cbranch_scc1 .LBB0_180
; %bb.1:
	s_load_dwordx16 s[8:23], s[0:1], 0x8
	s_waitcnt lgkmcnt(0)
	s_mul_i32 s7, s3, s11
	s_mul_hi_u32 s11, s3, s10
	s_mul_i32 s6, s3, s10
	s_add_i32 s7, s11, s7
	s_lshl_b64 s[6:7], s[6:7], 3
	s_add_u32 s6, s8, s6
	s_addc_u32 s7, s9, s7
	s_load_dwordx2 s[8:9], s[6:7], 0x0
	s_load_dwordx2 s[34:35], s[0:1], 0x68
	s_load_dwordx8 s[24:31], s[0:1], 0x48
	s_waitcnt lgkmcnt(0)
	s_or_b32 s6, s8, s9
	s_bitset0_b32 s6, 31
	s_cmp_lg_u32 s6, 0
	s_cselect_b64 s[6:7], -1, 0
	s_mov_b64 s[8:9], -1
	s_and_b64 vcc, exec, s[6:7]
	s_cbranch_vccnz .LBB0_3
; %bb.2:
	s_mul_i32 s8, s3, s31
	s_mul_hi_u32 s9, s3, s30
	s_add_i32 s9, s9, s8
	s_mul_i32 s8, s3, s30
	s_lshl_b64 s[8:9], s[8:9], 3
	s_add_u32 s8, s28, s8
	s_addc_u32 s9, s29, s9
	s_load_dwordx2 s[8:9], s[8:9], 0x0
	s_waitcnt lgkmcnt(0)
	v_cmp_neq_f32_e64 s[10:11], s8, 1.0
	v_cmp_neq_f32_e64 s[8:9], s9, 0
	s_or_b64 s[8:9], s[10:11], s[8:9]
.LBB0_3:
	s_andn2_b64 vcc, exec, s[8:9]
	s_cbranch_vccnz .LBB0_180
; %bb.4:
	s_andn2_b64 vcc, exec, s[6:7]
	s_cbranch_vccnz .LBB0_180
; %bb.5:
	s_load_dword s30, s[4:5], 0x0
	s_load_dword s33, s[0:1], 0x0
	s_mul_i32 s0, s3, s27
	s_mul_hi_u32 s1, s3, s26
	s_add_i32 s1, s1, s0
	s_mul_i32 s0, s3, s26
	s_lshl_b64 s[0:1], s[0:1], 3
	s_add_u32 s4, s20, s0
	s_addc_u32 s5, s21, s1
	s_lshl_b64 s[0:1], s[22:23], 3
	s_add_u32 s0, s4, s0
	s_addc_u32 s1, s5, s1
	s_waitcnt lgkmcnt(0)
	s_ashr_i32 s36, s33, 31
	s_lshr_b32 s5, s36, 26
	v_and_b32_e32 v111, 0x3ff, v0
	s_lshl_b32 s22, s2, 6
	s_add_i32 s5, s33, s5
	s_andn2_b32 s5, s5, 63
	v_add_u32_e32 v28, s22, v111
	s_add_i32 s4, s30, -1
	s_sub_i32 s31, s33, s5
	v_ashrrev_i32_e32 v29, 31, v28
	v_bfe_u32 v125, v0, 10, 10
	s_cmp_eq_u32 s2, s4
	v_mul_lo_u32 v2, v29, s24
	v_mul_lo_u32 v3, v28, s25
	v_mad_u64_u32 v[0:1], s[4:5], v28, s24, 0
	v_add3_u32 v1, v1, v3, v2
	s_cselect_b32 s20, s31, 0
	v_lshl_add_u64 v[12:13], v[0:1], 3, s[0:1]
	v_cmp_eq_u32_e64 s[0:1], 0, v125
	s_and_saveexec_b64 s[4:5], s[0:1]
	s_cbranch_execz .LBB0_10
; %bb.6:
	s_cmp_lg_u32 s20, 0
	s_cselect_b64 s[6:7], -1, 0
	v_cmp_le_i32_e32 vcc, s20, v111
	v_mov_b32_e32 v0, 0x2380
	s_and_b64 s[6:7], s[6:7], vcc
	v_lshl_add_u32 v0, v111, 3, v0
	s_and_saveexec_b64 s[8:9], s[6:7]
	s_xor_b64 s[6:7], exec, s[8:9]
	s_cbranch_execz .LBB0_8
; %bb.7:
	v_mov_b32_e32 v2, 0
	v_mov_b32_e32 v3, v2
	ds_write_b64 v0, v[2:3]
                                        ; implicit-def: $vgpr0
.LBB0_8:
	s_andn2_saveexec_b64 s[6:7], s[6:7]
	s_cbranch_execz .LBB0_10
; %bb.9:
	global_load_dwordx2 v[2:3], v[12:13], off
	s_waitcnt vmcnt(0)
	ds_write_b64 v0, v[2:3]
.LBB0_10:
	s_or_b64 exec, exec, s[4:5]
	s_mul_i32 s4, s3, s19
	s_mul_hi_u32 s5, s3, s18
	s_add_i32 s5, s5, s4
	s_mul_i32 s4, s3, s18
	s_lshl_b64 s[4:5], s[4:5], 3
	s_add_u32 s6, s12, s4
	s_addc_u32 s7, s13, s5
	s_lshl_b64 s[4:5], s[14:15], 3
	s_add_u32 s6, s6, s4
	s_addc_u32 s7, s7, s5
	s_ashr_i32 s23, s22, 31
	v_lshl_add_u32 v22, v125, 6, v111
	s_lshl_b64 s[4:5], s[22:23], 3
	v_and_b32_e32 v0, 31, v111
	v_lshrrev_b32_e32 v18, 5, v22
	s_add_u32 s6, s6, s4
	v_mov_b32_e32 v1, 0
	s_addc_u32 s7, s7, s5
	v_mad_u64_u32 v[14:15], s[4:5], v18, s16, v[0:1]
	v_mov_b32_e32 v2, v15
	v_mad_u64_u32 v[2:3], s[4:5], v18, s17, v[2:3]
	s_mul_i32 s4, s22, s17
	s_mul_hi_u32 s5, s22, s16
	s_add_i32 s4, s5, s4
	s_mul_i32 s5, s23, s16
	s_add_i32 s5, s4, s5
	s_mul_i32 s4, s22, s16
	s_lshl_b64 s[4:5], s[4:5], 3
	s_add_u32 s4, s4, s6
	s_addc_u32 s5, s5, s7
	s_cmp_eq_u32 s20, 0
	s_cselect_b64 s[18:19], -1, 0
	s_cmp_lg_u32 s20, 0
	v_mov_b32_e32 v15, v2
	s_cselect_b64 s[26:27], -1, 0
	v_lshl_add_u64 v[6:7], v[14:15], 3, s[4:5]
	s_and_b64 vcc, exec, s[26:27]
	v_cmp_gt_i32_e64 s[4:5], s20, v0
	v_lshlrev_b32_e32 v2, 3, v0
	s_mul_i32 s37, s17, 0xc0
	s_cbranch_vccz .LBB0_26
; %bb.11:
	v_sub_co_u32_e32 v4, vcc, v6, v2
	s_ashr_i32 s21, s20, 31
	s_nop 0
	v_subbrev_co_u32_e32 v5, vcc, 0, v7, vcc
	v_lshl_add_u64 v[4:5], s[20:21], 3, v[4:5]
	v_lshl_add_u64 v[4:5], v[4:5], 0, -8
	v_cndmask_b32_e64 v5, v5, v7, s[4:5]
	v_cndmask_b32_e64 v4, v4, v6, s[4:5]
	v_cmp_gt_i32_e32 vcc, s20, v18
	v_mov_b32_e32 v9, 0
	s_and_saveexec_b64 s[6:7], vcc
	s_cbranch_execz .LBB0_13
; %bb.12:
	global_load_dwordx2 v[8:9], v[4:5], off
	s_waitcnt vmcnt(0)
	v_mov_b32_e32 v1, v8
.LBB0_13:
	s_or_b64 exec, exec, s[6:7]
	v_mul_u32_u24_e32 v3, 33, v18
	v_mov_b32_e32 v8, v1
	v_add_u32_e32 v1, 8, v18
	v_add_lshl_u32 v3, v3, v0, 3
	v_cmp_le_i32_e32 vcc, s20, v1
	ds_write_b64 v3, v[8:9]
	s_and_saveexec_b64 s[6:7], vcc
	s_xor_b64 s[6:7], exec, s[6:7]
	s_cbranch_execz .LBB0_15
; %bb.14:
	v_mul_u32_u24_e32 v1, 33, v1
	v_mov_b32_e32 v8, 0
	v_add_lshl_u32 v1, v1, v0, 3
	v_mov_b32_e32 v9, v8
	ds_write_b64 v1, v[8:9]
.LBB0_15:
	s_andn2_saveexec_b64 s[6:7], s[6:7]
	s_cbranch_execz .LBB0_17
; %bb.16:
	s_lshl_b64 s[8:9], s[16:17], 6
	v_lshl_add_u64 v[8:9], v[4:5], 0, s[8:9]
	global_load_dwordx2 v[8:9], v[8:9], off
	s_waitcnt vmcnt(0)
	ds_write_b64 v3, v[8:9] offset:2112
.LBB0_17:
	s_or_b64 exec, exec, s[6:7]
	v_add_u32_e32 v1, 16, v18
	v_cmp_le_i32_e32 vcc, s20, v1
	s_and_saveexec_b64 s[6:7], vcc
	s_xor_b64 s[6:7], exec, s[6:7]
	s_cbranch_execz .LBB0_19
; %bb.18:
	v_mov_b32_e32 v8, 0
	v_mov_b32_e32 v9, v8
	ds_write_b64 v3, v[8:9] offset:4224
.LBB0_19:
	s_andn2_saveexec_b64 s[6:7], s[6:7]
	s_cbranch_execz .LBB0_21
; %bb.20:
	s_lshl_b64 s[8:9], s[16:17], 7
	v_lshl_add_u64 v[8:9], v[4:5], 0, s[8:9]
	global_load_dwordx2 v[8:9], v[8:9], off
	s_waitcnt vmcnt(0)
	ds_write_b64 v3, v[8:9] offset:4224
.LBB0_21:
	s_or_b64 exec, exec, s[6:7]
	v_add_u32_e32 v1, 24, v18
	v_cmp_le_i32_e32 vcc, s20, v1
	s_and_saveexec_b64 s[6:7], vcc
	s_xor_b64 s[6:7], exec, s[6:7]
	s_cbranch_execz .LBB0_23
; %bb.22:
	v_mov_b32_e32 v8, 0
	v_mov_b32_e32 v9, v8
	ds_write_b64 v3, v[8:9] offset:6336
                                        ; implicit-def: $vgpr3
.LBB0_23:
	s_andn2_saveexec_b64 s[6:7], s[6:7]
	s_cbranch_execz .LBB0_25
; %bb.24:
	v_mov_b32_e32 v1, 0xc0
	v_mad_u64_u32 v[8:9], s[8:9], s16, v1, v[4:5]
	v_add_u32_e32 v9, s37, v9
	global_load_dwordx2 v[8:9], v[8:9], off
	s_waitcnt vmcnt(0)
	ds_write_b64 v3, v[8:9] offset:6336
.LBB0_25:
	s_or_b64 exec, exec, s[6:7]
	v_mov_b32_e32 v3, 0
	v_lshl_add_u64 v[4:5], v[4:5], 0, v[2:3]
	s_lshl_b64 s[6:7], s[20:21], 3
	v_mov_b32_e32 v1, s7
	v_subrev_co_u32_e32 v4, vcc, s6, v4
	s_nop 1
	v_subb_co_u32_e32 v5, vcc, v5, v1, vcc
	v_lshl_add_u64 v[4:5], v[4:5], 0, 8
	v_cndmask_b32_e64 v5, v5, v7, s[4:5]
	v_cndmask_b32_e64 v4, v4, v6, s[4:5]
	v_mul_u32_u24_e32 v1, 33, v18
	s_branch .LBB0_28
.LBB0_26:
                                        ; implicit-def: $vgpr4_vgpr5
	v_mul_u32_u24_e32 v1, 33, v18
	s_cbranch_execz .LBB0_28
; %bb.27:
	s_lshl_b64 s[4:5], s[16:17], 6
	v_lshl_add_u64 v[4:5], v[6:7], 0, s[4:5]
	global_load_dwordx2 v[8:9], v[6:7], off
	global_load_dwordx2 v[10:11], v[4:5], off
	v_mov_b32_e32 v3, 0xc0
	v_lshl_add_u64 v[4:5], v[4:5], 0, s[4:5]
	v_mad_u64_u32 v[16:17], s[4:5], s16, v3, v[6:7]
	global_load_dwordx2 v[4:5], v[4:5], off
	v_add_u32_e32 v17, s37, v17
	global_load_dwordx2 v[16:17], v[16:17], off
	v_add_lshl_u32 v3, v1, v0, 3
	s_waitcnt vmcnt(3)
	ds_write_b64 v3, v[8:9]
	s_waitcnt vmcnt(2)
	ds_write_b64 v3, v[10:11] offset:2112
	s_waitcnt vmcnt(1)
	ds_write_b64 v3, v[4:5] offset:4224
	;; [unrolled: 2-line block ×3, first 2 shown]
	v_mov_b64_e32 v[4:5], v[6:7]
.LBB0_28:
	v_lshlrev_b32_e32 v21, 2, v18
	v_cmp_le_u32_e64 s[4:5], v21, v0
	s_waitcnt lgkmcnt(0)
	s_barrier
	s_and_saveexec_b64 s[6:7], s[4:5]
	s_xor_b64 s[6:7], exec, s[6:7]
	s_cbranch_execz .LBB0_32
; %bb.29:
	v_cmp_eq_u32_e32 vcc, v21, v0
	s_and_saveexec_b64 s[8:9], vcc
	s_cbranch_execz .LBB0_31
; %bb.30:
	v_mul_u32_u24_e32 v3, 34, v0
	v_lshlrev_b32_e32 v3, 3, v3
	v_mov_b32_e32 v6, 0
	ds_write_b32 v3, v6 offset:4
.LBB0_31:
	s_or_b64 exec, exec, s[8:9]
.LBB0_32:
	s_or_saveexec_b64 s[6:7], s[6:7]
	v_mul_u32_u24_e32 v19, 33, v0
	v_add_lshl_u32 v16, v21, v19, 3
	s_xor_b64 exec, exec, s[6:7]
	s_cbranch_execz .LBB0_34
; %bb.33:
	v_mul_u32_u24_e32 v3, 0x84, v18
	v_add_lshl_u32 v3, v3, v0, 3
	ds_read_b64 v[6:7], v3
	s_waitcnt lgkmcnt(0)
	v_xor_b32_e32 v7, 0x80000000, v7
	ds_write_b64 v16, v[6:7]
.LBB0_34:
	s_or_b64 exec, exec, s[6:7]
	v_or_b32_e32 v17, 1, v21
	v_cmp_ge_u32_e64 s[6:7], v21, v0
	v_mul_u32_u24_e32 v3, 33, v17
	s_and_saveexec_b64 s[8:9], s[6:7]
	s_xor_b64 s[8:9], exec, s[8:9]
	s_cbranch_execz .LBB0_36
; %bb.35:
	v_add_lshl_u32 v6, v3, v0, 3
	ds_read_b64 v[6:7], v6
	s_waitcnt lgkmcnt(0)
	v_xor_b32_e32 v7, 0x80000000, v7
	ds_write_b64 v16, v[6:7] offset:8
.LBB0_36:
	s_andn2_saveexec_b64 s[8:9], s[8:9]
	s_cbranch_execz .LBB0_40
; %bb.37:
	v_cmp_eq_u32_e32 vcc, v17, v0
	s_and_saveexec_b64 s[10:11], vcc
	s_cbranch_execz .LBB0_39
; %bb.38:
	v_mul_u32_u24_e32 v6, 34, v0
	v_lshlrev_b32_e32 v6, 3, v6
	v_mov_b32_e32 v7, 0
	ds_write_b32 v6, v7 offset:4
.LBB0_39:
	s_or_b64 exec, exec, s[10:11]
.LBB0_40:
	s_or_b64 exec, exec, s[8:9]
	v_or_b32_e32 v26, 2, v21
	v_cmp_le_u32_e64 s[8:9], v26, v0
	s_and_saveexec_b64 s[10:11], s[8:9]
	s_xor_b64 s[10:11], exec, s[10:11]
	s_cbranch_execz .LBB0_44
; %bb.41:
	v_cmp_eq_u32_e32 vcc, v26, v0
	s_and_saveexec_b64 s[12:13], vcc
	s_cbranch_execz .LBB0_43
; %bb.42:
	v_mul_u32_u24_e32 v6, 34, v0
	v_lshlrev_b32_e32 v6, 3, v6
	v_mov_b32_e32 v7, 0
	ds_write_b32 v6, v7 offset:4
.LBB0_43:
	s_or_b64 exec, exec, s[12:13]
.LBB0_44:
	s_andn2_saveexec_b64 s[10:11], s[10:11]
	s_cbranch_execz .LBB0_46
; %bb.45:
	v_mul_u32_u24_e32 v6, 33, v26
	v_add_lshl_u32 v6, v6, v0, 3
	ds_read_b64 v[6:7], v6
	s_waitcnt lgkmcnt(0)
	v_xor_b32_e32 v7, 0x80000000, v7
	ds_write_b64 v16, v[6:7] offset:16
.LBB0_46:
	s_or_b64 exec, exec, s[10:11]
	v_or_b32_e32 v27, 3, v21
	v_cmp_le_u32_e64 s[10:11], v27, v0
	s_and_saveexec_b64 s[12:13], s[10:11]
	s_xor_b64 s[12:13], exec, s[12:13]
	s_cbranch_execz .LBB0_50
; %bb.47:
	v_cmp_eq_u32_e32 vcc, v27, v0
	s_and_saveexec_b64 s[14:15], vcc
	s_cbranch_execz .LBB0_49
; %bb.48:
	v_mul_u32_u24_e32 v6, 34, v0
	v_lshlrev_b32_e32 v6, 3, v6
	v_mov_b32_e32 v7, 0
	ds_write_b32 v6, v7 offset:4
.LBB0_49:
	s_or_b64 exec, exec, s[14:15]
.LBB0_50:
	s_andn2_saveexec_b64 s[12:13], s[12:13]
	s_cbranch_execz .LBB0_52
; %bb.51:
	v_mul_u32_u24_e32 v6, 33, v27
	v_add_lshl_u32 v6, v6, v0, 3
	ds_read_b64 v[6:7], v6
	s_waitcnt lgkmcnt(0)
	v_xor_b32_e32 v7, 0x80000000, v7
	ds_write_b64 v16, v[6:7] offset:24
.LBB0_52:
	s_or_b64 exec, exec, s[12:13]
	v_mul_u32_u24_e32 v6, 0x84, v18
	v_lshlrev_b32_e32 v32, 3, v21
	s_waitcnt lgkmcnt(0)
	s_barrier
	v_add_lshl_u32 v20, v6, v0, 3
	v_add_lshl_u32 v25, v3, v0, 3
	ds_read_b128 v[6:9], v32 offset:9088
	ds_read_b64 v[10:11], v20
	ds_read2_b64 v[34:37], v25 offset1:33
	ds_read_b64 v[30:31], v25 offset:528
	ds_read_b128 v[38:41], v32 offset:9104
	s_mov_b32 s14, 0
	s_waitcnt lgkmcnt(3)
	v_pk_mul_f32 v[42:43], v[6:7], v[10:11] op_sel:[0,1]
	s_mov_b32 s15, s14
	v_pk_fma_f32 v[44:45], v[6:7], v[10:11], v[42:43] op_sel:[0,0,1] op_sel_hi:[1,1,0] neg_lo:[0,0,1] neg_hi:[0,0,1]
	v_pk_fma_f32 v[6:7], v[6:7], v[10:11], v[42:43] op_sel:[0,0,1] op_sel_hi:[1,0,0]
	s_waitcnt lgkmcnt(2)
	v_pk_mul_f32 v[10:11], v[8:9], v[34:35] op_sel:[0,1]
	v_mov_b32_e32 v45, v7
	v_pk_fma_f32 v[42:43], v[8:9], v[34:35], v[10:11] op_sel:[0,0,1] op_sel_hi:[1,1,0] neg_lo:[0,0,1] neg_hi:[0,0,1]
	v_pk_fma_f32 v[8:9], v[8:9], v[34:35], v[10:11] op_sel:[0,0,1] op_sel_hi:[1,0,0]
	v_pk_add_f32 v[6:7], v[44:45], 0 op_sel_hi:[1,0]
	v_mov_b32_e32 v43, v9
	s_waitcnt lgkmcnt(0)
	v_pk_mul_f32 v[8:9], v[38:39], v[36:37] op_sel:[0,1]
	v_pk_add_f32 v[6:7], v[6:7], v[42:43]
	v_pk_fma_f32 v[10:11], v[38:39], v[36:37], v[8:9] op_sel:[0,0,1] op_sel_hi:[1,1,0] neg_lo:[0,0,1] neg_hi:[0,0,1]
	v_pk_fma_f32 v[8:9], v[38:39], v[36:37], v[8:9] op_sel:[0,0,1] op_sel_hi:[1,0,0]
	v_add_lshl_u32 v23, v18, v19, 3
	v_mov_b32_e32 v11, v9
	v_pk_mul_f32 v[8:9], v[40:41], v[30:31] op_sel:[0,1]
	v_pk_add_f32 v[6:7], v[6:7], v[10:11]
	v_pk_fma_f32 v[10:11], v[40:41], v[30:31], v[8:9] op_sel:[0,0,1] op_sel_hi:[1,1,0] neg_lo:[0,0,1] neg_hi:[0,0,1]
	v_pk_fma_f32 v[8:9], v[40:41], v[30:31], v[8:9] op_sel:[0,0,1] op_sel_hi:[1,0,0]
	v_cmp_gt_u32_e64 s[12:13], 32, v22
	v_mov_b32_e32 v11, v9
	v_pk_add_f32 v[6:7], v[6:7], v[10:11]
	v_mov_b64_e32 v[30:31], s[14:15]
	v_lshlrev_b32_e32 v24, 3, v19
	s_barrier
	ds_write_b64 v23, v[6:7]
	s_waitcnt lgkmcnt(0)
	s_barrier
	s_and_saveexec_b64 s[14:15], s[12:13]
	s_cbranch_execz .LBB0_54
; %bb.53:
	ds_read2_b64 v[6:9], v24 offset1:7
	ds_read2_b64 v[34:37], v24 offset0:1 offset1:2
	ds_read2_b64 v[38:41], v24 offset0:3 offset1:4
	s_waitcnt lgkmcnt(1)
	v_add_f32_e32 v3, v34, v6
	v_add_f32_e32 v6, v35, v7
	;; [unrolled: 1-line block ×4, first 2 shown]
	ds_read2_b64 v[34:37], v24 offset0:5 offset1:6
	s_waitcnt lgkmcnt(1)
	v_add_f32_e32 v3, v3, v38
	v_add_f32_e32 v6, v6, v39
	;; [unrolled: 1-line block ×4, first 2 shown]
	s_waitcnt lgkmcnt(0)
	v_add_f32_e32 v3, v3, v34
	v_add_f32_e32 v7, v6, v35
	v_add_f32_e32 v6, v3, v36
	v_add_f32_e32 v7, v7, v37
	v_pk_add_f32 v[30:31], v[6:7], v[8:9]
.LBB0_54:
	s_or_b64 exec, exec, s[14:15]
	s_lshl_b64 s[14:15], s[16:17], 8
	v_lshl_add_u64 v[8:9], v[4:5], 0, s[14:15]
	s_mov_b64 s[14:15], 0x100
	v_lshl_add_u64 v[6:7], v[8:9], 0, s[14:15]
	s_and_b64 vcc, exec, s[26:27]
	s_barrier
	s_cbranch_vccz .LBB0_70
; %bb.55:
	v_sub_co_u32_e32 v4, vcc, v6, v2
	s_ashr_i32 s21, s20, 31
	s_nop 0
	v_subbrev_co_u32_e32 v5, vcc, 0, v7, vcc
	s_movk_i32 s14, 0xfef8
	v_or_b32_e32 v3, 32, v0
	v_lshl_add_u64 v[4:5], s[20:21], 3, v[4:5]
	s_mov_b32 s15, -1
	v_lshl_add_u64 v[4:5], v[4:5], 0, s[14:15]
	v_cmp_gt_i32_e32 vcc, s20, v3
	s_sub_i32 s38, s20, 32
	v_mov_b32_e32 v10, 0
	v_cndmask_b32_e32 v5, v5, v7, vcc
	v_cndmask_b32_e32 v4, v4, v6, vcc
	v_cmp_gt_i32_e64 s[14:15], s38, v18
	v_mov_b32_e32 v11, v10
	s_and_saveexec_b64 s[28:29], s[14:15]
	s_cbranch_execz .LBB0_57
; %bb.56:
	global_load_dwordx2 v[10:11], v[4:5], off
.LBB0_57:
	s_or_b64 exec, exec, s[28:29]
	v_add_lshl_u32 v3, v1, v0, 3
	s_waitcnt vmcnt(0)
	ds_write_b64 v3, v[10:11]
	v_add_u32_e32 v10, 8, v18
	v_cmp_le_i32_e64 s[14:15], s38, v10
	s_and_saveexec_b64 s[28:29], s[14:15]
	s_xor_b64 s[14:15], exec, s[28:29]
	s_cbranch_execz .LBB0_59
; %bb.58:
	v_mul_u32_u24_e32 v10, 33, v10
	v_add_lshl_u32 v33, v10, v0, 3
	v_mov_b32_e32 v10, 0
	v_mov_b32_e32 v11, v10
	ds_write_b64 v33, v[10:11]
.LBB0_59:
	s_andn2_saveexec_b64 s[14:15], s[14:15]
	s_cbranch_execz .LBB0_61
; %bb.60:
	s_lshl_b64 s[28:29], s[16:17], 6
	v_lshl_add_u64 v[10:11], v[4:5], 0, s[28:29]
	global_load_dwordx2 v[10:11], v[10:11], off
	s_waitcnt vmcnt(0)
	ds_write_b64 v3, v[10:11] offset:2112
.LBB0_61:
	s_or_b64 exec, exec, s[14:15]
	v_add_u32_e32 v10, 16, v18
	v_cmp_le_i32_e64 s[14:15], s38, v10
	s_and_saveexec_b64 s[28:29], s[14:15]
	s_xor_b64 s[14:15], exec, s[28:29]
	s_cbranch_execz .LBB0_63
; %bb.62:
	v_mov_b32_e32 v10, 0
	v_mov_b32_e32 v11, v10
	ds_write_b64 v3, v[10:11] offset:4224
.LBB0_63:
	s_andn2_saveexec_b64 s[14:15], s[14:15]
	s_cbranch_execz .LBB0_65
; %bb.64:
	s_lshl_b64 s[28:29], s[16:17], 7
	v_lshl_add_u64 v[10:11], v[4:5], 0, s[28:29]
	global_load_dwordx2 v[10:11], v[10:11], off
	s_waitcnt vmcnt(0)
	ds_write_b64 v3, v[10:11] offset:4224
.LBB0_65:
	s_or_b64 exec, exec, s[14:15]
	v_add_u32_e32 v10, 24, v18
	v_cmp_le_i32_e64 s[14:15], s38, v10
	s_and_saveexec_b64 s[28:29], s[14:15]
	s_xor_b64 s[14:15], exec, s[28:29]
	s_cbranch_execz .LBB0_67
; %bb.66:
	v_mov_b32_e32 v10, 0
	v_mov_b32_e32 v11, v10
	ds_write_b64 v3, v[10:11] offset:6336
                                        ; implicit-def: $vgpr3
.LBB0_67:
	s_andn2_saveexec_b64 s[14:15], s[14:15]
	s_cbranch_execz .LBB0_69
; %bb.68:
	v_mov_b32_e32 v10, 0xc0
	v_mad_u64_u32 v[10:11], s[28:29], s16, v10, v[4:5]
	v_add_u32_e32 v11, s37, v11
	global_load_dwordx2 v[10:11], v[10:11], off
	s_waitcnt vmcnt(0)
	ds_write_b64 v3, v[10:11] offset:6336
.LBB0_69:
	s_or_b64 exec, exec, s[14:15]
	v_mov_b32_e32 v3, 0
	v_lshl_add_u64 v[4:5], v[4:5], 0, v[2:3]
	s_lshl_b64 s[14:15], s[20:21], 3
	v_mov_b32_e32 v3, s15
	v_subrev_co_u32_e64 v4, s[14:15], s14, v4
	s_nop 1
	v_subb_co_u32_e64 v5, s[14:15], v5, v3, s[14:15]
	s_mov_b64 s[14:15], 0x108
	s_nop 0
	v_lshl_add_u64 v[4:5], v[4:5], 0, s[14:15]
	v_cndmask_b32_e32 v5, v5, v7, vcc
	v_cndmask_b32_e32 v4, v4, v6, vcc
	s_branch .LBB0_72
.LBB0_70:
                                        ; implicit-def: $vgpr4_vgpr5
	s_cbranch_execz .LBB0_72
; %bb.71:
	s_lshl_b64 s[14:15], s[16:17], 6
	v_lshl_add_u64 v[4:5], v[8:9], 0, s[14:15]
	v_mov_b32_e32 v3, 0xc0
	v_lshl_add_u64 v[10:11], v[4:5], 0, s[14:15]
	v_mad_u64_u32 v[34:35], s[14:15], s16, v3, v[8:9]
	v_add_u32_e32 v35, s37, v35
	global_load_dwordx2 v[36:37], v[8:9], off offset:256
	global_load_dwordx2 v[38:39], v[4:5], off offset:256
	;; [unrolled: 1-line block ×4, first 2 shown]
	v_add_lshl_u32 v3, v1, v0, 3
	v_mov_b64_e32 v[4:5], v[6:7]
	s_waitcnt vmcnt(3)
	ds_write_b64 v3, v[36:37]
	s_waitcnt vmcnt(2)
	ds_write_b64 v3, v[38:39] offset:2112
	s_waitcnt vmcnt(1)
	ds_write_b64 v3, v[40:41] offset:4224
	;; [unrolled: 2-line block ×3, first 2 shown]
.LBB0_72:
	s_waitcnt lgkmcnt(0)
	s_barrier
	s_and_saveexec_b64 s[14:15], s[4:5]
	s_xor_b64 s[4:5], exec, s[14:15]
	s_cbranch_execnz .LBB0_99
; %bb.73:
	s_andn2_saveexec_b64 s[4:5], s[4:5]
	s_cbranch_execnz .LBB0_102
.LBB0_74:
	s_or_b64 exec, exec, s[4:5]
	s_and_saveexec_b64 s[4:5], s[6:7]
	s_xor_b64 s[4:5], exec, s[4:5]
	s_cbranch_execnz .LBB0_103
.LBB0_75:
	s_andn2_saveexec_b64 s[4:5], s[4:5]
	s_cbranch_execnz .LBB0_104
.LBB0_76:
	s_or_b64 exec, exec, s[4:5]
	s_and_saveexec_b64 s[4:5], s[8:9]
	s_xor_b64 s[4:5], exec, s[4:5]
	s_cbranch_execnz .LBB0_107
.LBB0_77:
	s_andn2_saveexec_b64 s[4:5], s[4:5]
	s_cbranch_execnz .LBB0_110
.LBB0_78:
	s_or_b64 exec, exec, s[4:5]
	s_and_saveexec_b64 s[4:5], s[10:11]
	s_xor_b64 s[4:5], exec, s[4:5]
	s_cbranch_execnz .LBB0_111
.LBB0_79:
	s_or_saveexec_b64 s[4:5], s[4:5]
	v_add_u32_e32 v26, 0x2380, v32
	s_xor_b64 exec, exec, s[4:5]
	s_cbranch_execz .LBB0_81
.LBB0_80:
	ds_read_b64 v[6:7], v25 offset:528
	s_waitcnt lgkmcnt(0)
	v_xor_b32_e32 v7, 0x80000000, v7
	ds_write_b64 v16, v[6:7] offset:24
.LBB0_81:
	s_or_b64 exec, exec, s[4:5]
	s_waitcnt lgkmcnt(0)
	s_barrier
	ds_read_b64 v[10:11], v20
	ds_read_b128 v[6:9], v26 offset:256
	ds_read2_b64 v[32:35], v25 offset1:33
	ds_read_b64 v[16:17], v25 offset:528
	ds_read_b128 v[36:39], v26 offset:272
	v_cmp_eq_u32_e64 s[4:5], 1, v18
	s_waitcnt lgkmcnt(3)
	v_pk_mul_f32 v[40:41], v[6:7], v[10:11] op_sel:[0,1]
	s_waitcnt lgkmcnt(0)
	v_pk_fma_f32 v[42:43], v[6:7], v[10:11], v[40:41] op_sel:[0,0,1] op_sel_hi:[1,1,0] neg_lo:[0,0,1] neg_hi:[0,0,1]
	v_pk_fma_f32 v[6:7], v[6:7], v[10:11], v[40:41] op_sel:[0,0,1] op_sel_hi:[1,0,0]
	v_pk_mul_f32 v[10:11], v[8:9], v[32:33] op_sel:[0,1]
	v_mov_b32_e32 v43, v7
	v_pk_fma_f32 v[40:41], v[8:9], v[32:33], v[10:11] op_sel:[0,0,1] op_sel_hi:[1,1,0] neg_lo:[0,0,1] neg_hi:[0,0,1]
	v_pk_fma_f32 v[8:9], v[8:9], v[32:33], v[10:11] op_sel:[0,0,1] op_sel_hi:[1,0,0]
	v_pk_add_f32 v[6:7], v[42:43], 0 op_sel_hi:[1,0]
	v_mov_b32_e32 v41, v9
	v_pk_mul_f32 v[8:9], v[36:37], v[34:35] op_sel:[0,1]
	v_pk_add_f32 v[6:7], v[6:7], v[40:41]
	v_pk_fma_f32 v[10:11], v[36:37], v[34:35], v[8:9] op_sel:[0,0,1] op_sel_hi:[1,1,0] neg_lo:[0,0,1] neg_hi:[0,0,1]
	v_pk_fma_f32 v[8:9], v[36:37], v[34:35], v[8:9] op_sel:[0,0,1] op_sel_hi:[1,0,0]
	s_barrier
	v_mov_b32_e32 v11, v9
	v_pk_mul_f32 v[8:9], v[38:39], v[16:17] op_sel:[0,1]
	v_pk_add_f32 v[6:7], v[6:7], v[10:11]
	v_pk_fma_f32 v[10:11], v[38:39], v[16:17], v[8:9] op_sel:[0,0,1] op_sel_hi:[1,1,0] neg_lo:[0,0,1] neg_hi:[0,0,1]
	v_pk_fma_f32 v[8:9], v[38:39], v[16:17], v[8:9] op_sel:[0,0,1] op_sel_hi:[1,0,0]
	s_nop 0
	v_mov_b32_e32 v11, v9
	v_pk_add_f32 v[6:7], v[6:7], v[10:11]
	ds_write_b64 v23, v[6:7]
	s_waitcnt lgkmcnt(0)
	s_barrier
	s_and_saveexec_b64 s[6:7], s[4:5]
	s_cbranch_execz .LBB0_83
; %bb.82:
	ds_read2_b64 v[6:9], v24 offset1:7
	ds_read2_b64 v[30:33], v24 offset0:1 offset1:2
	ds_read2_b64 v[34:37], v24 offset0:3 offset1:4
	s_waitcnt lgkmcnt(1)
	v_add_f32_e32 v3, v30, v6
	v_add_f32_e32 v6, v31, v7
	;; [unrolled: 1-line block ×4, first 2 shown]
	ds_read2_b64 v[30:33], v24 offset0:5 offset1:6
	s_waitcnt lgkmcnt(1)
	v_add_f32_e32 v3, v3, v34
	v_add_f32_e32 v6, v6, v35
	;; [unrolled: 1-line block ×4, first 2 shown]
	s_waitcnt lgkmcnt(0)
	v_add_f32_e32 v6, v3, v30
	v_add_f32_e32 v7, v7, v31
	v_pk_add_f32 v[6:7], v[6:7], v[32:33]
	s_nop 0
	v_pk_add_f32 v[30:31], v[6:7], v[8:9]
.LBB0_83:
	s_or_b64 exec, exec, s[6:7]
	s_movk_i32 s6, 0xff00
	s_mov_b32 s7, -1
	v_lshl_add_u64 v[6:7], v[4:5], 0, s[6:7]
	s_and_b64 vcc, exec, s[26:27]
	s_barrier
	s_cbranch_vccz .LBB0_114
; %bb.84:
	v_sub_co_u32_e32 v8, vcc, v4, v2
	s_ashr_i32 s21, s20, 31
	s_nop 0
	v_subbrev_co_u32_e32 v9, vcc, 0, v5, vcc
	s_movk_i32 s6, 0xfef8
	v_lshl_add_u64 v[8:9], s[20:21], 3, v[8:9]
	s_mov_b32 s7, -1
	v_lshl_add_u64 v[8:9], v[8:9], 0, s[6:7]
	v_cmp_gt_i32_e32 vcc, s20, v0
	s_sub_i32 s10, s20, 32
	v_mov_b32_e32 v10, 0
	v_cndmask_b32_e32 v9, v9, v7, vcc
	v_cndmask_b32_e32 v8, v8, v6, vcc
	v_cmp_gt_i32_e64 s[6:7], s10, v18
	v_mov_b32_e32 v11, v10
	s_and_saveexec_b64 s[8:9], s[6:7]
	s_cbranch_execz .LBB0_86
; %bb.85:
	global_load_dwordx2 v[10:11], v[8:9], off
.LBB0_86:
	s_or_b64 exec, exec, s[8:9]
	v_add_lshl_u32 v3, v1, v0, 3
	s_waitcnt vmcnt(0)
	ds_write_b64 v3, v[10:11]
	v_add_u32_e32 v10, 8, v18
	v_cmp_le_i32_e64 s[6:7], s10, v10
	s_and_saveexec_b64 s[8:9], s[6:7]
	s_xor_b64 s[6:7], exec, s[8:9]
	s_cbranch_execz .LBB0_88
; %bb.87:
	v_mul_u32_u24_e32 v11, 33, v10
	v_mov_b32_e32 v16, 0
	v_add_lshl_u32 v11, v11, v0, 3
	v_mov_b32_e32 v17, v16
	ds_write_b64 v11, v[16:17]
.LBB0_88:
	s_andn2_saveexec_b64 s[6:7], s[6:7]
	s_cbranch_execz .LBB0_90
; %bb.89:
	s_lshl_b64 s[8:9], s[16:17], 6
	v_lshl_add_u64 v[16:17], v[8:9], 0, s[8:9]
	global_load_dwordx2 v[16:17], v[16:17], off
	s_waitcnt vmcnt(0)
	ds_write_b64 v3, v[16:17] offset:2112
.LBB0_90:
	s_or_b64 exec, exec, s[6:7]
	v_add_u32_e32 v11, 16, v18
	v_cmp_le_i32_e64 s[6:7], s10, v11
	s_and_saveexec_b64 s[8:9], s[6:7]
	s_xor_b64 s[6:7], exec, s[8:9]
	s_cbranch_execz .LBB0_92
; %bb.91:
	v_mov_b32_e32 v16, 0
	v_mov_b32_e32 v17, v16
	ds_write_b64 v3, v[16:17] offset:4224
.LBB0_92:
	s_andn2_saveexec_b64 s[6:7], s[6:7]
	s_cbranch_execz .LBB0_94
; %bb.93:
	s_lshl_b64 s[8:9], s[16:17], 7
	v_lshl_add_u64 v[16:17], v[8:9], 0, s[8:9]
	global_load_dwordx2 v[16:17], v[16:17], off
	s_waitcnt vmcnt(0)
	ds_write_b64 v3, v[16:17] offset:4224
.LBB0_94:
	s_or_b64 exec, exec, s[6:7]
	v_add_u32_e32 v21, 24, v18
	v_cmp_le_i32_e64 s[6:7], s10, v21
	s_and_saveexec_b64 s[8:9], s[6:7]
	s_xor_b64 s[6:7], exec, s[8:9]
	s_cbranch_execz .LBB0_96
; %bb.95:
	v_mov_b32_e32 v16, 0
	v_mov_b32_e32 v17, v16
	ds_write_b64 v3, v[16:17] offset:6336
                                        ; implicit-def: $vgpr3
.LBB0_96:
	s_andn2_saveexec_b64 s[6:7], s[6:7]
	s_cbranch_execz .LBB0_98
; %bb.97:
	v_mov_b32_e32 v16, 0xc0
	v_mad_u64_u32 v[16:17], s[8:9], s16, v16, v[8:9]
	v_add_u32_e32 v17, s37, v17
	global_load_dwordx2 v[16:17], v[16:17], off
	s_waitcnt vmcnt(0)
	ds_write_b64 v3, v[16:17] offset:6336
.LBB0_98:
	s_or_b64 exec, exec, s[6:7]
	v_mov_b32_e32 v3, 0
	v_lshl_add_u64 v[2:3], v[8:9], 0, v[2:3]
	s_lshl_b64 s[6:7], s[20:21], 3
	v_mov_b32_e32 v8, s7
	v_subrev_co_u32_e64 v2, s[6:7], s6, v2
	s_nop 1
	v_subb_co_u32_e64 v3, s[6:7], v3, v8, s[6:7]
	v_lshl_add_u64 v[2:3], v[2:3], 0, 8
	v_cndmask_b32_e32 v17, v3, v7, vcc
	v_cndmask_b32_e32 v16, v2, v6, vcc
	s_branch .LBB0_116
.LBB0_99:
	v_cmp_eq_u32_e32 vcc, v21, v0
	s_and_saveexec_b64 s[14:15], vcc
	s_cbranch_execz .LBB0_101
; %bb.100:
	v_mul_u32_u24_e32 v3, 34, v0
	v_lshlrev_b32_e32 v3, 3, v3
	v_mov_b32_e32 v6, 0
	ds_write_b32 v3, v6 offset:4
.LBB0_101:
	s_or_b64 exec, exec, s[14:15]
	s_andn2_saveexec_b64 s[4:5], s[4:5]
	s_cbranch_execz .LBB0_74
.LBB0_102:
	ds_read_b64 v[6:7], v20
	s_waitcnt lgkmcnt(0)
	v_xor_b32_e32 v7, 0x80000000, v7
	ds_write_b64 v16, v[6:7]
	s_or_b64 exec, exec, s[4:5]
	s_and_saveexec_b64 s[4:5], s[6:7]
	s_xor_b64 s[4:5], exec, s[4:5]
	s_cbranch_execz .LBB0_75
.LBB0_103:
	ds_read_b64 v[6:7], v25
                                        ; implicit-def: $vgpr17
	s_waitcnt lgkmcnt(0)
	v_xor_b32_e32 v7, 0x80000000, v7
	ds_write_b64 v16, v[6:7] offset:8
	s_andn2_saveexec_b64 s[4:5], s[4:5]
	s_cbranch_execz .LBB0_76
.LBB0_104:
	v_cmp_eq_u32_e32 vcc, v17, v0
	s_and_saveexec_b64 s[6:7], vcc
	s_cbranch_execz .LBB0_106
; %bb.105:
	v_mul_u32_u24_e32 v3, 34, v0
	v_lshlrev_b32_e32 v3, 3, v3
	v_mov_b32_e32 v6, 0
	ds_write_b32 v3, v6 offset:4
.LBB0_106:
	s_or_b64 exec, exec, s[6:7]
	s_or_b64 exec, exec, s[4:5]
	s_and_saveexec_b64 s[4:5], s[8:9]
	s_xor_b64 s[4:5], exec, s[4:5]
	s_cbranch_execz .LBB0_77
.LBB0_107:
	v_cmp_eq_u32_e32 vcc, v26, v0
	s_and_saveexec_b64 s[6:7], vcc
	s_cbranch_execz .LBB0_109
; %bb.108:
	v_mul_u32_u24_e32 v3, 34, v0
	v_lshlrev_b32_e32 v3, 3, v3
	v_mov_b32_e32 v6, 0
	ds_write_b32 v3, v6 offset:4
.LBB0_109:
	s_or_b64 exec, exec, s[6:7]
	s_andn2_saveexec_b64 s[4:5], s[4:5]
	s_cbranch_execz .LBB0_78
.LBB0_110:
	ds_read_b64 v[6:7], v25 offset:264
	s_waitcnt lgkmcnt(0)
	v_xor_b32_e32 v7, 0x80000000, v7
	ds_write_b64 v16, v[6:7] offset:16
	s_or_b64 exec, exec, s[4:5]
	s_and_saveexec_b64 s[4:5], s[10:11]
	s_xor_b64 s[4:5], exec, s[4:5]
	s_cbranch_execz .LBB0_79
.LBB0_111:
	v_cmp_eq_u32_e32 vcc, v27, v0
	s_and_saveexec_b64 s[6:7], vcc
	s_cbranch_execz .LBB0_113
; %bb.112:
	v_mul_u32_u24_e32 v3, 34, v0
	v_lshlrev_b32_e32 v3, 3, v3
	v_mov_b32_e32 v6, 0
	ds_write_b32 v3, v6 offset:4
.LBB0_113:
	s_or_b64 exec, exec, s[6:7]
                                        ; implicit-def: $vgpr16
	s_or_saveexec_b64 s[4:5], s[4:5]
	v_add_u32_e32 v26, 0x2380, v32
	s_xor_b64 exec, exec, s[4:5]
	s_cbranch_execnz .LBB0_80
	s_branch .LBB0_81
.LBB0_114:
                                        ; implicit-def: $vgpr16_vgpr17
                                        ; implicit-def: $vgpr10
                                        ; implicit-def: $vgpr11
                                        ; implicit-def: $vgpr21
	s_cbranch_execz .LBB0_116
; %bb.115:
	s_lshl_b64 s[6:7], s[16:17], 6
	v_lshl_add_u64 v[2:3], v[4:5], 0, s[6:7]
	v_lshl_add_u64 v[8:9], v[2:3], 0, s[6:7]
	global_load_dwordx2 v[16:17], v[2:3], off offset:-256
	global_load_dwordx2 v[32:33], v[8:9], off offset:-256
	v_mov_b32_e32 v8, 0xc0
	global_load_dwordx2 v[2:3], v[4:5], off offset:-256
	v_mad_u64_u32 v[4:5], s[6:7], s16, v8, v[4:5]
	v_add_u32_e32 v5, s37, v5
	global_load_dwordx2 v[4:5], v[4:5], off offset:-256
	v_add_lshl_u32 v0, v1, v0, 3
	v_add_u32_e32 v10, 8, v18
	v_add_u32_e32 v11, 16, v18
	v_add_u32_e32 v21, 24, v18
	s_waitcnt vmcnt(1)
	ds_write_b64 v0, v[2:3]
	ds_write_b64 v0, v[16:17] offset:2112
	ds_write_b64 v0, v[32:33] offset:4224
	s_waitcnt vmcnt(0)
	ds_write_b64 v0, v[4:5] offset:6336
	v_mov_b64_e32 v[16:17], v[6:7]
.LBB0_116:
	s_waitcnt lgkmcnt(0)
	s_barrier
	ds_read_b64 v[32:33], v23
	v_add_lshl_u32 v0, v11, v19, 3
	ds_read_b64 v[34:35], v0
	v_lshlrev_b32_e32 v4, 3, v18
	v_add_lshl_u32 v5, v10, v19, 3
	v_lshlrev_b32_e32 v6, 3, v10
	v_lshlrev_b32_e32 v7, 3, v11
	v_add_lshl_u32 v18, v21, v19, 3
	v_lshlrev_b32_e32 v19, 3, v21
	ds_read2_b64 v[0:3], v25 offset1:33
	ds_read_b64 v[20:21], v20
	ds_read_b128 v[8:11], v26 offset:256
	ds_read_b64 v[36:37], v6 offset:9088
	ds_read_b64 v[38:39], v5
	ds_read_b64 v[40:41], v4 offset:9088
	ds_read_b64 v[42:43], v19 offset:9088
	ds_read_b64 v[44:45], v18
	ds_read_b64 v[46:47], v7 offset:9088
	ds_read_b64 v[18:19], v25 offset:528
	ds_read_b128 v[4:7], v26 offset:272
	s_waitcnt lgkmcnt(5)
	v_pk_mul_f32 v[26:27], v[32:33], v[40:41] op_sel:[1,0]
	v_pk_mul_f32 v[48:49], v[38:39], v[36:37] op_sel:[1,0]
	v_pk_fma_f32 v[54:55], v[32:33], v[40:41], v[26:27] op_sel:[0,0,1] op_sel_hi:[1,1,0]
	v_pk_fma_f32 v[26:27], v[32:33], v[40:41], v[26:27] op_sel:[0,0,1] op_sel_hi:[0,1,0] neg_lo:[0,0,1] neg_hi:[0,0,1]
	v_mov_b32_e32 v55, v27
	v_pk_fma_f32 v[32:33], v[38:39], v[36:37], v[48:49] op_sel:[0,0,1] op_sel_hi:[1,1,0]
	v_pk_fma_f32 v[36:37], v[38:39], v[36:37], v[48:49] op_sel:[0,0,1] op_sel_hi:[0,1,0] neg_lo:[0,0,1] neg_hi:[0,0,1]
	s_waitcnt lgkmcnt(2)
	v_pk_mul_f32 v[50:51], v[34:35], v[46:47] op_sel:[1,0]
	v_pk_add_f32 v[26:27], v[54:55], 0 op_sel_hi:[1,0]
	v_mov_b32_e32 v33, v37
	v_pk_add_f32 v[26:27], v[26:27], v[32:33]
	v_pk_fma_f32 v[32:33], v[34:35], v[46:47], v[50:51] op_sel:[0,0,1] op_sel_hi:[1,1,0]
	v_pk_fma_f32 v[34:35], v[34:35], v[46:47], v[50:51] op_sel:[0,0,1] op_sel_hi:[0,1,0] neg_lo:[0,0,1] neg_hi:[0,0,1]
	v_pk_mul_f32 v[52:53], v[44:45], v[42:43] op_sel:[1,0]
	v_mov_b32_e32 v33, v35
	v_pk_add_f32 v[26:27], v[26:27], v[32:33]
	v_pk_fma_f32 v[32:33], v[44:45], v[42:43], v[52:53] op_sel:[0,0,1] op_sel_hi:[1,1,0]
	v_pk_fma_f32 v[34:35], v[44:45], v[42:43], v[52:53] op_sel:[0,0,1] op_sel_hi:[0,1,0] neg_lo:[0,0,1] neg_hi:[0,0,1]
	v_mov_b32_e32 v33, v35
	v_pk_add_f32 v[26:27], v[26:27], v[32:33]
	s_waitcnt lgkmcnt(0)
	s_barrier
	ds_write_b64 v23, v[26:27]
	s_waitcnt lgkmcnt(0)
	s_barrier
	s_and_saveexec_b64 s[6:7], s[4:5]
	s_cbranch_execz .LBB0_118
; %bb.117:
	ds_read2_b64 v[32:35], v24 offset1:1
	ds_read2_b64 v[36:39], v24 offset0:2 offset1:3
	ds_read2_b64 v[40:43], v24 offset0:6 offset1:7
	s_waitcnt lgkmcnt(2)
	v_pk_add_f32 v[26:27], v[30:31], v[32:33]
	ds_read2_b64 v[30:33], v24 offset0:4 offset1:5
	v_pk_add_f32 v[26:27], v[26:27], v[34:35]
	s_waitcnt lgkmcnt(2)
	v_pk_add_f32 v[26:27], v[26:27], v[36:37]
	s_nop 0
	v_pk_add_f32 v[26:27], v[26:27], v[38:39]
	s_waitcnt lgkmcnt(0)
	v_pk_add_f32 v[26:27], v[26:27], v[30:31]
	s_nop 0
	v_pk_add_f32 v[26:27], v[26:27], v[32:33]
	s_nop 0
	;; [unrolled: 2-line block ×3, first 2 shown]
	v_pk_add_f32 v[30:31], v[26:27], v[42:43]
.LBB0_118:
	s_or_b64 exec, exec, s[6:7]
	v_pk_mul_f32 v[26:27], v[8:9], v[20:21] op_sel:[0,1]
	s_nop 0
	v_pk_fma_f32 v[32:33], v[8:9], v[20:21], v[26:27] op_sel:[0,0,1] op_sel_hi:[1,1,0] neg_lo:[0,0,1] neg_hi:[0,0,1]
	v_pk_fma_f32 v[8:9], v[8:9], v[20:21], v[26:27] op_sel:[0,0,1] op_sel_hi:[1,0,0]
	v_pk_mul_f32 v[20:21], v[10:11], v[0:1] op_sel:[0,1]
	v_mov_b32_e32 v33, v9
	v_pk_fma_f32 v[26:27], v[10:11], v[0:1], v[20:21] op_sel:[0,0,1] op_sel_hi:[1,1,0] neg_lo:[0,0,1] neg_hi:[0,0,1]
	v_pk_fma_f32 v[0:1], v[10:11], v[0:1], v[20:21] op_sel:[0,0,1] op_sel_hi:[1,0,0]
	v_pk_add_f32 v[8:9], v[32:33], 0 op_sel_hi:[1,0]
	v_mov_b32_e32 v27, v1
	v_pk_add_f32 v[0:1], v[8:9], v[26:27]
	v_pk_mul_f32 v[8:9], v[4:5], v[2:3] op_sel:[0,1]
	s_barrier
	v_pk_fma_f32 v[10:11], v[4:5], v[2:3], v[8:9] op_sel:[0,0,1] op_sel_hi:[1,1,0] neg_lo:[0,0,1] neg_hi:[0,0,1]
	v_pk_fma_f32 v[2:3], v[4:5], v[2:3], v[8:9] op_sel:[0,0,1] op_sel_hi:[1,0,0]
	s_nop 0
	v_mov_b32_e32 v11, v3
	v_pk_mul_f32 v[2:3], v[6:7], v[18:19] op_sel:[0,1]
	v_pk_add_f32 v[0:1], v[0:1], v[10:11]
	v_pk_fma_f32 v[4:5], v[6:7], v[18:19], v[2:3] op_sel:[0,0,1] op_sel_hi:[1,1,0] neg_lo:[0,0,1] neg_hi:[0,0,1]
	v_pk_fma_f32 v[2:3], v[6:7], v[18:19], v[2:3] op_sel:[0,0,1] op_sel_hi:[1,0,0]
	s_nop 0
	v_mov_b32_e32 v5, v3
	v_pk_add_f32 v[0:1], v[0:1], v[4:5]
	ds_write_b64 v23, v[0:1]
	s_waitcnt lgkmcnt(0)
	s_barrier
	s_and_saveexec_b64 s[4:5], s[12:13]
	s_cbranch_execz .LBB0_120
; %bb.119:
	ds_read2_b64 v[0:3], v24 offset1:1
	ds_read2_b64 v[4:7], v24 offset0:2 offset1:3
	ds_read2_b64 v[8:11], v24 offset0:4 offset1:5
	s_waitcnt lgkmcnt(2)
	v_pk_add_f32 v[0:1], v[30:31], v[0:1]
	s_nop 0
	v_pk_add_f32 v[18:19], v[0:1], v[2:3]
	ds_read2_b64 v[0:3], v24 offset0:6 offset1:7
	s_waitcnt lgkmcnt(2)
	v_pk_add_f32 v[4:5], v[18:19], v[4:5]
	s_nop 0
	v_pk_add_f32 v[4:5], v[4:5], v[6:7]
	s_waitcnt lgkmcnt(1)
	v_pk_add_f32 v[4:5], v[4:5], v[8:9]
	s_nop 0
	v_pk_add_f32 v[4:5], v[4:5], v[10:11]
	s_waitcnt lgkmcnt(0)
	v_pk_add_f32 v[0:1], v[4:5], v[0:1]
	s_nop 0
	v_pk_add_f32 v[30:31], v[0:1], v[2:3]
.LBB0_120:
	s_or_b64 exec, exec, s[4:5]
	s_mul_hi_u32 s4, s33, s3
	s_mul_i32 s36, s36, s3
	s_add_i32 s4, s4, s36
	s_mul_i32 s3, s33, s3
	s_mul_i32 s4, s4, s30
	s_mul_hi_u32 s5, s3, s30
	s_add_i32 s5, s5, s4
	s_mul_i32 s4, s3, s30
	s_lshl_b64 s[4:5], s[4:5], 3
	s_add_u32 s3, s34, s4
	s_addc_u32 s6, s35, s5
	s_mul_hi_i32 s5, s33, s2
	s_mul_i32 s4, s33, s2
	s_lshl_b64 s[4:5], s[4:5], 3
	s_add_u32 s8, s3, s4
	s_addc_u32 s9, s6, s5
	s_add_i32 s3, s2, 1
	s_cmp_ge_u32 s3, s30
	v_lshlrev_b32_e32 v32, 3, v111
	s_barrier
	s_cbranch_scc1 .LBB0_178
; %bb.121:
	s_mul_i32 s3, s22, s25
	s_mul_hi_u32 s4, s22, s24
	s_add_i32 s3, s4, s3
	s_mul_i32 s4, s23, s24
	s_add_i32 s5, s3, s4
	s_mul_i32 s4, s22, s24
	s_lshl_b64 s[4:5], s[4:5], 3
	v_mov_b32_e32 v0, s5
	v_subrev_co_u32_e32 v34, vcc, s4, v12
	v_and_b32_e32 v2, 48, v111
	s_nop 0
	v_subb_co_u32_e32 v35, vcc, v13, v0, vcc
	v_and_b32_e32 v0, 15, v111
	v_lshlrev_b32_e32 v3, 3, v2
	s_movk_i32 s4, 0x218
	v_lshrrev_b32_e32 v1, 4, v22
	v_mad_u32_u24 v129, v0, s4, v3
	v_or_b32_e32 v3, 0x78, v32
	v_mad_u32_u24 v130, v0, s4, v3
	v_lshlrev_b32_e32 v3, 5, v1
	v_lshlrev_b32_e32 v6, 5, v125
	v_mad_u32_u24 v131, v0, s4, v3
	s_movk_i32 s4, 0x860
	v_add_u32_e32 v3, 0x100, v6
	v_mad_u32_u24 v136, v125, s4, v32
	v_mul_i32_i24_e32 v7, 0xffffffe8, v1
	v_or_b32_e32 v149, v2, v0
	v_mad_u64_u32 v[0:1], s[4:5], s16, v3, 0
	v_mov_b32_e32 v2, v1
	v_mad_u64_u32 v[2:3], s[4:5], s17, v3, v[2:3]
	v_mov_b32_e32 v1, v2
	v_lshlrev_b64 v[2:3], 3, v[14:15]
	v_sub_co_u32_e32 v0, vcc, v0, v2
	v_add_u32_e32 v5, 0x110, v6
	s_nop 0
	v_subb_co_u32_e32 v1, vcc, v1, v3, vcc
	v_lshl_add_u64 v[38:39], v[16:17], 0, v[0:1]
	v_mad_u64_u32 v[0:1], s[4:5], s16, v5, 0
	v_mov_b32_e32 v4, v1
	v_mad_u64_u32 v[4:5], s[4:5], s17, v5, v[4:5]
	v_mov_b32_e32 v1, v4
	v_sub_co_u32_e32 v0, vcc, v0, v2
	v_add_u32_e32 v5, 0x108, v6
	s_nop 0
	v_subb_co_u32_e32 v1, vcc, v1, v3, vcc
	v_lshl_add_u64 v[40:41], v[16:17], 0, v[0:1]
	v_mad_u64_u32 v[0:1], s[4:5], s16, v5, 0
	v_mov_b32_e32 v4, v1
	v_mad_u64_u32 v[4:5], s[4:5], s17, v5, v[4:5]
	v_mov_b32_e32 v1, v4
	;; [unrolled: 9-line block ×15, first 2 shown]
	v_sub_co_u32_e32 v0, vcc, v0, v2
	v_lshlrev_b32_e32 v126, 2, v125
	v_mov_b32_e32 v36, 0
	v_subb_co_u32_e32 v1, vcc, v1, v3, vcc
	s_add_i32 s3, s30, -2
	v_add_u32_e32 v127, 0x2180, v32
	v_add_u32_e32 v128, 0x2380, v32
	v_cmp_gt_u32_e64 s[6:7], 64, v22
	v_or_b32_e32 v132, 1, v126
	v_or_b32_e32 v133, 2, v126
	;; [unrolled: 1-line block ×3, first 2 shown]
	v_add_u32_e32 v135, 0x2180, v6
	v_add_u32_e32 v137, 16, v126
	v_add_u32_e32 v138, 17, v126
	v_add_u32_e32 v139, 18, v126
	v_add_u32_e32 v140, 19, v126
	v_add_u32_e32 v141, 32, v126
	v_add_u32_e32 v142, 33, v126
	v_add_u32_e32 v143, 34, v126
	v_add_u32_e32 v144, 35, v126
	v_add_u32_e32 v145, 48, v126
	v_add_u32_e32 v146, 49, v126
	v_add_u32_e32 v147, 50, v126
	v_add_u32_e32 v148, 51, v126
	s_add_i32 s21, s22, 64
	v_mov_b32_e32 v33, v36
	s_lshl_b64 s[10:11], s[16:17], 9
	v_lshl_add_u64 v[68:69], v[16:17], 0, v[0:1]
	s_mov_b32 s12, 0
	v_add_u32_e32 v150, v131, v7
	s_branch .LBB0_123
.LBB0_122:                              ;   in Loop: Header=BB0_123 Depth=1
	s_or_b64 exec, exec, s[4:5]
	v_mul_f32_e32 v0, v71, v79
	v_fma_f32 v0, v70, v78, -v0
	v_mul_f32_e32 v2, v73, v81
	v_add_f32_e32 v0, v30, v0
	v_fma_f32 v2, v72, v80, -v2
	v_add_f32_e32 v0, v0, v2
	v_mul_f32_e32 v2, v75, v83
	v_fma_f32 v2, v74, v82, -v2
	v_mul_f32_e32 v1, v70, v79
	v_add_f32_e32 v0, v0, v2
	v_mul_f32_e32 v2, v77, v85
	v_mul_f32_e32 v3, v72, v81
	v_fma_f32 v2, v76, v84, -v2
	v_fmac_f32_e32 v1, v71, v78
	v_mul_f32_e32 v4, v74, v83
	v_add_f32_e32 v0, v0, v2
	v_add_f32_e32 v1, v31, v1
	v_fmac_f32_e32 v3, v73, v80
	v_mul_f32_e32 v2, v87, v95
	v_mul_f32_e32 v5, v76, v85
	v_add_f32_e32 v1, v1, v3
	v_fmac_f32_e32 v4, v75, v82
	v_fma_f32 v2, v86, v94, -v2
	v_add_f32_e32 v1, v1, v4
	v_fmac_f32_e32 v5, v77, v84
	v_mul_f32_e32 v6, v86, v95
	v_add_f32_e32 v0, v0, v2
	v_mul_f32_e32 v2, v89, v97
	v_add_f32_e32 v1, v1, v5
	v_fma_f32 v2, v88, v96, -v2
	v_mul_f32_e32 v7, v88, v97
	v_fmac_f32_e32 v6, v87, v94
	v_add_f32_e32 v0, v0, v2
	v_mul_f32_e32 v2, v91, v99
	v_mul_f32_e32 v3, v90, v99
	v_add_f32_e32 v1, v1, v6
	v_fmac_f32_e32 v7, v89, v96
	v_fma_f32 v2, v90, v98, -v2
	v_mul_f32_e32 v4, v93, v101
	v_mul_f32_e32 v5, v92, v101
	v_add_f32_e32 v1, v1, v7
	v_fmac_f32_e32 v3, v91, v98
	v_fma_f32 v4, v92, v100, -v4
	v_pk_add_f32 v[0:1], v[0:1], v[2:3]
	v_fmac_f32_e32 v5, v93, v100
	v_pk_mul_f32 v[2:3], v[102:103], v[112:113] op_sel:[1,0]
	v_pk_add_f32 v[0:1], v[0:1], v[4:5]
	v_pk_fma_f32 v[4:5], v[102:103], v[112:113], v[2:3] op_sel:[0,0,1] op_sel_hi:[1,1,0] neg_lo:[0,0,1] neg_hi:[0,0,1]
	v_pk_fma_f32 v[2:3], v[102:103], v[112:113], v[2:3] op_sel:[0,0,1] op_sel_hi:[0,1,0]
	v_mov_b32_e32 v5, v3
	v_pk_mul_f32 v[2:3], v[104:105], v[8:9] op_sel:[1,0]
	v_pk_add_f32 v[0:1], v[0:1], v[4:5]
	v_pk_fma_f32 v[4:5], v[104:105], v[8:9], v[2:3] op_sel:[0,0,1] op_sel_hi:[1,1,0] neg_lo:[0,0,1] neg_hi:[0,0,1]
	v_pk_fma_f32 v[2:3], v[104:105], v[8:9], v[2:3] op_sel:[0,0,1] op_sel_hi:[0,1,0]
	v_mov_b32_e32 v5, v3
	v_pk_mul_f32 v[2:3], v[106:107], v[10:11] op_sel:[1,0]
	v_pk_add_f32 v[0:1], v[0:1], v[4:5]
	v_pk_fma_f32 v[4:5], v[106:107], v[10:11], v[2:3] op_sel:[0,0,1] op_sel_hi:[1,1,0] neg_lo:[0,0,1] neg_hi:[0,0,1]
	v_pk_fma_f32 v[2:3], v[106:107], v[10:11], v[2:3] op_sel:[0,0,1] op_sel_hi:[0,1,0]
	v_mov_b32_e32 v5, v3
	v_pk_mul_f32 v[2:3], v[110:111], v[114:115] op_sel_hi:[0,1]
	v_pk_add_f32 v[0:1], v[0:1], v[4:5]
	v_pk_fma_f32 v[4:5], v[108:109], v[114:115], v[2:3] op_sel:[0,0,1] op_sel_hi:[1,1,0] neg_lo:[0,0,1] neg_hi:[0,0,1]
	v_pk_fma_f32 v[2:3], v[108:109], v[114:115], v[2:3] op_sel:[0,0,1] op_sel_hi:[0,1,0]
	v_mov_b32_e32 v5, v3
	v_pk_mul_f32 v[2:3], v[116:117], v[16:17] op_sel:[1,0]
	v_pk_add_f32 v[0:1], v[0:1], v[4:5]
	v_pk_fma_f32 v[4:5], v[116:117], v[16:17], v[2:3] op_sel:[0,0,1] op_sel_hi:[1,1,0] neg_lo:[0,0,1] neg_hi:[0,0,1]
	v_pk_fma_f32 v[2:3], v[116:117], v[16:17], v[2:3] op_sel:[0,0,1] op_sel_hi:[0,1,0]
	v_mov_b32_e32 v5, v3
	v_pk_mul_f32 v[2:3], v[118:119], v[18:19] op_sel:[1,0]
	;; [unrolled: 5-line block ×3, first 2 shown]
	v_pk_add_f32 v[0:1], v[0:1], v[6:7]
	v_pk_fma_f32 v[8:9], v[120:121], v[12:13], v[2:3] op_sel:[0,0,1] op_sel_hi:[1,1,0] neg_lo:[0,0,1] neg_hi:[0,0,1]
	v_pk_fma_f32 v[2:3], v[120:121], v[12:13], v[2:3] op_sel:[0,0,1] op_sel_hi:[0,1,0]
	v_mov_b32_e32 v9, v3
	v_pk_mul_f32 v[2:3], v[124:125], v[14:15] op_sel_hi:[0,1]
	v_pk_fma_f32 v[10:11], v[122:123], v[14:15], v[2:3] op_sel:[0,0,1] op_sel_hi:[1,1,0] neg_lo:[0,0,1] neg_hi:[0,0,1]
	v_pk_fma_f32 v[2:3], v[122:123], v[14:15], v[2:3] op_sel:[0,0,1] op_sel_hi:[0,1,0]
	v_mov_b32_e32 v11, v3
	v_pk_add_f32 v[0:1], v[0:1], v[8:9]
	s_add_i32 s4, s2, 1
	s_add_i32 s21, s21, 64
	;; [unrolled: 1-line block ×3, first 2 shown]
	v_pk_add_f32 v[30:31], v[0:1], v[10:11]
	v_lshl_add_u64 v[38:39], v[38:39], 0, s[10:11]
	v_lshl_add_u64 v[40:41], v[40:41], 0, s[10:11]
	;; [unrolled: 1-line block ×16, first 2 shown]
	s_cmp_ge_u32 s2, s30
	s_mov_b32 s2, s4
	s_barrier
	s_cbranch_scc1 .LBB0_178
.LBB0_123:                              ; =>This Inner Loop Header: Depth=1
	s_cmp_eq_u32 s3, s2
	s_cselect_b32 s26, s31, 0
	s_and_saveexec_b64 s[4:5], s[0:1]
	s_cbranch_execz .LBB0_128
; %bb.124:                              ;   in Loop: Header=BB0_123 Depth=1
	s_cmp_lg_u32 s26, 0
	s_cselect_b64 s[14:15], -1, 0
	v_cmp_le_i32_e32 vcc, s26, v111
	s_and_b64 s[14:15], s[14:15], vcc
	s_and_saveexec_b64 s[16:17], s[14:15]
	s_xor_b64 s[14:15], exec, s[16:17]
	s_cbranch_execz .LBB0_126
; %bb.125:                              ;   in Loop: Header=BB0_123 Depth=1
	v_mov_b32_e32 v37, v36
	ds_write_b64 v127, v[36:37]
.LBB0_126:                              ;   in Loop: Header=BB0_123 Depth=1
	s_andn2_saveexec_b64 s[14:15], s[14:15]
	s_cbranch_execz .LBB0_128
; %bb.127:                              ;   in Loop: Header=BB0_123 Depth=1
	s_ashr_i32 s13, s21, 31
	s_mul_i32 s14, s21, s25
	s_mul_hi_u32 s15, s21, s24
	s_add_i32 s14, s15, s14
	s_mul_i32 s13, s13, s24
	s_add_i32 s15, s14, s13
	s_mul_i32 s14, s21, s24
	v_lshl_add_u64 v[0:1], s[14:15], 3, v[34:35]
	global_load_dwordx2 v[0:1], v[0:1], off
	s_waitcnt vmcnt(0)
	ds_write_b64 v127, v[0:1]
.LBB0_128:                              ;   in Loop: Header=BB0_123 Depth=1
	s_or_b64 exec, exec, s[4:5]
	s_cmp_eq_u32 s26, 0
	s_cselect_b64 s[14:15], -1, 0
	s_cmp_lg_u32 s26, 0
	s_cselect_b64 s[16:17], -1, 0
	v_lshl_add_u64 v[0:1], v[38:39], 0, v[32:33]
	s_and_b64 vcc, exec, s[16:17]
	s_waitcnt lgkmcnt(0)
	s_barrier
	s_cbranch_vccz .LBB0_136
; %bb.129:                              ;   in Loop: Header=BB0_123 Depth=1
	s_mov_b32 s13, s12
	v_cmp_gt_i32_e32 vcc, s26, v126
	v_mov_b64_e32 v[70:71], s[12:13]
	s_and_saveexec_b64 s[4:5], vcc
	s_cbranch_execz .LBB0_131
; %bb.130:                              ;   in Loop: Header=BB0_123 Depth=1
	global_load_dwordx2 v[70:71], v[0:1], off
.LBB0_131:                              ;   in Loop: Header=BB0_123 Depth=1
	s_or_b64 exec, exec, s[4:5]
	v_cmp_gt_i32_e32 vcc, s26, v132
	v_mov_b64_e32 v[72:73], s[12:13]
	s_and_saveexec_b64 s[4:5], vcc
	s_cbranch_execz .LBB0_133
; %bb.132:                              ;   in Loop: Header=BB0_123 Depth=1
	v_lshl_add_u64 v[2:3], v[42:43], 0, v[32:33]
	global_load_dwordx2 v[72:73], v[2:3], off
.LBB0_133:                              ;   in Loop: Header=BB0_123 Depth=1
	s_or_b64 exec, exec, s[4:5]
	s_mov_b32 s13, s12
	v_cmp_gt_i32_e32 vcc, s26, v133
	v_mov_b64_e32 v[74:75], s[12:13]
	s_and_saveexec_b64 s[4:5], vcc
	s_cbranch_execz .LBB0_135
; %bb.134:                              ;   in Loop: Header=BB0_123 Depth=1
	v_lshl_add_u64 v[2:3], v[40:41], 0, v[32:33]
	global_load_dwordx2 v[74:75], v[2:3], off
.LBB0_135:                              ;   in Loop: Header=BB0_123 Depth=1
	s_or_b64 exec, exec, s[4:5]
	v_cmp_gt_i32_e64 s[4:5], s26, v134
	s_mov_b32 s13, 0
	s_branch .LBB0_138
.LBB0_136:                              ;   in Loop: Header=BB0_123 Depth=1
	s_mov_b64 s[4:5], 0
                                        ; implicit-def: $sgpr13
                                        ; implicit-def: $vgpr74_vgpr75
                                        ; implicit-def: $vgpr72_vgpr73
                                        ; implicit-def: $vgpr70_vgpr71
	s_cbranch_execz .LBB0_138
; %bb.137:                              ;   in Loop: Header=BB0_123 Depth=1
	global_load_dwordx2 v[70:71], v[0:1], off
	v_lshl_add_u64 v[0:1], v[42:43], 0, v[32:33]
	global_load_dwordx2 v[72:73], v[0:1], off
	v_lshl_add_u64 v[0:1], v[40:41], 0, v[32:33]
	global_load_dwordx2 v[74:75], v[0:1], off
	s_or_b64 s[4:5], s[4:5], exec
                                        ; implicit-def: $sgpr13
.LBB0_138:                              ;   in Loop: Header=BB0_123 Depth=1
	v_mov_b32_e32 v76, s13
	v_mov_b32_e32 v77, s13
	s_and_saveexec_b64 s[22:23], s[4:5]
	s_cbranch_execz .LBB0_140
; %bb.139:                              ;   in Loop: Header=BB0_123 Depth=1
	v_lshl_add_u64 v[0:1], v[44:45], 0, v[32:33]
	global_load_dwordx2 v[76:77], v[0:1], off
.LBB0_140:                              ;   in Loop: Header=BB0_123 Depth=1
	s_or_b64 exec, exec, s[22:23]
	ds_read_b64 v[0:1], v128
	ds_read_b64 v[78:79], v135
	v_cndmask_b32_e64 v8, 0, 1, s[16:17]
	v_cmp_ne_u32_e64 s[4:5], 1, v8
	s_andn2_b64 vcc, exec, s[16:17]
	s_waitcnt vmcnt(0) lgkmcnt(1)
	v_mul_f32_e32 v2, v71, v1
	v_mul_f32_e32 v3, v71, v0
	v_fmac_f32_e32 v2, v70, v0
	v_fma_f32 v3, v70, v1, -v3
	v_mul_f32_e32 v4, v73, v1
	ds_write_b64 v136, v[2:3]
	v_mul_f32_e32 v2, v73, v0
	v_fmac_f32_e32 v4, v72, v0
	v_fma_f32 v5, v72, v1, -v2
	v_mul_f32_e32 v2, v75, v1
	v_mul_f32_e32 v3, v75, v0
	ds_read_b64 v[80:81], v135 offset:8
	ds_write_b64 v136, v[4:5] offset:536
	v_fmac_f32_e32 v2, v74, v0
	v_fma_f32 v3, v74, v1, -v3
	ds_read_b64 v[82:83], v135 offset:16
	ds_write_b64 v136, v[2:3] offset:1072
	v_mul_f32_e32 v2, v77, v1
	v_fmac_f32_e32 v2, v76, v0
	v_mul_f32_e32 v0, v77, v0
	v_fma_f32 v3, v76, v1, -v0
	ds_read_b64 v[84:85], v135 offset:24
	ds_write_b64 v136, v[2:3] offset:1608
	s_waitcnt lgkmcnt(0)
	s_barrier
	ds_read2_b64 v[4:7], v131 offset1:1
	ds_read2_b64 v[0:3], v131 offset0:2 offset1:3
	v_lshl_add_u64 v[8:9], v[46:47], 0, v[32:33]
	s_waitcnt lgkmcnt(0)
	s_barrier
	s_cbranch_vccnz .LBB0_148
; %bb.141:                              ;   in Loop: Header=BB0_123 Depth=1
	s_mov_b32 s13, s12
	v_cmp_gt_i32_e32 vcc, s26, v137
	v_mov_b64_e32 v[86:87], s[12:13]
	s_and_saveexec_b64 s[16:17], vcc
	s_cbranch_execz .LBB0_143
; %bb.142:                              ;   in Loop: Header=BB0_123 Depth=1
	global_load_dwordx2 v[86:87], v[8:9], off
.LBB0_143:                              ;   in Loop: Header=BB0_123 Depth=1
	s_or_b64 exec, exec, s[16:17]
	v_cmp_gt_i32_e32 vcc, s26, v138
	v_mov_b64_e32 v[88:89], s[12:13]
	s_and_saveexec_b64 s[16:17], vcc
	s_cbranch_execz .LBB0_145
; %bb.144:                              ;   in Loop: Header=BB0_123 Depth=1
	v_lshl_add_u64 v[10:11], v[48:49], 0, v[32:33]
	global_load_dwordx2 v[88:89], v[10:11], off
.LBB0_145:                              ;   in Loop: Header=BB0_123 Depth=1
	s_or_b64 exec, exec, s[16:17]
	s_mov_b32 s13, s12
	v_cmp_gt_i32_e32 vcc, s26, v139
	v_mov_b64_e32 v[90:91], s[12:13]
	s_and_saveexec_b64 s[16:17], vcc
	s_cbranch_execz .LBB0_147
; %bb.146:                              ;   in Loop: Header=BB0_123 Depth=1
	v_lshl_add_u64 v[10:11], v[50:51], 0, v[32:33]
	global_load_dwordx2 v[90:91], v[10:11], off
.LBB0_147:                              ;   in Loop: Header=BB0_123 Depth=1
	s_or_b64 exec, exec, s[16:17]
	v_cmp_gt_i32_e64 s[16:17], s26, v140
	s_mov_b32 s13, 0
	s_branch .LBB0_150
.LBB0_148:                              ;   in Loop: Header=BB0_123 Depth=1
	s_mov_b64 s[16:17], 0
                                        ; implicit-def: $sgpr13
                                        ; implicit-def: $vgpr90_vgpr91
                                        ; implicit-def: $vgpr88_vgpr89
                                        ; implicit-def: $vgpr86_vgpr87
	s_cbranch_execz .LBB0_150
; %bb.149:                              ;   in Loop: Header=BB0_123 Depth=1
	global_load_dwordx2 v[86:87], v[8:9], off
	v_lshl_add_u64 v[8:9], v[48:49], 0, v[32:33]
	global_load_dwordx2 v[88:89], v[8:9], off
	v_lshl_add_u64 v[8:9], v[50:51], 0, v[32:33]
	global_load_dwordx2 v[90:91], v[8:9], off
	s_or_b64 s[16:17], s[16:17], exec
                                        ; implicit-def: $sgpr13
.LBB0_150:                              ;   in Loop: Header=BB0_123 Depth=1
	v_mov_b32_e32 v92, s13
	v_mov_b32_e32 v93, s13
	s_and_saveexec_b64 s[22:23], s[16:17]
	s_cbranch_execz .LBB0_152
; %bb.151:                              ;   in Loop: Header=BB0_123 Depth=1
	v_lshl_add_u64 v[8:9], v[52:53], 0, v[32:33]
	global_load_dwordx2 v[92:93], v[8:9], off
.LBB0_152:                              ;   in Loop: Header=BB0_123 Depth=1
	s_or_b64 exec, exec, s[22:23]
	ds_read_b64 v[8:9], v128
	ds_read_b64 v[94:95], v135 offset:128
	s_and_b64 vcc, exec, s[4:5]
	s_waitcnt vmcnt(0) lgkmcnt(1)
	v_mul_f32_e32 v10, v87, v9
	v_mul_f32_e32 v11, v87, v8
	v_fmac_f32_e32 v10, v86, v8
	v_fma_f32 v11, v86, v9, -v11
	v_mul_f32_e32 v12, v89, v9
	ds_write_b64 v136, v[10:11]
	v_mul_f32_e32 v10, v89, v8
	v_fmac_f32_e32 v12, v88, v8
	v_fma_f32 v13, v88, v9, -v10
	v_mul_f32_e32 v10, v91, v9
	v_mul_f32_e32 v11, v91, v8
	ds_read_b64 v[96:97], v135 offset:136
	ds_write_b64 v136, v[12:13] offset:536
	v_fmac_f32_e32 v10, v90, v8
	v_fma_f32 v11, v90, v9, -v11
	ds_read_b64 v[98:99], v135 offset:144
	ds_write_b64 v136, v[10:11] offset:1072
	v_mul_f32_e32 v10, v93, v9
	v_fmac_f32_e32 v10, v92, v8
	v_mul_f32_e32 v8, v93, v8
	v_fma_f32 v11, v92, v9, -v8
	ds_read_b64 v[100:101], v135 offset:152
	ds_write_b64 v136, v[10:11] offset:1608
	s_waitcnt lgkmcnt(0)
	s_barrier
	ds_read2_b64 v[16:19], v131 offset1:1
	ds_read2_b64 v[12:15], v131 offset0:2 offset1:3
	v_lshl_add_u64 v[8:9], v[54:55], 0, v[32:33]
	s_waitcnt lgkmcnt(0)
	s_barrier
	s_cbranch_vccnz .LBB0_160
; %bb.153:                              ;   in Loop: Header=BB0_123 Depth=1
	s_mov_b32 s13, s12
	v_cmp_gt_i32_e32 vcc, s26, v141
	v_mov_b64_e32 v[102:103], s[12:13]
	s_and_saveexec_b64 s[16:17], vcc
	s_cbranch_execz .LBB0_155
; %bb.154:                              ;   in Loop: Header=BB0_123 Depth=1
	global_load_dwordx2 v[102:103], v[8:9], off
.LBB0_155:                              ;   in Loop: Header=BB0_123 Depth=1
	s_or_b64 exec, exec, s[16:17]
	v_cmp_gt_i32_e32 vcc, s26, v142
	v_mov_b64_e32 v[104:105], s[12:13]
	s_and_saveexec_b64 s[16:17], vcc
	s_cbranch_execz .LBB0_157
; %bb.156:                              ;   in Loop: Header=BB0_123 Depth=1
	v_lshl_add_u64 v[10:11], v[56:57], 0, v[32:33]
	global_load_dwordx2 v[104:105], v[10:11], off
.LBB0_157:                              ;   in Loop: Header=BB0_123 Depth=1
	s_or_b64 exec, exec, s[16:17]
	s_mov_b32 s13, s12
	v_cmp_gt_i32_e32 vcc, s26, v143
	v_mov_b64_e32 v[106:107], s[12:13]
	s_and_saveexec_b64 s[16:17], vcc
	s_cbranch_execz .LBB0_159
; %bb.158:                              ;   in Loop: Header=BB0_123 Depth=1
	v_lshl_add_u64 v[10:11], v[58:59], 0, v[32:33]
	global_load_dwordx2 v[106:107], v[10:11], off
.LBB0_159:                              ;   in Loop: Header=BB0_123 Depth=1
	s_or_b64 exec, exec, s[16:17]
	v_cmp_gt_i32_e64 s[16:17], s26, v144
	s_mov_b32 s13, 0
	s_branch .LBB0_162
.LBB0_160:                              ;   in Loop: Header=BB0_123 Depth=1
	s_mov_b64 s[16:17], 0
                                        ; implicit-def: $sgpr13
                                        ; implicit-def: $vgpr106_vgpr107
                                        ; implicit-def: $vgpr104_vgpr105
                                        ; implicit-def: $vgpr102_vgpr103
	s_cbranch_execz .LBB0_162
; %bb.161:                              ;   in Loop: Header=BB0_123 Depth=1
	global_load_dwordx2 v[102:103], v[8:9], off
	v_lshl_add_u64 v[8:9], v[56:57], 0, v[32:33]
	global_load_dwordx2 v[104:105], v[8:9], off
	v_lshl_add_u64 v[8:9], v[58:59], 0, v[32:33]
	global_load_dwordx2 v[106:107], v[8:9], off
	s_or_b64 s[16:17], s[16:17], exec
                                        ; implicit-def: $sgpr13
.LBB0_162:                              ;   in Loop: Header=BB0_123 Depth=1
	v_mov_b32_e32 v108, s13
	v_mov_b32_e32 v110, s13
	s_and_saveexec_b64 s[22:23], s[16:17]
	s_cbranch_execz .LBB0_164
; %bb.163:                              ;   in Loop: Header=BB0_123 Depth=1
	v_lshl_add_u64 v[8:9], v[60:61], 0, v[32:33]
	global_load_dwordx2 v[108:109], v[8:9], off
	s_waitcnt vmcnt(0)
	v_mov_b32_e32 v110, v109
.LBB0_164:                              ;   in Loop: Header=BB0_123 Depth=1
	s_or_b64 exec, exec, s[22:23]
	ds_read_b64 v[8:9], v128
	ds_read_b64 v[112:113], v135 offset:256
	s_and_b64 vcc, exec, s[4:5]
	v_lshl_add_u64 v[122:123], v[62:63], 0, v[32:33]
	s_waitcnt vmcnt(0) lgkmcnt(1)
	v_mul_f32_e32 v10, v103, v9
	v_mul_f32_e32 v11, v103, v8
	;; [unrolled: 1-line block ×4, first 2 shown]
	v_fmac_f32_e32 v10, v102, v8
	v_fma_f32 v11, v102, v9, -v11
	v_fmac_f32_e32 v20, v104, v8
	v_fma_f32 v21, v104, v9, -v21
	ds_write2_b64 v136, v[10:11], v[20:21] offset1:67
	v_mul_f32_e32 v10, v107, v9
	v_mul_f32_e32 v20, v110, v9
	v_fmac_f32_e32 v10, v106, v8
	v_mul_f32_e32 v11, v107, v8
	v_fmac_f32_e32 v20, v108, v8
	v_mul_f32_e32 v8, v110, v8
	v_fma_f32 v11, v106, v9, -v11
	v_fma_f32 v21, v108, v9, -v8
	ds_write2_b64 v136, v[10:11], v[20:21] offset0:134 offset1:201
	ds_read2_b64 v[8:11], v135 offset0:33 offset1:34
	ds_read_b64 v[114:115], v135 offset:280
	s_waitcnt lgkmcnt(0)
	s_barrier
	ds_read2_b64 v[24:27], v131 offset1:1
	ds_read2_b64 v[20:23], v131 offset0:2 offset1:3
	s_waitcnt lgkmcnt(0)
	s_barrier
	s_cbranch_vccnz .LBB0_172
; %bb.165:                              ;   in Loop: Header=BB0_123 Depth=1
	s_mov_b32 s13, s12
	v_cmp_gt_i32_e32 vcc, s26, v145
	v_mov_b64_e32 v[116:117], s[12:13]
	s_and_saveexec_b64 s[4:5], vcc
	s_cbranch_execz .LBB0_167
; %bb.166:                              ;   in Loop: Header=BB0_123 Depth=1
	global_load_dwordx2 v[116:117], v[122:123], off
.LBB0_167:                              ;   in Loop: Header=BB0_123 Depth=1
	s_or_b64 exec, exec, s[4:5]
	v_cmp_gt_i32_e32 vcc, s26, v146
	v_mov_b64_e32 v[118:119], s[12:13]
	s_and_saveexec_b64 s[4:5], vcc
	s_cbranch_execz .LBB0_169
; %bb.168:                              ;   in Loop: Header=BB0_123 Depth=1
	v_lshl_add_u64 v[118:119], v[64:65], 0, v[32:33]
	global_load_dwordx2 v[118:119], v[118:119], off
.LBB0_169:                              ;   in Loop: Header=BB0_123 Depth=1
	s_or_b64 exec, exec, s[4:5]
	s_mov_b32 s13, s12
	v_cmp_gt_i32_e32 vcc, s26, v147
	v_mov_b64_e32 v[120:121], s[12:13]
	s_and_saveexec_b64 s[4:5], vcc
	s_cbranch_execz .LBB0_171
; %bb.170:                              ;   in Loop: Header=BB0_123 Depth=1
	v_lshl_add_u64 v[120:121], v[66:67], 0, v[32:33]
	global_load_dwordx2 v[120:121], v[120:121], off
.LBB0_171:                              ;   in Loop: Header=BB0_123 Depth=1
	s_or_b64 exec, exec, s[4:5]
	v_cmp_gt_i32_e64 s[4:5], s26, v148
	s_mov_b32 s13, 0
	s_branch .LBB0_174
.LBB0_172:                              ;   in Loop: Header=BB0_123 Depth=1
	s_mov_b64 s[4:5], 0
                                        ; implicit-def: $sgpr13
                                        ; implicit-def: $vgpr120_vgpr121
                                        ; implicit-def: $vgpr118_vgpr119
                                        ; implicit-def: $vgpr116_vgpr117
	s_cbranch_execz .LBB0_174
; %bb.173:                              ;   in Loop: Header=BB0_123 Depth=1
	s_waitcnt vmcnt(0)
	v_lshl_add_u64 v[118:119], v[64:65], 0, v[32:33]
	v_lshl_add_u64 v[120:121], v[66:67], 0, v[32:33]
	global_load_dwordx2 v[116:117], v[122:123], off
	s_or_b64 s[4:5], s[4:5], exec
	global_load_dwordx2 v[118:119], v[118:119], off
                                        ; implicit-def: $sgpr13
	s_nop 0
	global_load_dwordx2 v[120:121], v[120:121], off
.LBB0_174:                              ;   in Loop: Header=BB0_123 Depth=1
	v_mov_b32_e32 v122, s13
	v_mov_b32_e32 v124, s13
	s_and_saveexec_b64 s[16:17], s[4:5]
	s_cbranch_execz .LBB0_176
; %bb.175:                              ;   in Loop: Header=BB0_123 Depth=1
	v_lshl_add_u64 v[122:123], v[68:69], 0, v[32:33]
	global_load_dwordx2 v[122:123], v[122:123], off
	s_waitcnt vmcnt(0)
	v_mov_b32_e32 v124, v123
.LBB0_176:                              ;   in Loop: Header=BB0_123 Depth=1
	s_or_b64 exec, exec, s[16:17]
	v_pk_add_f32 v[24:25], v[24:25], 0 op_sel_hi:[1,0]
	v_pk_add_f32 v[16:17], v[16:17], 0 op_sel_hi:[1,0]
	v_pk_add_f32 v[24:25], v[24:25], v[26:27]
	v_pk_add_f32 v[16:17], v[16:17], v[18:19]
	v_pk_add_f32 v[20:21], v[24:25], v[20:21]
	v_pk_add_f32 v[12:13], v[16:17], v[12:13]
	v_pk_add_f32 v[24:25], v[20:21], v[22:23]
	ds_read_b64 v[20:21], v128
	v_pk_add_f32 v[26:27], v[12:13], v[14:15]
	v_pk_add_f32 v[4:5], v[4:5], 0 op_sel_hi:[1,0]
	v_cmp_gt_i32_e32 vcc, s26, v111
	v_pk_add_f32 v[152:153], v[4:5], v[6:7]
	s_waitcnt vmcnt(0) lgkmcnt(0)
	v_mul_f32_e32 v12, v117, v21
	v_mul_f32_e32 v13, v117, v20
	;; [unrolled: 1-line block ×4, first 2 shown]
	v_fmac_f32_e32 v12, v116, v20
	v_fma_f32 v13, v116, v21, -v13
	v_fmac_f32_e32 v14, v118, v20
	v_fma_f32 v15, v118, v21, -v15
	ds_write2_b64 v136, v[12:13], v[14:15] offset1:67
	v_mul_f32_e32 v12, v121, v21
	v_mul_f32_e32 v13, v121, v20
	;; [unrolled: 1-line block ×4, first 2 shown]
	v_fmac_f32_e32 v12, v120, v20
	v_fma_f32 v13, v120, v21, -v13
	v_fmac_f32_e32 v14, v122, v20
	v_fma_f32 v15, v122, v21, -v15
	ds_write2_b64 v136, v[12:13], v[14:15] offset0:134 offset1:201
	ds_read_b128 v[16:19], v135 offset:384
	ds_read_b128 v[12:15], v135 offset:400
	s_waitcnt lgkmcnt(0)
	s_barrier
	ds_read2_b64 v[20:23], v131 offset1:1
	ds_read2_b64 v[4:7], v131 offset0:2 offset1:3
	v_pk_add_f32 v[0:1], v[152:153], v[0:1]
	s_or_b64 s[4:5], s[14:15], vcc
	v_pk_add_f32 v[0:1], v[0:1], v[2:3]
	s_waitcnt lgkmcnt(1)
	v_pk_add_f32 v[2:3], v[20:21], 0 op_sel_hi:[1,0]
	s_and_b64 s[14:15], s[6:7], s[4:5]
	v_pk_add_f32 v[2:3], v[2:3], v[22:23]
	s_waitcnt lgkmcnt(0)
	v_pk_add_f32 v[2:3], v[2:3], v[4:5]
	s_barrier
	v_pk_add_f32 v[2:3], v[2:3], v[6:7]
	ds_write2_b64 v150, v[0:1], v[26:27] offset1:16
	ds_write2_b64 v150, v[24:25], v[2:3] offset0:32 offset1:48
	s_waitcnt lgkmcnt(0)
	s_barrier
	s_and_saveexec_b64 s[4:5], s[14:15]
	s_cbranch_execz .LBB0_122
; %bb.177:                              ;   in Loop: Header=BB0_123 Depth=1
	ds_read_b64 v[20:21], v129
	ds_read2_b64 v[0:3], v129 offset0:1 offset1:2
	ds_read2_b64 v[4:7], v129 offset0:3 offset1:4
	v_add_u32_e32 v22, s21, v149
	v_ashrrev_i32_e32 v23, 31, v22
	v_lshl_add_u64 v[24:25], v[22:23], 3, s[8:9]
	s_waitcnt lgkmcnt(1)
	v_add_f32_e32 v0, v0, v20
	v_add_f32_e32 v1, v1, v21
	;; [unrolled: 1-line block ×4, first 2 shown]
	ds_read2_b64 v[0:3], v129 offset0:5 offset1:6
	s_waitcnt lgkmcnt(1)
	v_add_f32_e32 v4, v20, v4
	v_add_f32_e32 v5, v21, v5
	;; [unrolled: 1-line block ×4, first 2 shown]
	ds_read2_b64 v[4:7], v129 offset0:7 offset1:8
	s_waitcnt lgkmcnt(1)
	v_pk_add_f32 v[0:1], v[20:21], v[0:1]
	ds_read2_b64 v[20:23], v129 offset0:9 offset1:10
	v_pk_add_f32 v[0:1], v[0:1], v[2:3]
	s_waitcnt lgkmcnt(1)
	v_pk_add_f32 v[0:1], v[0:1], v[4:5]
	s_nop 0
	v_pk_add_f32 v[4:5], v[0:1], v[6:7]
	ds_read2_b64 v[0:3], v129 offset0:11 offset1:12
	s_waitcnt lgkmcnt(1)
	v_pk_add_f32 v[20:21], v[4:5], v[20:21]
	ds_read2_b64 v[4:7], v129 offset0:13 offset1:14
	v_pk_add_f32 v[20:21], v[20:21], v[22:23]
	ds_read_b64 v[22:23], v130
	s_waitcnt lgkmcnt(2)
	v_pk_add_f32 v[0:1], v[20:21], v[0:1]
	s_nop 0
	v_pk_add_f32 v[0:1], v[0:1], v[2:3]
	s_waitcnt lgkmcnt(1)
	v_pk_add_f32 v[0:1], v[0:1], v[4:5]
	s_nop 0
	v_pk_add_f32 v[0:1], v[0:1], v[6:7]
	s_waitcnt lgkmcnt(0)
	v_pk_add_f32 v[0:1], v[0:1], v[22:23]
	global_store_dwordx2 v[24:25], v[0:1], off
	s_branch .LBB0_122
.LBB0_178:
	s_movk_i32 s2, 0x218
	v_cmp_gt_i32_e32 vcc, s20, v111
	v_mad_u32_u24 v0, v125, s2, v32
	s_or_b64 s[2:3], s[18:19], vcc
	s_and_b64 s[0:1], s[0:1], s[2:3]
	ds_write_b64 v0, v[30:31]
	s_waitcnt lgkmcnt(0)
	s_barrier
	s_and_saveexec_b64 s[2:3], s[0:1]
	s_cbranch_execz .LBB0_180
; %bb.179:
	ds_read2_b64 v[0:3], v32 offset1:67
	ds_read2_b64 v[4:7], v32 offset0:134 offset1:201
	v_lshl_add_u64 v[8:9], v[28:29], 3, s[8:9]
	s_waitcnt lgkmcnt(1)
	v_pk_add_f32 v[0:1], v[2:3], v[0:1]
	s_waitcnt lgkmcnt(0)
	v_pk_add_f32 v[0:1], v[0:1], v[4:5]
	s_nop 0
	v_pk_add_f32 v[0:1], v[0:1], v[6:7]
	global_store_dwordx2 v[8:9], v[0:1], off
.LBB0_180:
	s_endpgm
	.section	.rodata,"a",@progbits
	.p2align	6, 0x0
	.amdhsa_kernel _ZL26rocblas_hemvn_kernel_upperILb1ELi64ELi4ELi33ELi32ELi16ElPK19rocblas_complex_numIfES3_PS1_EviT6_lT7_lT5_lS6_lS7_lS5_lT8_i
		.amdhsa_group_segment_fixed_size 9600
		.amdhsa_private_segment_fixed_size 0
		.amdhsa_kernarg_size 376
		.amdhsa_user_sgpr_count 2
		.amdhsa_user_sgpr_dispatch_ptr 0
		.amdhsa_user_sgpr_queue_ptr 0
		.amdhsa_user_sgpr_kernarg_segment_ptr 1
		.amdhsa_user_sgpr_dispatch_id 0
		.amdhsa_user_sgpr_kernarg_preload_length 0
		.amdhsa_user_sgpr_kernarg_preload_offset 0
		.amdhsa_user_sgpr_private_segment_size 0
		.amdhsa_uses_dynamic_stack 0
		.amdhsa_enable_private_segment 0
		.amdhsa_system_sgpr_workgroup_id_x 1
		.amdhsa_system_sgpr_workgroup_id_y 0
		.amdhsa_system_sgpr_workgroup_id_z 1
		.amdhsa_system_sgpr_workgroup_info 0
		.amdhsa_system_vgpr_workitem_id 1
		.amdhsa_next_free_vgpr 154
		.amdhsa_next_free_sgpr 39
		.amdhsa_accum_offset 156
		.amdhsa_reserve_vcc 1
		.amdhsa_float_round_mode_32 0
		.amdhsa_float_round_mode_16_64 0
		.amdhsa_float_denorm_mode_32 3
		.amdhsa_float_denorm_mode_16_64 3
		.amdhsa_dx10_clamp 1
		.amdhsa_ieee_mode 1
		.amdhsa_fp16_overflow 0
		.amdhsa_tg_split 0
		.amdhsa_exception_fp_ieee_invalid_op 0
		.amdhsa_exception_fp_denorm_src 0
		.amdhsa_exception_fp_ieee_div_zero 0
		.amdhsa_exception_fp_ieee_overflow 0
		.amdhsa_exception_fp_ieee_underflow 0
		.amdhsa_exception_fp_ieee_inexact 0
		.amdhsa_exception_int_div_zero 0
	.end_amdhsa_kernel
	.section	.text._ZL26rocblas_hemvn_kernel_upperILb1ELi64ELi4ELi33ELi32ELi16ElPK19rocblas_complex_numIfES3_PS1_EviT6_lT7_lT5_lS6_lS7_lS5_lT8_i,"axG",@progbits,_ZL26rocblas_hemvn_kernel_upperILb1ELi64ELi4ELi33ELi32ELi16ElPK19rocblas_complex_numIfES3_PS1_EviT6_lT7_lT5_lS6_lS7_lS5_lT8_i,comdat
.Lfunc_end0:
	.size	_ZL26rocblas_hemvn_kernel_upperILb1ELi64ELi4ELi33ELi32ELi16ElPK19rocblas_complex_numIfES3_PS1_EviT6_lT7_lT5_lS6_lS7_lS5_lT8_i, .Lfunc_end0-_ZL26rocblas_hemvn_kernel_upperILb1ELi64ELi4ELi33ELi32ELi16ElPK19rocblas_complex_numIfES3_PS1_EviT6_lT7_lT5_lS6_lS7_lS5_lT8_i
                                        ; -- End function
	.section	.AMDGPU.csdata,"",@progbits
; Kernel info:
; codeLenInByte = 9180
; NumSgprs: 45
; NumVgprs: 154
; NumAgprs: 0
; TotalNumVgprs: 154
; ScratchSize: 0
; MemoryBound: 1
; FloatMode: 240
; IeeeMode: 1
; LDSByteSize: 9600 bytes/workgroup (compile time only)
; SGPRBlocks: 5
; VGPRBlocks: 19
; NumSGPRsForWavesPerEU: 45
; NumVGPRsForWavesPerEU: 154
; AccumOffset: 156
; Occupancy: 3
; WaveLimiterHint : 0
; COMPUTE_PGM_RSRC2:SCRATCH_EN: 0
; COMPUTE_PGM_RSRC2:USER_SGPR: 2
; COMPUTE_PGM_RSRC2:TRAP_HANDLER: 0
; COMPUTE_PGM_RSRC2:TGID_X_EN: 1
; COMPUTE_PGM_RSRC2:TGID_Y_EN: 0
; COMPUTE_PGM_RSRC2:TGID_Z_EN: 1
; COMPUTE_PGM_RSRC2:TIDIG_COMP_CNT: 1
; COMPUTE_PGM_RSRC3_GFX90A:ACCUM_OFFSET: 38
; COMPUTE_PGM_RSRC3_GFX90A:TG_SPLIT: 0
	.section	.text._ZL36rocblas_hemvn_kernel_upper_block_sumILi64ElPK19rocblas_complex_numIfEPS1_S1_EviT1_lS5_lT2_lT0_lPT3_i,"axG",@progbits,_ZL36rocblas_hemvn_kernel_upper_block_sumILi64ElPK19rocblas_complex_numIfEPS1_S1_EviT1_lS5_lT2_lT0_lPT3_i,comdat
	.globl	_ZL36rocblas_hemvn_kernel_upper_block_sumILi64ElPK19rocblas_complex_numIfEPS1_S1_EviT1_lS5_lT2_lT0_lPT3_i ; -- Begin function _ZL36rocblas_hemvn_kernel_upper_block_sumILi64ElPK19rocblas_complex_numIfEPS1_S1_EviT1_lS5_lT2_lT0_lPT3_i
	.p2align	8
	.type	_ZL36rocblas_hemvn_kernel_upper_block_sumILi64ElPK19rocblas_complex_numIfEPS1_S1_EviT1_lS5_lT2_lT0_lPT3_i,@function
_ZL36rocblas_hemvn_kernel_upper_block_sumILi64ElPK19rocblas_complex_numIfEPS1_S1_EviT1_lS5_lT2_lT0_lPT3_i: ; @_ZL36rocblas_hemvn_kernel_upper_block_sumILi64ElPK19rocblas_complex_numIfEPS1_S1_EviT1_lS5_lT2_lT0_lPT3_i
; %bb.0:
	s_load_dwordx8 s[4:11], s[0:1], 0x8
	s_waitcnt lgkmcnt(0)
	s_mul_i32 s7, s3, s7
	s_mul_hi_u32 s12, s3, s6
	s_add_i32 s7, s12, s7
	s_mul_i32 s6, s3, s6
	s_lshl_b64 s[6:7], s[6:7], 3
	s_add_u32 s4, s4, s6
	s_addc_u32 s5, s5, s7
	s_mul_i32 s6, s3, s11
	s_mul_hi_u32 s7, s3, s10
	s_add_i32 s7, s7, s6
	s_mul_i32 s6, s3, s10
	s_load_dwordx2 s[12:13], s[4:5], 0x0
	s_lshl_b64 s[4:5], s[6:7], 3
	s_add_u32 s4, s8, s4
	s_addc_u32 s5, s9, s5
	s_load_dwordx2 s[14:15], s[4:5], 0x0
	s_waitcnt lgkmcnt(0)
	s_or_b32 s4, s12, s13
	s_bitset0_b32 s4, 31
	s_cmp_eq_u32 s4, 0
	s_cselect_b64 s[18:19], -1, 0
	v_cmp_eq_f32_e64 s[4:5], s14, 1.0
	v_cmp_eq_f32_e64 s[6:7], s15, 0
	s_and_b64 s[4:5], s[4:5], s[6:7]
	s_and_b64 s[4:5], s[18:19], s[4:5]
	s_and_b64 vcc, exec, s[4:5]
	s_cbranch_vccnz .LBB1_17
; %bb.1:
	s_load_dwordx8 s[4:11], s[0:1], 0x30
	s_load_dwordx2 s[20:21], s[0:1], 0x28
	s_load_dword s16, s[0:1], 0x0
	v_lshl_or_b32 v0, s2, 6, v0
	s_waitcnt lgkmcnt(0)
	s_mul_i32 s9, s3, s9
	s_mul_hi_u32 s17, s3, s8
	s_mul_i32 s8, s3, s8
	s_add_i32 s9, s17, s9
	s_lshl_b64 s[8:9], s[8:9], 3
	s_add_u32 s8, s20, s8
	s_addc_u32 s9, s21, s9
	s_lshl_b64 s[4:5], s[4:5], 3
	s_add_u32 s8, s8, s4
	s_addc_u32 s9, s9, s5
	s_mov_b64 s[20:21], -1
	s_andn2_b64 vcc, exec, s[18:19]
	v_cmp_gt_i32_e64 s[4:5], s16, v0
	s_cbranch_vccnz .LBB1_7
; %bb.2:
	s_and_saveexec_b64 s[18:19], s[4:5]
	s_cbranch_execz .LBB1_6
; %bb.3:
	v_ashrrev_i32_e32 v1, 31, v0
	v_cmp_neq_f32_e64 s[4:5], s14, 0
	v_cmp_neq_f32_e64 s[20:21], s15, 0
	v_mul_lo_u32 v4, v0, s7
	v_mul_lo_u32 v1, v1, s6
	v_mad_u64_u32 v[2:3], s[22:23], v0, s6, 0
	v_add3_u32 v3, v3, v4, v1
	s_or_b64 s[4:5], s[4:5], s[20:21]
	s_andn2_b64 vcc, exec, s[4:5]
	v_mov_b32_e32 v4, 0
	v_lshl_add_u64 v[2:3], v[2:3], 3, s[8:9]
	v_mov_b32_e32 v5, 0
	s_cbranch_vccnz .LBB1_5
; %bb.4:
	global_load_dwordx2 v[6:7], v[2:3], off
	s_waitcnt vmcnt(0)
	v_pk_mul_f32 v[8:9], v[6:7], s[14:15] op_sel:[1,0]
	s_nop 0
	v_pk_fma_f32 v[4:5], v[6:7], s[14:15], v[8:9] op_sel:[0,0,1] op_sel_hi:[1,1,0] neg_lo:[0,0,1] neg_hi:[0,0,1]
	v_pk_fma_f32 v[6:7], v[6:7], s[14:15], v[8:9] op_sel:[0,0,1] op_sel_hi:[0,1,0]
	v_mov_b32_e32 v5, v7
.LBB1_5:
	global_store_dwordx2 v[2:3], v[4:5], off
.LBB1_6:
	s_or_b64 exec, exec, s[18:19]
	s_mov_b64 s[20:21], 0
.LBB1_7:
	s_andn2_b64 vcc, exec, s[20:21]
	s_cbranch_vccnz .LBB1_17
; %bb.8:
	v_cmp_gt_i32_e32 vcc, s16, v0
	s_and_saveexec_b64 s[4:5], vcc
	s_cbranch_execz .LBB1_17
; %bb.9:
	v_mov_b32_e32 v3, 0
	v_ashrrev_i32_e32 v1, 31, v0
	s_cmp_lt_i32 s2, 0
	v_mov_b32_e32 v2, v3
	s_cbranch_scc1 .LBB1_12
; %bb.10:
	s_load_dword s0, s[0:1], 0x58
	s_ashr_i32 s17, s16, 31
	s_mul_hi_u32 s1, s16, s3
	s_mul_i32 s4, s17, s3
	s_add_i32 s1, s1, s4
	s_mul_i32 s3, s16, s3
	s_waitcnt lgkmcnt(0)
	s_mul_i32 s1, s1, s0
	s_mul_hi_u32 s4, s3, s0
	s_add_i32 s1, s4, s1
	s_mul_i32 s0, s3, s0
	s_lshl_b64 s[0:1], s[0:1], 3
	s_add_u32 s0, s10, s0
	s_addc_u32 s1, s11, s1
	v_mov_b32_e32 v2, 0
	v_lshl_add_u64 v[4:5], v[0:1], 3, s[0:1]
	s_add_i32 s2, s2, 1
	s_lshl_b64 s[0:1], s[16:17], 3
	v_mov_b32_e32 v3, v2
.LBB1_11:                               ; =>This Inner Loop Header: Depth=1
	global_load_dwordx2 v[6:7], v[4:5], off
	s_add_i32 s2, s2, -1
	v_lshl_add_u64 v[4:5], v[4:5], 0, s[0:1]
	s_cmp_eq_u32 s2, 0
	s_waitcnt vmcnt(0)
	v_pk_add_f32 v[2:3], v[2:3], v[6:7]
	s_cbranch_scc0 .LBB1_11
.LBB1_12:
	v_cmp_neq_f32_e64 s[0:1], s14, 0
	v_cmp_neq_f32_e64 s[2:3], s15, 0
	s_or_b64 s[0:1], s[0:1], s[2:3]
	v_pk_mul_f32 v[8:9], v[2:3], s[12:13] op_sel:[1,0]
	s_andn2_b64 vcc, exec, s[0:1]
	v_pk_fma_f32 v[4:5], v[2:3], s[12:13], v[8:9] op_sel:[0,0,1] op_sel_hi:[0,1,0]
	v_mul_lo_u32 v1, v1, s6
	v_mul_lo_u32 v10, v0, s7
	s_cbranch_vccz .LBB1_14
; %bb.13:
	v_pk_mul_f32 v[12:13], v[2:3], s[12:13] op_sel_hi:[0,1]
	v_mad_u64_u32 v[6:7], s[0:1], v0, s6, 0
	v_add3_u32 v7, v7, v10, v1
	v_sub_f32_e32 v4, v12, v9
	s_cbranch_execz .LBB1_15
	s_branch .LBB1_16
.LBB1_14:
                                        ; implicit-def: $vgpr6_vgpr7
.LBB1_15:
	v_mad_u64_u32 v[6:7], s[0:1], v0, s6, 0
	v_add3_u32 v7, v7, v10, v1
	v_lshl_add_u64 v[0:1], v[6:7], 3, s[8:9]
	global_load_dwordx2 v[0:1], v[0:1], off
	v_pk_fma_f32 v[2:3], v[2:3], s[12:13], v[8:9] op_sel:[0,0,1] op_sel_hi:[1,1,0] neg_lo:[0,0,1] neg_hi:[0,0,1]
	s_waitcnt vmcnt(0)
	v_pk_mul_f32 v[8:9], v[0:1], s[14:15] op_sel:[1,0]
	s_nop 0
	v_pk_fma_f32 v[10:11], v[0:1], s[14:15], v[8:9] op_sel:[0,0,1] op_sel_hi:[1,1,0] neg_lo:[0,0,1] neg_hi:[0,0,1]
	v_pk_fma_f32 v[0:1], v[0:1], s[14:15], v[8:9] op_sel:[0,0,1] op_sel_hi:[0,1,0]
	v_mov_b32_e32 v11, v1
	v_mov_b32_e32 v3, v5
	v_pk_add_f32 v[4:5], v[2:3], v[10:11]
.LBB1_16:
	v_lshl_add_u64 v[0:1], v[6:7], 3, s[8:9]
	global_store_dwordx2 v[0:1], v[4:5], off
.LBB1_17:
	s_endpgm
	.section	.rodata,"a",@progbits
	.p2align	6, 0x0
	.amdhsa_kernel _ZL36rocblas_hemvn_kernel_upper_block_sumILi64ElPK19rocblas_complex_numIfEPS1_S1_EviT1_lS5_lT2_lT0_lPT3_i
		.amdhsa_group_segment_fixed_size 0
		.amdhsa_private_segment_fixed_size 0
		.amdhsa_kernarg_size 344
		.amdhsa_user_sgpr_count 2
		.amdhsa_user_sgpr_dispatch_ptr 0
		.amdhsa_user_sgpr_queue_ptr 0
		.amdhsa_user_sgpr_kernarg_segment_ptr 1
		.amdhsa_user_sgpr_dispatch_id 0
		.amdhsa_user_sgpr_kernarg_preload_length 0
		.amdhsa_user_sgpr_kernarg_preload_offset 0
		.amdhsa_user_sgpr_private_segment_size 0
		.amdhsa_uses_dynamic_stack 0
		.amdhsa_enable_private_segment 0
		.amdhsa_system_sgpr_workgroup_id_x 1
		.amdhsa_system_sgpr_workgroup_id_y 0
		.amdhsa_system_sgpr_workgroup_id_z 1
		.amdhsa_system_sgpr_workgroup_info 0
		.amdhsa_system_vgpr_workitem_id 0
		.amdhsa_next_free_vgpr 14
		.amdhsa_next_free_sgpr 24
		.amdhsa_accum_offset 16
		.amdhsa_reserve_vcc 1
		.amdhsa_float_round_mode_32 0
		.amdhsa_float_round_mode_16_64 0
		.amdhsa_float_denorm_mode_32 3
		.amdhsa_float_denorm_mode_16_64 3
		.amdhsa_dx10_clamp 1
		.amdhsa_ieee_mode 1
		.amdhsa_fp16_overflow 0
		.amdhsa_tg_split 0
		.amdhsa_exception_fp_ieee_invalid_op 0
		.amdhsa_exception_fp_denorm_src 0
		.amdhsa_exception_fp_ieee_div_zero 0
		.amdhsa_exception_fp_ieee_overflow 0
		.amdhsa_exception_fp_ieee_underflow 0
		.amdhsa_exception_fp_ieee_inexact 0
		.amdhsa_exception_int_div_zero 0
	.end_amdhsa_kernel
	.section	.text._ZL36rocblas_hemvn_kernel_upper_block_sumILi64ElPK19rocblas_complex_numIfEPS1_S1_EviT1_lS5_lT2_lT0_lPT3_i,"axG",@progbits,_ZL36rocblas_hemvn_kernel_upper_block_sumILi64ElPK19rocblas_complex_numIfEPS1_S1_EviT1_lS5_lT2_lT0_lPT3_i,comdat
.Lfunc_end1:
	.size	_ZL36rocblas_hemvn_kernel_upper_block_sumILi64ElPK19rocblas_complex_numIfEPS1_S1_EviT1_lS5_lT2_lT0_lPT3_i, .Lfunc_end1-_ZL36rocblas_hemvn_kernel_upper_block_sumILi64ElPK19rocblas_complex_numIfEPS1_S1_EviT1_lS5_lT2_lT0_lPT3_i
                                        ; -- End function
	.section	.AMDGPU.csdata,"",@progbits
; Kernel info:
; codeLenInByte = 748
; NumSgprs: 30
; NumVgprs: 14
; NumAgprs: 0
; TotalNumVgprs: 14
; ScratchSize: 0
; MemoryBound: 0
; FloatMode: 240
; IeeeMode: 1
; LDSByteSize: 0 bytes/workgroup (compile time only)
; SGPRBlocks: 3
; VGPRBlocks: 1
; NumSGPRsForWavesPerEU: 30
; NumVGPRsForWavesPerEU: 14
; AccumOffset: 16
; Occupancy: 8
; WaveLimiterHint : 0
; COMPUTE_PGM_RSRC2:SCRATCH_EN: 0
; COMPUTE_PGM_RSRC2:USER_SGPR: 2
; COMPUTE_PGM_RSRC2:TRAP_HANDLER: 0
; COMPUTE_PGM_RSRC2:TGID_X_EN: 1
; COMPUTE_PGM_RSRC2:TGID_Y_EN: 0
; COMPUTE_PGM_RSRC2:TGID_Z_EN: 1
; COMPUTE_PGM_RSRC2:TIDIG_COMP_CNT: 0
; COMPUTE_PGM_RSRC3_GFX90A:ACCUM_OFFSET: 3
; COMPUTE_PGM_RSRC3_GFX90A:TG_SPLIT: 0
	.section	.text._ZL26rocblas_hemvn_kernel_upperILb1ELi64ELi4ELi33ELi32ELi16EiPK19rocblas_complex_numIfES3_PS1_EviT6_lT7_lT5_lS6_lS7_lS5_lT8_i,"axG",@progbits,_ZL26rocblas_hemvn_kernel_upperILb1ELi64ELi4ELi33ELi32ELi16EiPK19rocblas_complex_numIfES3_PS1_EviT6_lT7_lT5_lS6_lS7_lS5_lT8_i,comdat
	.globl	_ZL26rocblas_hemvn_kernel_upperILb1ELi64ELi4ELi33ELi32ELi16EiPK19rocblas_complex_numIfES3_PS1_EviT6_lT7_lT5_lS6_lS7_lS5_lT8_i ; -- Begin function _ZL26rocblas_hemvn_kernel_upperILb1ELi64ELi4ELi33ELi32ELi16EiPK19rocblas_complex_numIfES3_PS1_EviT6_lT7_lT5_lS6_lS7_lS5_lT8_i
	.p2align	8
	.type	_ZL26rocblas_hemvn_kernel_upperILb1ELi64ELi4ELi33ELi32ELi16EiPK19rocblas_complex_numIfES3_PS1_EviT6_lT7_lT5_lS6_lS7_lS5_lT8_i,@function
_ZL26rocblas_hemvn_kernel_upperILb1ELi64ELi4ELi33ELi32ELi16EiPK19rocblas_complex_numIfES3_PS1_EviT6_lT7_lT5_lS6_lS7_lS5_lT8_i: ; @_ZL26rocblas_hemvn_kernel_upperILb1ELi64ELi4ELi33ELi32ELi16EiPK19rocblas_complex_numIfES3_PS1_EviT6_lT7_lT5_lS6_lS7_lS5_lT8_i
; %bb.0:
	s_load_dwordx2 s[4:5], s[0:1], 0x84
	s_add_u32 s20, s0, 0x78
	s_addc_u32 s21, s1, 0
	s_waitcnt lgkmcnt(0)
	s_lshr_b32 s6, s4, 16
	s_and_b32 s4, s4, 0xffff
	s_and_b32 s5, s5, 0xffff
	s_mul_i32 s4, s6, s4
	s_mul_i32 s4, s4, s5
	s_cmpk_lg_i32 s4, 0x100
	s_cbranch_scc1 .LBB2_180
; %bb.1:
	s_load_dwordx8 s[4:11], s[0:1], 0x8
	s_waitcnt lgkmcnt(0)
	s_mul_i32 s7, s3, s7
	s_mul_hi_u32 s12, s3, s6
	s_mul_i32 s6, s3, s6
	s_add_i32 s7, s12, s7
	s_lshl_b64 s[6:7], s[6:7], 3
	s_add_u32 s4, s4, s6
	s_addc_u32 s5, s5, s7
	s_load_dwordx2 s[6:7], s[4:5], 0x0
	s_load_dwordx8 s[12:19], s[0:1], 0x50
	s_waitcnt lgkmcnt(0)
	s_or_b32 s4, s6, s7
	s_bitset0_b32 s4, 31
	s_cmp_lg_u32 s4, 0
	s_cselect_b64 s[4:5], -1, 0
	s_mov_b64 s[6:7], -1
	s_and_b64 vcc, exec, s[4:5]
	s_cbranch_vccnz .LBB2_3
; %bb.2:
	s_mul_i32 s6, s3, s17
	s_mul_hi_u32 s7, s3, s16
	s_add_i32 s7, s7, s6
	s_mul_i32 s6, s3, s16
	s_lshl_b64 s[6:7], s[6:7], 3
	s_add_u32 s6, s14, s6
	s_addc_u32 s7, s15, s7
	s_load_dwordx2 s[6:7], s[6:7], 0x0
	s_waitcnt lgkmcnt(0)
	v_cmp_neq_f32_e64 s[14:15], s6, 1.0
	v_cmp_neq_f32_e64 s[6:7], s7, 0
	s_or_b64 s[6:7], s[14:15], s[6:7]
.LBB2_3:
	s_andn2_b64 vcc, exec, s[6:7]
	s_cbranch_vccnz .LBB2_180
; %bb.4:
	s_andn2_b64 vcc, exec, s[4:5]
	s_cbranch_vccnz .LBB2_180
; %bb.5:
	s_load_dword s33, s[20:21], 0x0
	s_load_dword s36, s[0:1], 0x0
	s_load_dwordx4 s[4:7], s[0:1], 0x30
	s_load_dwordx2 s[14:15], s[0:1], 0x40
	s_load_dword s35, s[0:1], 0x48
	s_mul_i32 s13, s3, s13
	s_mul_hi_u32 s16, s3, s12
	s_add_i32 s13, s16, s13
	s_mul_i32 s12, s3, s12
	s_lshl_b64 s[12:13], s[12:13], 3
	s_waitcnt lgkmcnt(0)
	s_add_u32 s12, s6, s12
	s_addc_u32 s13, s7, s13
	s_lshl_b64 s[6:7], s[14:15], 3
	s_add_u32 s6, s12, s6
	s_addc_u32 s7, s13, s7
	s_ashr_i32 s37, s36, 31
	s_lshr_b32 s13, s37, 26
	v_and_b32_e32 v30, 0x3ff, v0
	s_lshl_b32 s24, s2, 6
	s_add_i32 s13, s36, s13
	s_andn2_b32 s13, s13, 63
	v_add_u32_e32 v28, s24, v30
	v_bfe_u32 v29, v0, 10, 10
	s_add_i32 s12, s33, -1
	s_sub_i32 s34, s36, s13
	v_mul_lo_u32 v0, v28, s35
	s_cmp_eq_u32 s2, s12
	v_ashrrev_i32_e32 v1, 31, v0
	s_cselect_b32 s16, s34, 0
	v_lshl_add_u64 v[12:13], v[0:1], 3, s[6:7]
	v_cmp_eq_u32_e64 s[12:13], 0, v29
	s_and_saveexec_b64 s[6:7], s[12:13]
	s_cbranch_execz .LBB2_10
; %bb.6:
	s_cmp_lg_u32 s16, 0
	s_cselect_b64 s[14:15], -1, 0
	v_cmp_le_i32_e32 vcc, s16, v30
	v_mov_b32_e32 v0, 0x2380
	s_and_b64 s[14:15], s[14:15], vcc
	v_lshl_add_u32 v0, v30, 3, v0
	s_and_saveexec_b64 s[20:21], s[14:15]
	s_xor_b64 s[14:15], exec, s[20:21]
	s_cbranch_execz .LBB2_8
; %bb.7:
	v_mov_b32_e32 v2, 0
	v_mov_b32_e32 v3, v2
	ds_write_b64 v0, v[2:3]
                                        ; implicit-def: $vgpr0
.LBB2_8:
	s_andn2_saveexec_b64 s[14:15], s[14:15]
	s_cbranch_execz .LBB2_10
; %bb.9:
	global_load_dwordx2 v[2:3], v[12:13], off
	s_waitcnt vmcnt(0)
	ds_write_b64 v0, v[2:3]
.LBB2_10:
	s_or_b64 exec, exec, s[6:7]
	s_mul_i32 s5, s3, s5
	s_mul_hi_u32 s6, s3, s4
	s_add_i32 s5, s6, s5
	s_mul_i32 s4, s3, s4
	s_lshl_b64 s[4:5], s[4:5], 3
	s_add_u32 s6, s8, s4
	s_addc_u32 s7, s9, s5
	s_lshl_b64 s[4:5], s[10:11], 3
	s_load_dword s22, s[0:1], 0x28
	s_add_u32 s4, s6, s4
	s_addc_u32 s5, s7, s5
	s_ashr_i32 s25, s24, 31
	v_lshl_add_u32 v22, v29, 6, v30
	s_lshl_b64 s[0:1], s[24:25], 3
	v_and_b32_e32 v0, 31, v30
	v_lshrrev_b32_e32 v1, 5, v22
	s_add_u32 s4, s4, s0
	s_addc_u32 s5, s5, s1
	s_waitcnt lgkmcnt(0)
	v_mad_u64_u32 v[14:15], s[0:1], v1, s22, v[0:1]
	s_mul_i32 s0, s24, s22
	s_ashr_i32 s1, s0, 31
	s_lshl_b64 s[0:1], s[0:1], 3
	s_add_u32 s0, s0, s4
	s_addc_u32 s1, s1, s5
	s_cmp_eq_u32 s16, 0
	s_cselect_b64 s[20:21], -1, 0
	s_cmp_lg_u32 s16, 0
	v_ashrrev_i32_e32 v15, 31, v14
	s_cselect_b64 s[28:29], -1, 0
	v_lshl_add_u64 v[6:7], v[14:15], 3, s[0:1]
	s_and_b64 vcc, exec, s[28:29]
	v_cmp_gt_i32_e64 s[0:1], s16, v0
	v_lshlrev_b32_e32 v2, 3, v0
	s_cbranch_vccz .LBB2_26
; %bb.11:
	v_sub_co_u32_e32 v4, vcc, v6, v2
	s_ashr_i32 s17, s16, 31
	s_nop 0
	v_subbrev_co_u32_e32 v5, vcc, 0, v7, vcc
	v_lshl_add_u64 v[4:5], s[16:17], 3, v[4:5]
	v_lshl_add_u64 v[4:5], v[4:5], 0, -8
	v_mov_b32_e32 v8, 0
	v_cndmask_b32_e64 v5, v5, v7, s[0:1]
	v_cndmask_b32_e64 v4, v4, v6, s[0:1]
	v_cmp_gt_i32_e32 vcc, s16, v1
	v_mov_b32_e32 v9, v8
	s_and_saveexec_b64 s[4:5], vcc
	s_cbranch_execz .LBB2_13
; %bb.12:
	global_load_dwordx2 v[8:9], v[4:5], off
.LBB2_13:
	s_or_b64 exec, exec, s[4:5]
	v_mul_u32_u24_e32 v3, 33, v1
	v_add_lshl_u32 v3, v3, v0, 3
	s_waitcnt vmcnt(0)
	ds_write_b64 v3, v[8:9]
	v_add_u32_e32 v8, 8, v1
	v_cmp_le_i32_e32 vcc, s16, v8
	s_and_saveexec_b64 s[4:5], vcc
	s_xor_b64 s[4:5], exec, s[4:5]
	s_cbranch_execz .LBB2_15
; %bb.14:
	v_mul_u32_u24_e32 v8, 33, v8
	v_add_lshl_u32 v10, v8, v0, 3
	v_mov_b32_e32 v8, 0
	v_mov_b32_e32 v9, v8
	ds_write_b64 v10, v[8:9]
.LBB2_15:
	s_andn2_saveexec_b64 s[4:5], s[4:5]
	s_cbranch_execz .LBB2_17
; %bb.16:
	s_lshl_b32 s6, s22, 3
	s_ashr_i32 s7, s6, 31
	v_lshl_add_u64 v[8:9], s[6:7], 3, v[4:5]
	global_load_dwordx2 v[8:9], v[8:9], off
	s_waitcnt vmcnt(0)
	ds_write_b64 v3, v[8:9] offset:2112
.LBB2_17:
	s_or_b64 exec, exec, s[4:5]
	v_add_u32_e32 v8, 16, v1
	v_cmp_le_i32_e32 vcc, s16, v8
	s_and_saveexec_b64 s[4:5], vcc
	s_xor_b64 s[4:5], exec, s[4:5]
	s_cbranch_execz .LBB2_19
; %bb.18:
	v_mov_b32_e32 v8, 0
	v_mov_b32_e32 v9, v8
	ds_write_b64 v3, v[8:9] offset:4224
.LBB2_19:
	s_andn2_saveexec_b64 s[4:5], s[4:5]
	s_cbranch_execz .LBB2_21
; %bb.20:
	s_lshl_b32 s6, s22, 4
	s_ashr_i32 s7, s6, 31
	v_lshl_add_u64 v[8:9], s[6:7], 3, v[4:5]
	global_load_dwordx2 v[8:9], v[8:9], off
	s_waitcnt vmcnt(0)
	ds_write_b64 v3, v[8:9] offset:4224
.LBB2_21:
	s_or_b64 exec, exec, s[4:5]
	v_add_u32_e32 v8, 24, v1
	v_cmp_le_i32_e32 vcc, s16, v8
	s_and_saveexec_b64 s[4:5], vcc
	s_xor_b64 s[4:5], exec, s[4:5]
	s_cbranch_execz .LBB2_23
; %bb.22:
	v_mov_b32_e32 v8, 0
	v_mov_b32_e32 v9, v8
	ds_write_b64 v3, v[8:9] offset:6336
                                        ; implicit-def: $vgpr3
.LBB2_23:
	s_andn2_saveexec_b64 s[4:5], s[4:5]
	s_cbranch_execz .LBB2_25
; %bb.24:
	s_mul_i32 s6, s22, 24
	s_ashr_i32 s7, s6, 31
	v_lshl_add_u64 v[8:9], s[6:7], 3, v[4:5]
	global_load_dwordx2 v[8:9], v[8:9], off
	s_waitcnt vmcnt(0)
	ds_write_b64 v3, v[8:9] offset:6336
.LBB2_25:
	s_or_b64 exec, exec, s[4:5]
	v_mov_b32_e32 v3, 0
	v_lshl_add_u64 v[4:5], v[4:5], 0, v[2:3]
	s_lshl_b64 s[4:5], s[16:17], 3
	v_mov_b32_e32 v3, s5
	v_subrev_co_u32_e32 v4, vcc, s4, v4
	s_nop 1
	v_subb_co_u32_e32 v5, vcc, v5, v3, vcc
	v_lshl_add_u64 v[4:5], v[4:5], 0, 8
	v_cndmask_b32_e64 v5, v5, v7, s[0:1]
	v_cndmask_b32_e64 v4, v4, v6, s[0:1]
	v_mul_u32_u24_e32 v18, 33, v1
	s_branch .LBB2_28
.LBB2_26:
                                        ; implicit-def: $vgpr4_vgpr5
	v_mul_u32_u24_e32 v18, 33, v1
	s_cbranch_execz .LBB2_28
; %bb.27:
	s_lshl_b32 s0, s22, 3
	s_ashr_i32 s1, s0, 31
	s_ashr_i32 s23, s22, 31
	v_lshl_add_u64 v[4:5], s[0:1], 3, v[6:7]
	global_load_dwordx2 v[8:9], v[6:7], off
	global_load_dwordx2 v[10:11], v[4:5], off
	s_lshl_b64 s[0:1], s[22:23], 6
	v_lshl_add_u64 v[4:5], v[4:5], 0, s[0:1]
	global_load_dwordx2 v[16:17], v[4:5], off
	v_lshl_add_u64 v[4:5], v[4:5], 0, s[0:1]
	global_load_dwordx2 v[4:5], v[4:5], off
	v_add_lshl_u32 v3, v18, v0, 3
	s_waitcnt vmcnt(3)
	ds_write_b64 v3, v[8:9]
	s_waitcnt vmcnt(2)
	ds_write_b64 v3, v[10:11] offset:2112
	s_waitcnt vmcnt(1)
	ds_write_b64 v3, v[16:17] offset:4224
	;; [unrolled: 2-line block ×3, first 2 shown]
	v_mov_b64_e32 v[4:5], v[6:7]
.LBB2_28:
	v_lshlrev_b32_e32 v21, 2, v1
	v_cmp_le_u32_e64 s[4:5], v21, v0
	s_waitcnt lgkmcnt(0)
	s_barrier
	s_and_saveexec_b64 s[0:1], s[4:5]
	s_xor_b64 s[0:1], exec, s[0:1]
	s_cbranch_execz .LBB2_32
; %bb.29:
	v_cmp_eq_u32_e32 vcc, v21, v0
	s_and_saveexec_b64 s[6:7], vcc
	s_cbranch_execz .LBB2_31
; %bb.30:
	v_mul_u32_u24_e32 v3, 34, v0
	v_lshlrev_b32_e32 v3, 3, v3
	v_mov_b32_e32 v6, 0
	ds_write_b32 v3, v6 offset:4
.LBB2_31:
	s_or_b64 exec, exec, s[6:7]
.LBB2_32:
	s_or_saveexec_b64 s[0:1], s[0:1]
	v_mul_u32_u24_e32 v19, 33, v0
	v_add_lshl_u32 v16, v21, v19, 3
	s_xor_b64 exec, exec, s[0:1]
	s_cbranch_execz .LBB2_34
; %bb.33:
	v_mul_u32_u24_e32 v3, 0x84, v1
	v_add_lshl_u32 v3, v3, v0, 3
	ds_read_b64 v[6:7], v3
	s_waitcnt lgkmcnt(0)
	v_xor_b32_e32 v7, 0x80000000, v7
	ds_write_b64 v16, v[6:7]
.LBB2_34:
	s_or_b64 exec, exec, s[0:1]
	v_or_b32_e32 v17, 1, v21
	v_cmp_ge_u32_e64 s[6:7], v21, v0
	v_mul_u32_u24_e32 v3, 33, v17
	s_and_saveexec_b64 s[0:1], s[6:7]
	s_xor_b64 s[0:1], exec, s[0:1]
	s_cbranch_execz .LBB2_36
; %bb.35:
	v_add_lshl_u32 v6, v3, v0, 3
	ds_read_b64 v[6:7], v6
	s_waitcnt lgkmcnt(0)
	v_xor_b32_e32 v7, 0x80000000, v7
	ds_write_b64 v16, v[6:7] offset:8
.LBB2_36:
	s_andn2_saveexec_b64 s[0:1], s[0:1]
	s_cbranch_execz .LBB2_40
; %bb.37:
	v_cmp_eq_u32_e32 vcc, v17, v0
	s_and_saveexec_b64 s[8:9], vcc
	s_cbranch_execz .LBB2_39
; %bb.38:
	v_mul_u32_u24_e32 v6, 34, v0
	v_lshlrev_b32_e32 v6, 3, v6
	v_mov_b32_e32 v7, 0
	ds_write_b32 v6, v7 offset:4
.LBB2_39:
	s_or_b64 exec, exec, s[8:9]
.LBB2_40:
	s_or_b64 exec, exec, s[0:1]
	v_or_b32_e32 v26, 2, v21
	v_cmp_le_u32_e64 s[8:9], v26, v0
	s_and_saveexec_b64 s[0:1], s[8:9]
	s_xor_b64 s[0:1], exec, s[0:1]
	s_cbranch_execz .LBB2_44
; %bb.41:
	v_cmp_eq_u32_e32 vcc, v26, v0
	s_and_saveexec_b64 s[10:11], vcc
	s_cbranch_execz .LBB2_43
; %bb.42:
	v_mul_u32_u24_e32 v6, 34, v0
	v_lshlrev_b32_e32 v6, 3, v6
	v_mov_b32_e32 v7, 0
	ds_write_b32 v6, v7 offset:4
.LBB2_43:
	s_or_b64 exec, exec, s[10:11]
.LBB2_44:
	s_andn2_saveexec_b64 s[0:1], s[0:1]
	s_cbranch_execz .LBB2_46
; %bb.45:
	v_mul_u32_u24_e32 v6, 33, v26
	v_add_lshl_u32 v6, v6, v0, 3
	ds_read_b64 v[6:7], v6
	s_waitcnt lgkmcnt(0)
	v_xor_b32_e32 v7, 0x80000000, v7
	ds_write_b64 v16, v[6:7] offset:16
.LBB2_46:
	s_or_b64 exec, exec, s[0:1]
	v_or_b32_e32 v27, 3, v21
	v_cmp_le_u32_e64 s[10:11], v27, v0
	s_and_saveexec_b64 s[0:1], s[10:11]
	s_xor_b64 s[0:1], exec, s[0:1]
	s_cbranch_execz .LBB2_50
; %bb.47:
	v_cmp_eq_u32_e32 vcc, v27, v0
	s_and_saveexec_b64 s[14:15], vcc
	s_cbranch_execz .LBB2_49
; %bb.48:
	v_mul_u32_u24_e32 v6, 34, v0
	v_lshlrev_b32_e32 v6, 3, v6
	v_mov_b32_e32 v7, 0
	ds_write_b32 v6, v7 offset:4
.LBB2_49:
	s_or_b64 exec, exec, s[14:15]
.LBB2_50:
	s_andn2_saveexec_b64 s[0:1], s[0:1]
	s_cbranch_execz .LBB2_52
; %bb.51:
	v_mul_u32_u24_e32 v6, 33, v27
	v_add_lshl_u32 v6, v6, v0, 3
	ds_read_b64 v[6:7], v6
	s_waitcnt lgkmcnt(0)
	v_xor_b32_e32 v7, 0x80000000, v7
	ds_write_b64 v16, v[6:7] offset:24
.LBB2_52:
	s_or_b64 exec, exec, s[0:1]
	v_mul_u32_u24_e32 v6, 0x84, v1
	v_lshlrev_b32_e32 v31, 3, v21
	s_waitcnt lgkmcnt(0)
	s_barrier
	v_add_lshl_u32 v20, v6, v0, 3
	v_add_lshl_u32 v25, v3, v0, 3
	ds_read_b128 v[6:9], v31 offset:9088
	ds_read_b64 v[10:11], v20
	ds_read2_b64 v[32:35], v25 offset1:33
	ds_read_b64 v[40:41], v25 offset:528
	ds_read_b128 v[36:39], v31 offset:9104
	s_mov_b32 s14, 0
	s_waitcnt lgkmcnt(3)
	v_pk_mul_f32 v[42:43], v[6:7], v[10:11] op_sel:[0,1]
	s_mov_b32 s15, s14
	v_pk_fma_f32 v[44:45], v[6:7], v[10:11], v[42:43] op_sel:[0,0,1] op_sel_hi:[1,1,0] neg_lo:[0,0,1] neg_hi:[0,0,1]
	v_pk_fma_f32 v[6:7], v[6:7], v[10:11], v[42:43] op_sel:[0,0,1] op_sel_hi:[1,0,0]
	s_waitcnt lgkmcnt(2)
	v_pk_mul_f32 v[10:11], v[8:9], v[32:33] op_sel:[0,1]
	v_mov_b32_e32 v45, v7
	v_pk_fma_f32 v[42:43], v[8:9], v[32:33], v[10:11] op_sel:[0,0,1] op_sel_hi:[1,1,0] neg_lo:[0,0,1] neg_hi:[0,0,1]
	v_pk_fma_f32 v[8:9], v[8:9], v[32:33], v[10:11] op_sel:[0,0,1] op_sel_hi:[1,0,0]
	v_pk_add_f32 v[6:7], v[44:45], 0 op_sel_hi:[1,0]
	v_mov_b32_e32 v43, v9
	s_waitcnt lgkmcnt(0)
	v_pk_mul_f32 v[8:9], v[36:37], v[34:35] op_sel:[0,1]
	v_pk_add_f32 v[6:7], v[6:7], v[42:43]
	v_pk_fma_f32 v[10:11], v[36:37], v[34:35], v[8:9] op_sel:[0,0,1] op_sel_hi:[1,1,0] neg_lo:[0,0,1] neg_hi:[0,0,1]
	v_pk_fma_f32 v[8:9], v[36:37], v[34:35], v[8:9] op_sel:[0,0,1] op_sel_hi:[1,0,0]
	v_add_lshl_u32 v23, v1, v19, 3
	v_mov_b32_e32 v11, v9
	v_pk_mul_f32 v[8:9], v[38:39], v[40:41] op_sel:[0,1]
	v_pk_add_f32 v[6:7], v[6:7], v[10:11]
	v_pk_fma_f32 v[10:11], v[38:39], v[40:41], v[8:9] op_sel:[0,0,1] op_sel_hi:[1,1,0] neg_lo:[0,0,1] neg_hi:[0,0,1]
	v_pk_fma_f32 v[8:9], v[38:39], v[40:41], v[8:9] op_sel:[0,0,1] op_sel_hi:[1,0,0]
	v_cmp_gt_u32_e64 s[0:1], 32, v22
	v_mov_b32_e32 v11, v9
	v_pk_add_f32 v[6:7], v[6:7], v[10:11]
	v_mov_b64_e32 v[32:33], s[14:15]
	v_lshlrev_b32_e32 v24, 3, v19
	s_barrier
	ds_write_b64 v23, v[6:7]
	s_waitcnt lgkmcnt(0)
	s_barrier
	s_and_saveexec_b64 s[14:15], s[0:1]
	s_cbranch_execz .LBB2_54
; %bb.53:
	ds_read2_b64 v[6:9], v24 offset1:7
	ds_read2_b64 v[32:35], v24 offset0:1 offset1:2
	ds_read2_b64 v[36:39], v24 offset0:3 offset1:4
	s_waitcnt lgkmcnt(1)
	v_add_f32_e32 v3, v32, v6
	v_add_f32_e32 v6, v33, v7
	;; [unrolled: 1-line block ×4, first 2 shown]
	ds_read2_b64 v[32:35], v24 offset0:5 offset1:6
	s_waitcnt lgkmcnt(1)
	v_add_f32_e32 v3, v3, v36
	v_add_f32_e32 v6, v6, v37
	;; [unrolled: 1-line block ×4, first 2 shown]
	s_waitcnt lgkmcnt(0)
	v_add_f32_e32 v3, v3, v32
	v_add_f32_e32 v7, v6, v33
	;; [unrolled: 1-line block ×4, first 2 shown]
	v_pk_add_f32 v[32:33], v[6:7], v[8:9]
.LBB2_54:
	s_or_b64 exec, exec, s[14:15]
	s_lshl_b32 s26, s22, 5
	s_ashr_i32 s27, s26, 31
	v_lshl_add_u64 v[8:9], s[26:27], 3, v[4:5]
	s_mov_b64 s[14:15], 0x100
	v_lshl_add_u64 v[6:7], v[8:9], 0, s[14:15]
	s_and_b64 vcc, exec, s[28:29]
	s_barrier
	s_cbranch_vccz .LBB2_70
; %bb.55:
	v_sub_co_u32_e32 v4, vcc, v6, v2
	s_ashr_i32 s17, s16, 31
	s_nop 0
	v_subbrev_co_u32_e32 v5, vcc, 0, v7, vcc
	s_movk_i32 s14, 0xfef8
	v_or_b32_e32 v3, 32, v0
	v_lshl_add_u64 v[4:5], s[16:17], 3, v[4:5]
	s_mov_b32 s15, -1
	v_lshl_add_u64 v[4:5], v[4:5], 0, s[14:15]
	v_cmp_gt_i32_e32 vcc, s16, v3
	s_sub_i32 s23, s16, 32
	v_mov_b32_e32 v10, 0
	v_cndmask_b32_e32 v5, v5, v7, vcc
	v_cndmask_b32_e32 v4, v4, v6, vcc
	v_cmp_gt_i32_e64 s[14:15], s23, v1
	v_mov_b32_e32 v11, v10
	s_and_saveexec_b64 s[30:31], s[14:15]
	s_cbranch_execz .LBB2_57
; %bb.56:
	global_load_dwordx2 v[10:11], v[4:5], off
.LBB2_57:
	s_or_b64 exec, exec, s[30:31]
	v_add_lshl_u32 v3, v18, v0, 3
	s_waitcnt vmcnt(0)
	ds_write_b64 v3, v[10:11]
	v_add_u32_e32 v10, 8, v1
	v_cmp_le_i32_e64 s[14:15], s23, v10
	s_and_saveexec_b64 s[30:31], s[14:15]
	s_xor_b64 s[14:15], exec, s[30:31]
	s_cbranch_execz .LBB2_59
; %bb.58:
	v_mul_u32_u24_e32 v10, 33, v10
	v_add_lshl_u32 v34, v10, v0, 3
	v_mov_b32_e32 v10, 0
	v_mov_b32_e32 v11, v10
	ds_write_b64 v34, v[10:11]
.LBB2_59:
	s_andn2_saveexec_b64 s[14:15], s[14:15]
	s_cbranch_execz .LBB2_61
; %bb.60:
	s_lshl_b32 s30, s22, 3
	s_ashr_i32 s31, s30, 31
	v_lshl_add_u64 v[10:11], s[30:31], 3, v[4:5]
	global_load_dwordx2 v[10:11], v[10:11], off
	s_waitcnt vmcnt(0)
	ds_write_b64 v3, v[10:11] offset:2112
.LBB2_61:
	s_or_b64 exec, exec, s[14:15]
	v_add_u32_e32 v10, 16, v1
	v_cmp_le_i32_e64 s[14:15], s23, v10
	s_and_saveexec_b64 s[30:31], s[14:15]
	s_xor_b64 s[14:15], exec, s[30:31]
	s_cbranch_execz .LBB2_63
; %bb.62:
	v_mul_u32_u24_e32 v10, 33, v10
	v_add_lshl_u32 v34, v10, v0, 3
	v_mov_b32_e32 v10, 0
	v_mov_b32_e32 v11, v10
	ds_write_b64 v34, v[10:11]
.LBB2_63:
	s_andn2_saveexec_b64 s[14:15], s[14:15]
	s_cbranch_execz .LBB2_65
; %bb.64:
	s_lshl_b32 s30, s22, 4
	s_ashr_i32 s31, s30, 31
	v_lshl_add_u64 v[10:11], s[30:31], 3, v[4:5]
	global_load_dwordx2 v[10:11], v[10:11], off
	s_waitcnt vmcnt(0)
	ds_write_b64 v3, v[10:11] offset:4224
.LBB2_65:
	s_or_b64 exec, exec, s[14:15]
	v_add_u32_e32 v10, 24, v1
	v_cmp_le_i32_e64 s[14:15], s23, v10
	s_and_saveexec_b64 s[30:31], s[14:15]
	s_xor_b64 s[14:15], exec, s[30:31]
	s_cbranch_execz .LBB2_67
; %bb.66:
	v_mov_b32_e32 v10, 0
	v_mov_b32_e32 v11, v10
	ds_write_b64 v3, v[10:11] offset:6336
                                        ; implicit-def: $vgpr3
.LBB2_67:
	s_andn2_saveexec_b64 s[14:15], s[14:15]
	s_cbranch_execz .LBB2_69
; %bb.68:
	s_mul_i32 s30, s22, 24
	s_ashr_i32 s31, s30, 31
	v_lshl_add_u64 v[10:11], s[30:31], 3, v[4:5]
	global_load_dwordx2 v[10:11], v[10:11], off
	s_waitcnt vmcnt(0)
	ds_write_b64 v3, v[10:11] offset:6336
.LBB2_69:
	s_or_b64 exec, exec, s[14:15]
	v_mov_b32_e32 v3, 0
	v_lshl_add_u64 v[4:5], v[4:5], 0, v[2:3]
	s_lshl_b64 s[14:15], s[16:17], 3
	v_mov_b32_e32 v3, s15
	v_subrev_co_u32_e64 v4, s[14:15], s14, v4
	s_nop 1
	v_subb_co_u32_e64 v5, s[14:15], v5, v3, s[14:15]
	s_mov_b64 s[14:15], 0x108
	s_nop 0
	v_lshl_add_u64 v[4:5], v[4:5], 0, s[14:15]
	v_cndmask_b32_e32 v5, v5, v7, vcc
	v_cndmask_b32_e32 v4, v4, v6, vcc
	s_branch .LBB2_72
.LBB2_70:
                                        ; implicit-def: $vgpr4_vgpr5
	s_cbranch_execz .LBB2_72
; %bb.71:
	s_lshl_b32 s14, s22, 3
	s_ashr_i32 s15, s14, 31
	s_ashr_i32 s23, s22, 31
	v_lshl_add_u64 v[4:5], s[14:15], 3, v[8:9]
	s_lshl_b64 s[14:15], s[22:23], 6
	v_lshl_add_u64 v[10:11], v[4:5], 0, s[14:15]
	v_lshl_add_u64 v[34:35], v[10:11], 0, s[14:15]
	global_load_dwordx2 v[36:37], v[8:9], off offset:256
	global_load_dwordx2 v[38:39], v[4:5], off offset:256
	;; [unrolled: 1-line block ×4, first 2 shown]
	v_add_lshl_u32 v3, v18, v0, 3
	v_mov_b64_e32 v[4:5], v[6:7]
	s_waitcnt vmcnt(3)
	ds_write_b64 v3, v[36:37]
	s_waitcnt vmcnt(2)
	ds_write_b64 v3, v[38:39] offset:2112
	s_waitcnt vmcnt(1)
	ds_write_b64 v3, v[40:41] offset:4224
	;; [unrolled: 2-line block ×3, first 2 shown]
.LBB2_72:
	s_waitcnt lgkmcnt(0)
	s_barrier
	s_and_saveexec_b64 s[14:15], s[4:5]
	s_xor_b64 s[4:5], exec, s[14:15]
	s_cbranch_execnz .LBB2_99
; %bb.73:
	s_andn2_saveexec_b64 s[4:5], s[4:5]
	s_cbranch_execnz .LBB2_102
.LBB2_74:
	s_or_b64 exec, exec, s[4:5]
	s_and_saveexec_b64 s[4:5], s[6:7]
	s_xor_b64 s[4:5], exec, s[4:5]
	s_cbranch_execnz .LBB2_103
.LBB2_75:
	s_andn2_saveexec_b64 s[4:5], s[4:5]
	s_cbranch_execnz .LBB2_104
.LBB2_76:
	s_or_b64 exec, exec, s[4:5]
	s_and_saveexec_b64 s[4:5], s[8:9]
	s_xor_b64 s[4:5], exec, s[4:5]
	s_cbranch_execnz .LBB2_107
.LBB2_77:
	s_andn2_saveexec_b64 s[4:5], s[4:5]
	s_cbranch_execnz .LBB2_110
.LBB2_78:
	s_or_b64 exec, exec, s[4:5]
	s_and_saveexec_b64 s[4:5], s[10:11]
	s_xor_b64 s[4:5], exec, s[4:5]
	s_cbranch_execnz .LBB2_111
.LBB2_79:
	s_or_saveexec_b64 s[4:5], s[4:5]
	v_add_u32_e32 v26, 0x2380, v31
	s_xor_b64 exec, exec, s[4:5]
	s_cbranch_execz .LBB2_81
.LBB2_80:
	ds_read_b64 v[6:7], v25 offset:528
	s_waitcnt lgkmcnt(0)
	v_xor_b32_e32 v7, 0x80000000, v7
	ds_write_b64 v16, v[6:7] offset:24
.LBB2_81:
	s_or_b64 exec, exec, s[4:5]
	s_waitcnt lgkmcnt(0)
	s_barrier
	ds_read_b64 v[10:11], v20
	ds_read_b128 v[6:9], v26 offset:256
	ds_read2_b64 v[34:37], v25 offset1:33
	ds_read_b64 v[16:17], v25 offset:528
	ds_read_b128 v[38:41], v26 offset:272
	v_cmp_eq_u32_e64 s[4:5], 1, v1
	s_waitcnt lgkmcnt(3)
	v_pk_mul_f32 v[42:43], v[6:7], v[10:11] op_sel:[0,1]
	s_waitcnt lgkmcnt(0)
	v_pk_fma_f32 v[44:45], v[6:7], v[10:11], v[42:43] op_sel:[0,0,1] op_sel_hi:[1,1,0] neg_lo:[0,0,1] neg_hi:[0,0,1]
	v_pk_fma_f32 v[6:7], v[6:7], v[10:11], v[42:43] op_sel:[0,0,1] op_sel_hi:[1,0,0]
	v_pk_mul_f32 v[10:11], v[8:9], v[34:35] op_sel:[0,1]
	v_mov_b32_e32 v45, v7
	v_pk_fma_f32 v[42:43], v[8:9], v[34:35], v[10:11] op_sel:[0,0,1] op_sel_hi:[1,1,0] neg_lo:[0,0,1] neg_hi:[0,0,1]
	v_pk_fma_f32 v[8:9], v[8:9], v[34:35], v[10:11] op_sel:[0,0,1] op_sel_hi:[1,0,0]
	v_pk_add_f32 v[6:7], v[44:45], 0 op_sel_hi:[1,0]
	v_mov_b32_e32 v43, v9
	v_pk_mul_f32 v[8:9], v[38:39], v[36:37] op_sel:[0,1]
	v_pk_add_f32 v[6:7], v[6:7], v[42:43]
	v_pk_fma_f32 v[10:11], v[38:39], v[36:37], v[8:9] op_sel:[0,0,1] op_sel_hi:[1,1,0] neg_lo:[0,0,1] neg_hi:[0,0,1]
	v_pk_fma_f32 v[8:9], v[38:39], v[36:37], v[8:9] op_sel:[0,0,1] op_sel_hi:[1,0,0]
	s_barrier
	v_mov_b32_e32 v11, v9
	v_pk_mul_f32 v[8:9], v[40:41], v[16:17] op_sel:[0,1]
	v_pk_add_f32 v[6:7], v[6:7], v[10:11]
	v_pk_fma_f32 v[10:11], v[40:41], v[16:17], v[8:9] op_sel:[0,0,1] op_sel_hi:[1,1,0] neg_lo:[0,0,1] neg_hi:[0,0,1]
	v_pk_fma_f32 v[8:9], v[40:41], v[16:17], v[8:9] op_sel:[0,0,1] op_sel_hi:[1,0,0]
	s_nop 0
	v_mov_b32_e32 v11, v9
	v_pk_add_f32 v[6:7], v[6:7], v[10:11]
	ds_write_b64 v23, v[6:7]
	s_waitcnt lgkmcnt(0)
	s_barrier
	s_and_saveexec_b64 s[6:7], s[4:5]
	s_cbranch_execz .LBB2_83
; %bb.82:
	ds_read2_b64 v[6:9], v24 offset1:7
	ds_read2_b64 v[32:35], v24 offset0:1 offset1:2
	ds_read2_b64 v[36:39], v24 offset0:3 offset1:4
	s_waitcnt lgkmcnt(1)
	v_add_f32_e32 v3, v32, v6
	v_add_f32_e32 v6, v33, v7
	;; [unrolled: 1-line block ×4, first 2 shown]
	ds_read2_b64 v[32:35], v24 offset0:5 offset1:6
	s_waitcnt lgkmcnt(1)
	v_add_f32_e32 v3, v3, v36
	v_add_f32_e32 v6, v6, v37
	;; [unrolled: 1-line block ×4, first 2 shown]
	s_waitcnt lgkmcnt(0)
	v_add_f32_e32 v6, v3, v32
	v_add_f32_e32 v7, v7, v33
	v_pk_add_f32 v[6:7], v[6:7], v[34:35]
	s_nop 0
	v_pk_add_f32 v[32:33], v[6:7], v[8:9]
.LBB2_83:
	s_or_b64 exec, exec, s[6:7]
	s_movk_i32 s6, 0xff00
	s_mov_b32 s7, -1
	v_lshl_add_u64 v[6:7], v[4:5], 0, s[6:7]
	s_and_b64 vcc, exec, s[28:29]
	s_barrier
	s_cbranch_vccz .LBB2_114
; %bb.84:
	v_sub_co_u32_e32 v8, vcc, v4, v2
	s_ashr_i32 s17, s16, 31
	s_nop 0
	v_subbrev_co_u32_e32 v9, vcc, 0, v5, vcc
	s_movk_i32 s6, 0xfef8
	v_lshl_add_u64 v[8:9], s[16:17], 3, v[8:9]
	s_mov_b32 s7, -1
	v_lshl_add_u64 v[8:9], v[8:9], 0, s[6:7]
	v_cmp_gt_i32_e32 vcc, s16, v0
	s_sub_i32 s10, s16, 32
	v_mov_b32_e32 v10, 0
	v_cndmask_b32_e32 v9, v9, v7, vcc
	v_cndmask_b32_e32 v8, v8, v6, vcc
	v_cmp_gt_i32_e64 s[6:7], s10, v1
	v_mov_b32_e32 v11, v10
	s_and_saveexec_b64 s[8:9], s[6:7]
	s_cbranch_execz .LBB2_86
; %bb.85:
	global_load_dwordx2 v[10:11], v[8:9], off
.LBB2_86:
	s_or_b64 exec, exec, s[8:9]
	v_add_lshl_u32 v3, v18, v0, 3
	s_waitcnt vmcnt(0)
	ds_write_b64 v3, v[10:11]
	v_add_u32_e32 v10, 8, v1
	v_cmp_le_i32_e64 s[6:7], s10, v10
	s_and_saveexec_b64 s[8:9], s[6:7]
	s_xor_b64 s[6:7], exec, s[8:9]
	s_cbranch_execz .LBB2_88
; %bb.87:
	v_mul_u32_u24_e32 v11, 33, v10
	v_mov_b32_e32 v16, 0
	v_add_lshl_u32 v11, v11, v0, 3
	v_mov_b32_e32 v17, v16
	ds_write_b64 v11, v[16:17]
.LBB2_88:
	s_andn2_saveexec_b64 s[6:7], s[6:7]
	s_cbranch_execz .LBB2_90
; %bb.89:
	s_lshl_b32 s8, s22, 3
	s_ashr_i32 s9, s8, 31
	v_lshl_add_u64 v[16:17], s[8:9], 3, v[8:9]
	global_load_dwordx2 v[16:17], v[16:17], off
	s_waitcnt vmcnt(0)
	ds_write_b64 v3, v[16:17] offset:2112
.LBB2_90:
	s_or_b64 exec, exec, s[6:7]
	v_add_u32_e32 v11, 16, v1
	v_cmp_le_i32_e64 s[6:7], s10, v11
	s_and_saveexec_b64 s[8:9], s[6:7]
	s_xor_b64 s[6:7], exec, s[8:9]
	s_cbranch_execz .LBB2_92
; %bb.91:
	v_mov_b32_e32 v16, 0
	v_mov_b32_e32 v17, v16
	ds_write_b64 v3, v[16:17] offset:4224
.LBB2_92:
	s_andn2_saveexec_b64 s[6:7], s[6:7]
	s_cbranch_execz .LBB2_94
; %bb.93:
	s_lshl_b32 s8, s22, 4
	s_ashr_i32 s9, s8, 31
	v_lshl_add_u64 v[16:17], s[8:9], 3, v[8:9]
	global_load_dwordx2 v[16:17], v[16:17], off
	s_waitcnt vmcnt(0)
	ds_write_b64 v3, v[16:17] offset:4224
.LBB2_94:
	s_or_b64 exec, exec, s[6:7]
	v_add_u32_e32 v21, 24, v1
	v_cmp_le_i32_e64 s[6:7], s10, v21
	s_and_saveexec_b64 s[8:9], s[6:7]
	s_xor_b64 s[6:7], exec, s[8:9]
	s_cbranch_execz .LBB2_96
; %bb.95:
	v_mov_b32_e32 v16, 0
	v_mov_b32_e32 v17, v16
	ds_write_b64 v3, v[16:17] offset:6336
                                        ; implicit-def: $vgpr3
.LBB2_96:
	s_andn2_saveexec_b64 s[6:7], s[6:7]
	s_cbranch_execz .LBB2_98
; %bb.97:
	s_mul_i32 s8, s22, 24
	s_ashr_i32 s9, s8, 31
	v_lshl_add_u64 v[16:17], s[8:9], 3, v[8:9]
	global_load_dwordx2 v[16:17], v[16:17], off
	s_waitcnt vmcnt(0)
	ds_write_b64 v3, v[16:17] offset:6336
.LBB2_98:
	s_or_b64 exec, exec, s[6:7]
	v_mov_b32_e32 v3, 0
	v_lshl_add_u64 v[2:3], v[8:9], 0, v[2:3]
	s_lshl_b64 s[6:7], s[16:17], 3
	v_mov_b32_e32 v8, s7
	v_subrev_co_u32_e64 v2, s[6:7], s6, v2
	s_nop 1
	v_subb_co_u32_e64 v3, s[6:7], v3, v8, s[6:7]
	v_lshl_add_u64 v[2:3], v[2:3], 0, 8
	v_cndmask_b32_e32 v17, v3, v7, vcc
	v_cndmask_b32_e32 v16, v2, v6, vcc
	s_branch .LBB2_116
.LBB2_99:
	v_cmp_eq_u32_e32 vcc, v21, v0
	s_and_saveexec_b64 s[14:15], vcc
	s_cbranch_execz .LBB2_101
; %bb.100:
	v_mul_u32_u24_e32 v3, 34, v0
	v_lshlrev_b32_e32 v3, 3, v3
	v_mov_b32_e32 v6, 0
	ds_write_b32 v3, v6 offset:4
.LBB2_101:
	s_or_b64 exec, exec, s[14:15]
	s_andn2_saveexec_b64 s[4:5], s[4:5]
	s_cbranch_execz .LBB2_74
.LBB2_102:
	ds_read_b64 v[6:7], v20
	s_waitcnt lgkmcnt(0)
	v_xor_b32_e32 v7, 0x80000000, v7
	ds_write_b64 v16, v[6:7]
	s_or_b64 exec, exec, s[4:5]
	s_and_saveexec_b64 s[4:5], s[6:7]
	s_xor_b64 s[4:5], exec, s[4:5]
	s_cbranch_execz .LBB2_75
.LBB2_103:
	ds_read_b64 v[6:7], v25
                                        ; implicit-def: $vgpr17
	s_waitcnt lgkmcnt(0)
	v_xor_b32_e32 v7, 0x80000000, v7
	ds_write_b64 v16, v[6:7] offset:8
	s_andn2_saveexec_b64 s[4:5], s[4:5]
	s_cbranch_execz .LBB2_76
.LBB2_104:
	v_cmp_eq_u32_e32 vcc, v17, v0
	s_and_saveexec_b64 s[6:7], vcc
	s_cbranch_execz .LBB2_106
; %bb.105:
	v_mul_u32_u24_e32 v3, 34, v0
	v_lshlrev_b32_e32 v3, 3, v3
	v_mov_b32_e32 v6, 0
	ds_write_b32 v3, v6 offset:4
.LBB2_106:
	s_or_b64 exec, exec, s[6:7]
	s_or_b64 exec, exec, s[4:5]
	s_and_saveexec_b64 s[4:5], s[8:9]
	s_xor_b64 s[4:5], exec, s[4:5]
	s_cbranch_execz .LBB2_77
.LBB2_107:
	v_cmp_eq_u32_e32 vcc, v26, v0
	s_and_saveexec_b64 s[6:7], vcc
	s_cbranch_execz .LBB2_109
; %bb.108:
	v_mul_u32_u24_e32 v3, 34, v0
	v_lshlrev_b32_e32 v3, 3, v3
	v_mov_b32_e32 v6, 0
	ds_write_b32 v3, v6 offset:4
.LBB2_109:
	s_or_b64 exec, exec, s[6:7]
	s_andn2_saveexec_b64 s[4:5], s[4:5]
	s_cbranch_execz .LBB2_78
.LBB2_110:
	ds_read_b64 v[6:7], v25 offset:264
	s_waitcnt lgkmcnt(0)
	v_xor_b32_e32 v7, 0x80000000, v7
	ds_write_b64 v16, v[6:7] offset:16
	s_or_b64 exec, exec, s[4:5]
	s_and_saveexec_b64 s[4:5], s[10:11]
	s_xor_b64 s[4:5], exec, s[4:5]
	s_cbranch_execz .LBB2_79
.LBB2_111:
	v_cmp_eq_u32_e32 vcc, v27, v0
	s_and_saveexec_b64 s[6:7], vcc
	s_cbranch_execz .LBB2_113
; %bb.112:
	v_mul_u32_u24_e32 v3, 34, v0
	v_lshlrev_b32_e32 v3, 3, v3
	v_mov_b32_e32 v6, 0
	ds_write_b32 v3, v6 offset:4
.LBB2_113:
	s_or_b64 exec, exec, s[6:7]
                                        ; implicit-def: $vgpr16
	s_or_saveexec_b64 s[4:5], s[4:5]
	v_add_u32_e32 v26, 0x2380, v31
	s_xor_b64 exec, exec, s[4:5]
	s_cbranch_execnz .LBB2_80
	s_branch .LBB2_81
.LBB2_114:
                                        ; implicit-def: $vgpr16_vgpr17
                                        ; implicit-def: $vgpr10
                                        ; implicit-def: $vgpr11
                                        ; implicit-def: $vgpr21
	s_cbranch_execz .LBB2_116
; %bb.115:
	s_lshl_b32 s6, s22, 3
	s_ashr_i32 s7, s6, 31
	s_ashr_i32 s23, s22, 31
	global_load_dwordx2 v[2:3], v[4:5], off offset:-256
	v_lshl_add_u64 v[4:5], s[6:7], 3, v[4:5]
	s_lshl_b64 s[6:7], s[22:23], 6
	v_lshl_add_u64 v[8:9], v[4:5], 0, s[6:7]
	global_load_dwordx2 v[16:17], v[4:5], off offset:-256
	global_load_dwordx2 v[34:35], v[8:9], off offset:-256
	v_lshl_add_u64 v[4:5], v[8:9], 0, s[6:7]
	global_load_dwordx2 v[4:5], v[4:5], off offset:-256
	v_add_lshl_u32 v0, v18, v0, 3
	v_add_u32_e32 v10, 8, v1
	v_add_u32_e32 v11, 16, v1
	;; [unrolled: 1-line block ×3, first 2 shown]
	s_waitcnt vmcnt(3)
	ds_write_b64 v0, v[2:3]
	s_waitcnt vmcnt(2)
	ds_write_b64 v0, v[16:17] offset:2112
	s_waitcnt vmcnt(1)
	ds_write_b64 v0, v[34:35] offset:4224
	;; [unrolled: 2-line block ×3, first 2 shown]
	v_mov_b64_e32 v[16:17], v[6:7]
.LBB2_116:
	s_waitcnt lgkmcnt(0)
	s_barrier
	ds_read_b64 v[34:35], v23
	v_add_lshl_u32 v0, v11, v19, 3
	ds_read_b64 v[36:37], v0
	v_lshlrev_b32_e32 v4, 3, v1
	v_add_lshl_u32 v5, v10, v19, 3
	v_lshlrev_b32_e32 v6, 3, v10
	v_lshlrev_b32_e32 v7, 3, v11
	v_add_lshl_u32 v18, v21, v19, 3
	v_lshlrev_b32_e32 v19, 3, v21
	ds_read2_b64 v[0:3], v25 offset1:33
	ds_read_b64 v[20:21], v20
	ds_read_b128 v[8:11], v26 offset:256
	ds_read_b64 v[38:39], v6 offset:9088
	ds_read_b64 v[40:41], v5
	ds_read_b64 v[42:43], v4 offset:9088
	ds_read_b64 v[44:45], v19 offset:9088
	ds_read_b64 v[46:47], v18
	ds_read_b64 v[48:49], v7 offset:9088
	ds_read_b64 v[18:19], v25 offset:528
	ds_read_b128 v[4:7], v26 offset:272
	s_waitcnt lgkmcnt(5)
	v_pk_mul_f32 v[26:27], v[34:35], v[42:43] op_sel:[1,0]
	v_pk_mul_f32 v[50:51], v[40:41], v[38:39] op_sel:[1,0]
	v_pk_fma_f32 v[56:57], v[34:35], v[42:43], v[26:27] op_sel:[0,0,1] op_sel_hi:[1,1,0]
	v_pk_fma_f32 v[26:27], v[34:35], v[42:43], v[26:27] op_sel:[0,0,1] op_sel_hi:[0,1,0] neg_lo:[0,0,1] neg_hi:[0,0,1]
	v_mov_b32_e32 v57, v27
	v_pk_fma_f32 v[34:35], v[40:41], v[38:39], v[50:51] op_sel:[0,0,1] op_sel_hi:[1,1,0]
	v_pk_fma_f32 v[38:39], v[40:41], v[38:39], v[50:51] op_sel:[0,0,1] op_sel_hi:[0,1,0] neg_lo:[0,0,1] neg_hi:[0,0,1]
	s_waitcnt lgkmcnt(2)
	v_pk_mul_f32 v[52:53], v[36:37], v[48:49] op_sel:[1,0]
	v_pk_add_f32 v[26:27], v[56:57], 0 op_sel_hi:[1,0]
	v_mov_b32_e32 v35, v39
	v_pk_add_f32 v[26:27], v[26:27], v[34:35]
	v_pk_fma_f32 v[34:35], v[36:37], v[48:49], v[52:53] op_sel:[0,0,1] op_sel_hi:[1,1,0]
	v_pk_fma_f32 v[36:37], v[36:37], v[48:49], v[52:53] op_sel:[0,0,1] op_sel_hi:[0,1,0] neg_lo:[0,0,1] neg_hi:[0,0,1]
	v_pk_mul_f32 v[54:55], v[46:47], v[44:45] op_sel:[1,0]
	v_mov_b32_e32 v35, v37
	v_pk_add_f32 v[26:27], v[26:27], v[34:35]
	v_pk_fma_f32 v[34:35], v[46:47], v[44:45], v[54:55] op_sel:[0,0,1] op_sel_hi:[1,1,0]
	v_pk_fma_f32 v[36:37], v[46:47], v[44:45], v[54:55] op_sel:[0,0,1] op_sel_hi:[0,1,0] neg_lo:[0,0,1] neg_hi:[0,0,1]
	v_mov_b32_e32 v35, v37
	v_pk_add_f32 v[26:27], v[26:27], v[34:35]
	s_waitcnt lgkmcnt(0)
	s_barrier
	ds_write_b64 v23, v[26:27]
	s_waitcnt lgkmcnt(0)
	s_barrier
	s_and_saveexec_b64 s[6:7], s[4:5]
	s_cbranch_execz .LBB2_118
; %bb.117:
	ds_read2_b64 v[34:37], v24 offset1:1
	ds_read2_b64 v[38:41], v24 offset0:2 offset1:3
	ds_read2_b64 v[42:45], v24 offset0:6 offset1:7
	s_waitcnt lgkmcnt(2)
	v_pk_add_f32 v[26:27], v[32:33], v[34:35]
	ds_read2_b64 v[32:35], v24 offset0:4 offset1:5
	v_pk_add_f32 v[26:27], v[26:27], v[36:37]
	s_waitcnt lgkmcnt(2)
	v_pk_add_f32 v[26:27], v[26:27], v[38:39]
	s_nop 0
	v_pk_add_f32 v[26:27], v[26:27], v[40:41]
	s_waitcnt lgkmcnt(0)
	v_pk_add_f32 v[26:27], v[26:27], v[32:33]
	s_nop 0
	v_pk_add_f32 v[26:27], v[26:27], v[34:35]
	s_nop 0
	;; [unrolled: 2-line block ×3, first 2 shown]
	v_pk_add_f32 v[32:33], v[26:27], v[44:45]
.LBB2_118:
	s_or_b64 exec, exec, s[6:7]
	v_pk_mul_f32 v[26:27], v[8:9], v[20:21] op_sel:[0,1]
	s_nop 0
	v_pk_fma_f32 v[34:35], v[8:9], v[20:21], v[26:27] op_sel:[0,0,1] op_sel_hi:[1,1,0] neg_lo:[0,0,1] neg_hi:[0,0,1]
	v_pk_fma_f32 v[8:9], v[8:9], v[20:21], v[26:27] op_sel:[0,0,1] op_sel_hi:[1,0,0]
	v_pk_mul_f32 v[20:21], v[10:11], v[0:1] op_sel:[0,1]
	v_mov_b32_e32 v35, v9
	v_pk_fma_f32 v[26:27], v[10:11], v[0:1], v[20:21] op_sel:[0,0,1] op_sel_hi:[1,1,0] neg_lo:[0,0,1] neg_hi:[0,0,1]
	v_pk_fma_f32 v[0:1], v[10:11], v[0:1], v[20:21] op_sel:[0,0,1] op_sel_hi:[1,0,0]
	v_pk_add_f32 v[8:9], v[34:35], 0 op_sel_hi:[1,0]
	v_mov_b32_e32 v27, v1
	v_pk_add_f32 v[0:1], v[8:9], v[26:27]
	v_pk_mul_f32 v[8:9], v[4:5], v[2:3] op_sel:[0,1]
	s_barrier
	v_pk_fma_f32 v[10:11], v[4:5], v[2:3], v[8:9] op_sel:[0,0,1] op_sel_hi:[1,1,0] neg_lo:[0,0,1] neg_hi:[0,0,1]
	v_pk_fma_f32 v[2:3], v[4:5], v[2:3], v[8:9] op_sel:[0,0,1] op_sel_hi:[1,0,0]
	s_nop 0
	v_mov_b32_e32 v11, v3
	v_pk_mul_f32 v[2:3], v[6:7], v[18:19] op_sel:[0,1]
	v_pk_add_f32 v[0:1], v[0:1], v[10:11]
	v_pk_fma_f32 v[4:5], v[6:7], v[18:19], v[2:3] op_sel:[0,0,1] op_sel_hi:[1,1,0] neg_lo:[0,0,1] neg_hi:[0,0,1]
	v_pk_fma_f32 v[2:3], v[6:7], v[18:19], v[2:3] op_sel:[0,0,1] op_sel_hi:[1,0,0]
	s_nop 0
	v_mov_b32_e32 v5, v3
	v_pk_add_f32 v[0:1], v[0:1], v[4:5]
	ds_write_b64 v23, v[0:1]
	s_waitcnt lgkmcnt(0)
	s_barrier
	s_and_saveexec_b64 s[4:5], s[0:1]
	s_cbranch_execz .LBB2_120
; %bb.119:
	ds_read2_b64 v[0:3], v24 offset1:1
	ds_read2_b64 v[4:7], v24 offset0:2 offset1:3
	ds_read2_b64 v[8:11], v24 offset0:4 offset1:5
	s_waitcnt lgkmcnt(2)
	v_pk_add_f32 v[0:1], v[32:33], v[0:1]
	s_nop 0
	v_pk_add_f32 v[18:19], v[0:1], v[2:3]
	ds_read2_b64 v[0:3], v24 offset0:6 offset1:7
	s_waitcnt lgkmcnt(2)
	v_pk_add_f32 v[4:5], v[18:19], v[4:5]
	s_nop 0
	v_pk_add_f32 v[4:5], v[4:5], v[6:7]
	s_waitcnt lgkmcnt(1)
	v_pk_add_f32 v[4:5], v[4:5], v[8:9]
	s_nop 0
	v_pk_add_f32 v[4:5], v[4:5], v[10:11]
	;; [unrolled: 4-line block ×3, first 2 shown]
.LBB2_120:
	s_or_b64 exec, exec, s[4:5]
	s_mul_hi_u32 s0, s36, s3
	s_mul_i32 s37, s37, s3
	s_add_i32 s0, s0, s37
	s_mul_i32 s3, s36, s3
	s_mul_i32 s0, s0, s33
	s_mul_hi_u32 s1, s3, s33
	s_add_i32 s1, s1, s0
	s_mul_i32 s0, s3, s33
	s_lshl_b64 s[0:1], s[0:1], 3
	s_add_u32 s3, s18, s0
	s_addc_u32 s4, s19, s1
	s_mul_hi_i32 s1, s36, s2
	s_mul_i32 s0, s36, s2
	s_lshl_b64 s[0:1], s[0:1], 3
	s_add_u32 s6, s3, s0
	s_addc_u32 s7, s4, s1
	s_add_i32 s8, s2, 1
	s_cmp_ge_u32 s8, s33
	v_lshlrev_b32_e32 v31, 3, v30
	s_barrier
	s_cbranch_scc1 .LBB2_178
; %bb.121:
	s_mul_i32 s0, s24, s35
	v_and_b32_e32 v4, 48, v30
	s_ashr_i32 s1, s0, 31
	v_and_b32_e32 v2, 15, v30
	s_lshl_b32 s4, s22, 4
	v_lshlrev_b32_e32 v5, 3, v4
	s_movk_i32 s9, 0x218
	s_lshl_b64 s[0:1], s[0:1], 3
	v_lshrrev_b32_e32 v3, 4, v22
	s_lshl_b32 s17, s35, 6
	s_ashr_i32 s5, s4, 31
	v_mad_u32_u24 v139, v2, s9, v5
	v_or_b32_e32 v5, 0x78, v31
	s_ashr_i32 s23, s22, 31
	s_lshl_b32 s18, s22, 1
	s_mul_i32 s28, s22, 3
	s_mul_i32 s35, s35, s8
	v_lshlrev_b32_e32 v123, 2, v29
	v_mov_b32_e32 v0, s1
	v_subrev_co_u32_e32 v34, vcc, s0, v12
	s_add_i32 s3, s33, -2
	v_mad_u32_u24 v140, v2, s9, v5
	v_lshlrev_b32_e32 v5, 5, v3
	s_ashr_i32 s19, s18, 31
	v_mul_i32_i24_e32 v6, 0xffffffe8, v3
	s_ashr_i32 s29, s28, 31
	s_lshl_b64 s[14:15], s[22:23], 3
	s_lshl_b32 s8, s35, 6
	v_add_u32_e32 v3, s24, v4
	s_lshl_b64 s[24:25], s[26:27], 3
	s_lshl_b64 s[10:11], s[4:5], 5
	;; [unrolled: 1-line block ×3, first 2 shown]
	v_subb_co_u32_e32 v35, vcc, v13, v0, vcc
	v_mad_u64_u32 v[0:1], s[0:1], v123, s22, v[30:31]
	v_mad_u32_u24 v141, v2, s9, v5
	v_add3_u32 v36, v3, v2, 64
	v_lshlrev_b64 v[2:3], 3, v[14:15]
	s_add_u32 s36, s30, s24
	v_ashrrev_i32_e32 v1, 31, v0
	v_sub_co_u32_e32 v38, vcc, 0, v2
	s_addc_u32 s37, s31, s25
	v_mov_b32_e32 v5, 0x2180
	v_subb_co_u32_e32 v39, vcc, 0, v3, vcc
	v_lshlrev_b64 v[2:3], 3, v[0:1]
	s_add_u32 s38, s14, s24
	v_lshl_add_u32 v145, v29, 5, v5
	v_lshl_add_u64 v[4:5], s[24:25], 0, v[2:3]
	s_addc_u32 s39, s15, s25
	s_lshl_b64 s[18:19], s[18:19], 3
	v_lshl_add_u64 v[40:41], v[16:17], 0, v[4:5]
	v_lshl_add_u64 v[4:5], s[36:37], 0, v[2:3]
	s_add_u32 s40, s24, s18
	v_lshl_add_u64 v[42:43], v[16:17], 0, v[4:5]
	v_lshl_add_u64 v[4:5], s[38:39], 0, v[2:3]
	s_addc_u32 s41, s25, s19
	s_lshl_b64 s[28:29], s[28:29], 3
	v_lshl_add_u64 v[44:45], v[16:17], 0, v[4:5]
	v_lshl_add_u64 v[4:5], s[40:41], 0, v[2:3]
	s_add_u32 s40, s24, s28
	s_addc_u32 s41, s25, s29
	v_lshl_add_u64 v[46:47], v[16:17], 0, v[4:5]
	v_lshl_add_u64 v[4:5], s[40:41], 0, v[2:3]
	s_lshl_b64 s[40:41], s[4:5], 3
	s_add_u32 s42, s24, s40
	s_addc_u32 s43, s25, s41
	s_add_u32 s38, s38, s40
	v_lshl_add_u64 v[48:49], v[16:17], 0, v[4:5]
	v_lshl_add_u64 v[4:5], s[42:43], 0, v[2:3]
	s_addc_u32 s39, s39, s41
	v_lshl_add_u64 v[50:51], v[16:17], 0, v[4:5]
	v_lshl_add_u64 v[4:5], s[38:39], 0, v[2:3]
	s_add_u32 s38, s42, s18
	s_addc_u32 s39, s43, s19
	v_lshl_add_u64 v[52:53], v[16:17], 0, v[4:5]
	v_lshl_add_u64 v[4:5], s[38:39], 0, v[2:3]
	s_add_u32 s38, s36, s40
	;; [unrolled: 4-line block ×3, first 2 shown]
	s_addc_u32 s39, s43, s29
	v_lshl_add_u64 v[56:57], v[16:17], 0, v[4:5]
	v_lshl_add_u64 v[4:5], s[38:39], 0, v[2:3]
	s_lshl_b64 s[38:39], s[4:5], 4
	s_add_u32 s24, s38, s24
	s_addc_u32 s25, s39, s25
	s_add_u32 s40, s24, s14
	v_lshl_add_u64 v[58:59], v[16:17], 0, v[4:5]
	v_lshl_add_u64 v[4:5], s[24:25], 0, v[2:3]
	s_addc_u32 s41, s25, s15
	v_lshl_add_u64 v[60:61], v[16:17], 0, v[4:5]
	v_lshl_add_u64 v[4:5], s[40:41], 0, v[2:3]
	s_add_u32 s40, s24, s18
	s_addc_u32 s41, s25, s19
	s_add_u32 s36, s36, s38
	s_addc_u32 s37, s37, s39
	s_add_u32 s24, s24, s28
	v_lshl_add_u64 v[62:63], v[16:17], 0, v[4:5]
	v_lshl_add_u64 v[4:5], s[40:41], 0, v[2:3]
	s_addc_u32 s25, s25, s29
	v_lshl_add_u64 v[0:1], s[26:27], 0, v[0:1]
	s_movk_i32 s9, 0x860
	v_lshl_add_u64 v[64:65], v[16:17], 0, v[4:5]
	v_lshl_add_u64 v[4:5], s[36:37], 0, v[2:3]
	;; [unrolled: 1-line block ×3, first 2 shown]
	v_lshlrev_b64 v[0:1], 3, v[0:1]
	v_mad_u32_u24 v146, v29, s9, v31
	v_lshl_add_u64 v[68:69], v[16:17], 0, v[2:3]
	s_mul_i32 s9, s22, 0x180
	s_mul_hi_i32 s22, s4, 24
	v_mad_i64_i32 v[2:3], s[4:5], s4, 24, v[0:1]
	s_add_u32 s4, s9, s30
	s_addc_u32 s5, s22, s31
	v_lshl_add_u64 v[66:67], v[16:17], 0, v[4:5]
	v_lshl_add_u64 v[4:5], v[2:3], 0, s[14:15]
	v_lshl_add_u64 v[0:1], s[4:5], 0, v[0:1]
	v_lshl_add_u64 v[72:73], v[16:17], 0, v[4:5]
	v_lshl_add_u64 v[4:5], v[2:3], 0, s[18:19]
	v_lshl_add_u64 v[76:77], v[16:17], 0, v[0:1]
	v_lshl_add_u64 v[0:1], v[2:3], 0, s[28:29]
	v_add_u32_e32 v137, 0x2180, v31
	v_add_u32_e32 v138, 0x2380, v31
	v_cmp_gt_u32_e64 s[0:1], 64, v22
	v_or_b32_e32 v142, 1, v123
	v_or_b32_e32 v143, 2, v123
	;; [unrolled: 1-line block ×3, first 2 shown]
	v_add_u32_e32 v147, 16, v123
	v_add_u32_e32 v148, 17, v123
	v_add_u32_e32 v149, 18, v123
	v_add_u32_e32 v150, 19, v123
	v_add_u32_e32 v151, 32, v123
	v_add_u32_e32 v152, 33, v123
	v_add_u32_e32 v153, 34, v123
	v_add_u32_e32 v154, 35, v123
	v_add_u32_e32 v155, 48, v123
	v_add_u32_e32 v156, 49, v123
	v_add_u32_e32 v157, 50, v123
	v_add_u32_e32 v158, 51, v123
	v_lshl_add_u64 v[70:71], v[16:17], 0, v[2:3]
	v_lshl_add_u64 v[74:75], v[16:17], 0, v[4:5]
	v_lshl_add_u64 v[78:79], v[16:17], 0, v[0:1]
	s_mov_b32 s14, 0
	v_add_u32_e32 v159, v141, v6
	v_mov_b32_e32 v80, 0
	s_branch .LBB2_123
.LBB2_122:                              ;   in Loop: Header=BB2_123 Depth=1
	s_or_b64 exec, exec, s[4:5]
	v_mul_f32_e32 v0, v83, v91
	v_fma_f32 v0, v82, v90, -v0
	v_mul_f32_e32 v2, v85, v93
	v_add_f32_e32 v0, v32, v0
	v_fma_f32 v2, v84, v92, -v2
	v_add_f32_e32 v0, v0, v2
	v_mul_f32_e32 v2, v87, v95
	v_fma_f32 v2, v86, v94, -v2
	v_mul_f32_e32 v1, v82, v91
	v_add_f32_e32 v0, v0, v2
	v_mul_f32_e32 v2, v89, v97
	v_mul_f32_e32 v3, v84, v93
	v_fma_f32 v2, v88, v96, -v2
	v_fmac_f32_e32 v1, v83, v90
	v_mul_f32_e32 v4, v86, v95
	v_add_f32_e32 v0, v0, v2
	v_add_f32_e32 v1, v33, v1
	v_fmac_f32_e32 v3, v85, v92
	v_mul_f32_e32 v2, v99, v107
	v_mul_f32_e32 v5, v88, v97
	v_add_f32_e32 v1, v1, v3
	v_fmac_f32_e32 v4, v87, v94
	v_fma_f32 v2, v98, v106, -v2
	v_add_f32_e32 v1, v1, v4
	v_fmac_f32_e32 v5, v89, v96
	v_mul_f32_e32 v6, v98, v107
	v_add_f32_e32 v0, v0, v2
	v_mul_f32_e32 v2, v101, v109
	v_add_f32_e32 v1, v1, v5
	v_fma_f32 v2, v100, v108, -v2
	v_mul_f32_e32 v7, v100, v109
	v_fmac_f32_e32 v6, v99, v106
	v_add_f32_e32 v0, v0, v2
	v_mul_f32_e32 v2, v103, v111
	v_mul_f32_e32 v3, v102, v111
	v_add_f32_e32 v1, v1, v6
	v_fmac_f32_e32 v7, v101, v108
	v_fma_f32 v2, v102, v110, -v2
	v_mul_f32_e32 v4, v105, v113
	v_mul_f32_e32 v5, v104, v113
	v_add_f32_e32 v1, v1, v7
	v_fmac_f32_e32 v3, v103, v110
	v_fma_f32 v4, v104, v112, -v4
	v_pk_add_f32 v[0:1], v[0:1], v[2:3]
	v_fmac_f32_e32 v5, v105, v112
	v_pk_mul_f32 v[2:3], v[114:115], v[124:125] op_sel:[1,0]
	v_pk_add_f32 v[0:1], v[0:1], v[4:5]
	v_pk_fma_f32 v[4:5], v[114:115], v[124:125], v[2:3] op_sel:[0,0,1] op_sel_hi:[1,1,0] neg_lo:[0,0,1] neg_hi:[0,0,1]
	v_pk_fma_f32 v[2:3], v[114:115], v[124:125], v[2:3] op_sel:[0,0,1] op_sel_hi:[0,1,0]
	v_mov_b32_e32 v5, v3
	v_pk_mul_f32 v[2:3], v[116:117], v[8:9] op_sel:[1,0]
	v_pk_add_f32 v[0:1], v[0:1], v[4:5]
	v_pk_fma_f32 v[4:5], v[116:117], v[8:9], v[2:3] op_sel:[0,0,1] op_sel_hi:[1,1,0] neg_lo:[0,0,1] neg_hi:[0,0,1]
	v_pk_fma_f32 v[2:3], v[116:117], v[8:9], v[2:3] op_sel:[0,0,1] op_sel_hi:[0,1,0]
	v_mov_b32_e32 v5, v3
	;; [unrolled: 5-line block ×3, first 2 shown]
	v_pk_mul_f32 v[2:3], v[122:123], v[126:127] op_sel_hi:[0,1]
	v_pk_add_f32 v[0:1], v[0:1], v[4:5]
	v_pk_fma_f32 v[4:5], v[120:121], v[126:127], v[2:3] op_sel:[0,0,1] op_sel_hi:[1,1,0] neg_lo:[0,0,1] neg_hi:[0,0,1]
	v_pk_fma_f32 v[2:3], v[120:121], v[126:127], v[2:3] op_sel:[0,0,1] op_sel_hi:[0,1,0]
	v_mov_b32_e32 v5, v3
	v_pk_mul_f32 v[2:3], v[128:129], v[16:17] op_sel:[1,0]
	v_pk_add_f32 v[0:1], v[0:1], v[4:5]
	v_pk_fma_f32 v[4:5], v[128:129], v[16:17], v[2:3] op_sel:[0,0,1] op_sel_hi:[1,1,0] neg_lo:[0,0,1] neg_hi:[0,0,1]
	v_pk_fma_f32 v[2:3], v[128:129], v[16:17], v[2:3] op_sel:[0,0,1] op_sel_hi:[0,1,0]
	v_mov_b32_e32 v5, v3
	v_pk_mul_f32 v[2:3], v[130:131], v[18:19] op_sel:[1,0]
	;; [unrolled: 5-line block ×3, first 2 shown]
	v_pk_add_f32 v[0:1], v[0:1], v[6:7]
	v_pk_fma_f32 v[8:9], v[132:133], v[12:13], v[2:3] op_sel:[0,0,1] op_sel_hi:[1,1,0] neg_lo:[0,0,1] neg_hi:[0,0,1]
	v_pk_fma_f32 v[2:3], v[132:133], v[12:13], v[2:3] op_sel:[0,0,1] op_sel_hi:[0,1,0]
	v_mov_b32_e32 v9, v3
	v_pk_mul_f32 v[2:3], v[136:137], v[14:15] op_sel_hi:[0,1]
	v_pk_fma_f32 v[10:11], v[134:135], v[14:15], v[2:3] op_sel:[0,0,1] op_sel_hi:[1,1,0] neg_lo:[0,0,1] neg_hi:[0,0,1]
	v_pk_fma_f32 v[2:3], v[134:135], v[14:15], v[2:3] op_sel:[0,0,1] op_sel_hi:[0,1,0]
	v_mov_b32_e32 v11, v3
	v_pk_add_f32 v[0:1], v[0:1], v[8:9]
	s_add_i32 s4, s2, 1
	s_add_i32 s8, s8, s17
	s_add_i32 s2, s2, 2
	v_pk_add_f32 v[32:33], v[0:1], v[10:11]
	v_add_u32_e32 v36, 64, v36
	v_lshl_add_u64 v[40:41], v[40:41], 0, s[10:11]
	v_lshl_add_u64 v[42:43], v[42:43], 0, s[10:11]
	;; [unrolled: 1-line block ×20, first 2 shown]
	s_cmp_ge_u32 s2, s33
	s_mov_b32 s2, s4
	s_barrier
	s_cbranch_scc1 .LBB2_178
.LBB2_123:                              ; =>This Inner Loop Header: Depth=1
	s_cmp_eq_u32 s3, s2
	s_cselect_b32 s26, s34, 0
	s_and_saveexec_b64 s[4:5], s[12:13]
	s_cbranch_execz .LBB2_128
; %bb.124:                              ;   in Loop: Header=BB2_123 Depth=1
	s_cmp_lg_u32 s26, 0
	s_cselect_b64 s[18:19], -1, 0
	v_cmp_le_i32_e32 vcc, s26, v30
	s_and_b64 s[18:19], s[18:19], vcc
	s_and_saveexec_b64 s[22:23], s[18:19]
	s_xor_b64 s[18:19], exec, s[22:23]
	s_cbranch_execz .LBB2_126
; %bb.125:                              ;   in Loop: Header=BB2_123 Depth=1
	v_mov_b32_e32 v81, v80
	ds_write_b64 v137, v[80:81]
.LBB2_126:                              ;   in Loop: Header=BB2_123 Depth=1
	s_andn2_saveexec_b64 s[18:19], s[18:19]
	s_cbranch_execz .LBB2_128
; %bb.127:                              ;   in Loop: Header=BB2_123 Depth=1
	s_ashr_i32 s9, s8, 31
	v_lshl_add_u64 v[0:1], s[8:9], 3, v[34:35]
	global_load_dwordx2 v[0:1], v[0:1], off
	s_waitcnt vmcnt(0)
	ds_write_b64 v137, v[0:1]
.LBB2_128:                              ;   in Loop: Header=BB2_123 Depth=1
	s_or_b64 exec, exec, s[4:5]
	s_cmp_eq_u32 s26, 0
	s_cselect_b64 s[18:19], -1, 0
	s_cmp_lg_u32 s26, 0
	s_cselect_b64 s[22:23], -1, 0
	v_lshl_add_u64 v[0:1], v[40:41], 0, v[38:39]
	s_and_b64 vcc, exec, s[22:23]
	s_waitcnt lgkmcnt(0)
	s_barrier
	s_cbranch_vccz .LBB2_136
; %bb.129:                              ;   in Loop: Header=BB2_123 Depth=1
	s_mov_b32 s15, s14
	v_cmp_gt_i32_e32 vcc, s26, v123
	v_mov_b64_e32 v[82:83], s[14:15]
	s_and_saveexec_b64 s[4:5], vcc
	s_cbranch_execz .LBB2_131
; %bb.130:                              ;   in Loop: Header=BB2_123 Depth=1
	global_load_dwordx2 v[82:83], v[0:1], off
.LBB2_131:                              ;   in Loop: Header=BB2_123 Depth=1
	s_or_b64 exec, exec, s[4:5]
	v_cmp_gt_i32_e32 vcc, s26, v142
	v_mov_b64_e32 v[84:85], s[14:15]
	s_and_saveexec_b64 s[4:5], vcc
	s_cbranch_execz .LBB2_133
; %bb.132:                              ;   in Loop: Header=BB2_123 Depth=1
	v_lshl_add_u64 v[2:3], v[44:45], 0, v[38:39]
	global_load_dwordx2 v[84:85], v[2:3], off
.LBB2_133:                              ;   in Loop: Header=BB2_123 Depth=1
	s_or_b64 exec, exec, s[4:5]
	s_mov_b32 s15, s14
	v_cmp_gt_i32_e32 vcc, s26, v143
	v_mov_b64_e32 v[86:87], s[14:15]
	s_and_saveexec_b64 s[4:5], vcc
	s_cbranch_execz .LBB2_135
; %bb.134:                              ;   in Loop: Header=BB2_123 Depth=1
	v_lshl_add_u64 v[2:3], v[46:47], 0, v[38:39]
	global_load_dwordx2 v[86:87], v[2:3], off
.LBB2_135:                              ;   in Loop: Header=BB2_123 Depth=1
	s_or_b64 exec, exec, s[4:5]
	v_cmp_gt_i32_e64 s[4:5], s26, v144
	s_mov_b32 s9, 0
	s_branch .LBB2_138
.LBB2_136:                              ;   in Loop: Header=BB2_123 Depth=1
	s_mov_b64 s[4:5], 0
                                        ; implicit-def: $sgpr9
                                        ; implicit-def: $vgpr86_vgpr87
                                        ; implicit-def: $vgpr84_vgpr85
                                        ; implicit-def: $vgpr82_vgpr83
	s_cbranch_execz .LBB2_138
; %bb.137:                              ;   in Loop: Header=BB2_123 Depth=1
	global_load_dwordx2 v[82:83], v[0:1], off
	v_lshl_add_u64 v[0:1], v[44:45], 0, v[38:39]
	global_load_dwordx2 v[84:85], v[0:1], off
	v_lshl_add_u64 v[0:1], v[42:43], 0, v[38:39]
	global_load_dwordx2 v[86:87], v[0:1], off
	s_or_b64 s[4:5], s[4:5], exec
                                        ; implicit-def: $sgpr9
.LBB2_138:                              ;   in Loop: Header=BB2_123 Depth=1
	v_mov_b32_e32 v88, s9
	v_mov_b32_e32 v89, s9
	s_and_saveexec_b64 s[24:25], s[4:5]
	s_cbranch_execz .LBB2_140
; %bb.139:                              ;   in Loop: Header=BB2_123 Depth=1
	v_lshl_add_u64 v[0:1], v[48:49], 0, v[38:39]
	global_load_dwordx2 v[88:89], v[0:1], off
.LBB2_140:                              ;   in Loop: Header=BB2_123 Depth=1
	s_or_b64 exec, exec, s[24:25]
	ds_read_b64 v[0:1], v138
	ds_read_b64 v[90:91], v145
	v_cndmask_b32_e64 v8, 0, 1, s[22:23]
	v_cmp_ne_u32_e64 s[4:5], 1, v8
	s_andn2_b64 vcc, exec, s[22:23]
	s_waitcnt vmcnt(0) lgkmcnt(1)
	v_mul_f32_e32 v2, v83, v1
	v_mul_f32_e32 v3, v83, v0
	v_fmac_f32_e32 v2, v82, v0
	v_fma_f32 v3, v82, v1, -v3
	v_mul_f32_e32 v4, v85, v1
	ds_write_b64 v146, v[2:3]
	v_mul_f32_e32 v2, v85, v0
	v_fmac_f32_e32 v4, v84, v0
	v_fma_f32 v5, v84, v1, -v2
	v_mul_f32_e32 v2, v87, v1
	v_mul_f32_e32 v3, v87, v0
	ds_read_b64 v[92:93], v145 offset:8
	ds_write_b64 v146, v[4:5] offset:536
	v_fmac_f32_e32 v2, v86, v0
	v_fma_f32 v3, v86, v1, -v3
	ds_read_b64 v[94:95], v145 offset:16
	ds_write_b64 v146, v[2:3] offset:1072
	v_mul_f32_e32 v2, v89, v1
	v_fmac_f32_e32 v2, v88, v0
	v_mul_f32_e32 v0, v89, v0
	v_fma_f32 v3, v88, v1, -v0
	ds_read_b64 v[96:97], v145 offset:24
	ds_write_b64 v146, v[2:3] offset:1608
	s_waitcnt lgkmcnt(0)
	s_barrier
	ds_read2_b64 v[4:7], v141 offset1:1
	ds_read2_b64 v[0:3], v141 offset0:2 offset1:3
	v_lshl_add_u64 v[8:9], v[50:51], 0, v[38:39]
	s_waitcnt lgkmcnt(0)
	s_barrier
	s_cbranch_vccnz .LBB2_148
; %bb.141:                              ;   in Loop: Header=BB2_123 Depth=1
	s_mov_b32 s15, s14
	v_cmp_gt_i32_e32 vcc, s26, v147
	v_mov_b64_e32 v[98:99], s[14:15]
	s_and_saveexec_b64 s[22:23], vcc
	s_cbranch_execz .LBB2_143
; %bb.142:                              ;   in Loop: Header=BB2_123 Depth=1
	global_load_dwordx2 v[98:99], v[8:9], off
.LBB2_143:                              ;   in Loop: Header=BB2_123 Depth=1
	s_or_b64 exec, exec, s[22:23]
	v_cmp_gt_i32_e32 vcc, s26, v148
	v_mov_b64_e32 v[100:101], s[14:15]
	s_and_saveexec_b64 s[22:23], vcc
	s_cbranch_execz .LBB2_145
; %bb.144:                              ;   in Loop: Header=BB2_123 Depth=1
	v_lshl_add_u64 v[10:11], v[52:53], 0, v[38:39]
	global_load_dwordx2 v[100:101], v[10:11], off
.LBB2_145:                              ;   in Loop: Header=BB2_123 Depth=1
	s_or_b64 exec, exec, s[22:23]
	s_mov_b32 s15, s14
	v_cmp_gt_i32_e32 vcc, s26, v149
	v_mov_b64_e32 v[102:103], s[14:15]
	s_and_saveexec_b64 s[22:23], vcc
	s_cbranch_execz .LBB2_147
; %bb.146:                              ;   in Loop: Header=BB2_123 Depth=1
	v_lshl_add_u64 v[10:11], v[54:55], 0, v[38:39]
	global_load_dwordx2 v[102:103], v[10:11], off
.LBB2_147:                              ;   in Loop: Header=BB2_123 Depth=1
	s_or_b64 exec, exec, s[22:23]
	v_cmp_gt_i32_e64 s[22:23], s26, v150
	s_mov_b32 s9, 0
	s_branch .LBB2_150
.LBB2_148:                              ;   in Loop: Header=BB2_123 Depth=1
	s_mov_b64 s[22:23], 0
                                        ; implicit-def: $sgpr9
                                        ; implicit-def: $vgpr102_vgpr103
                                        ; implicit-def: $vgpr100_vgpr101
                                        ; implicit-def: $vgpr98_vgpr99
	s_cbranch_execz .LBB2_150
; %bb.149:                              ;   in Loop: Header=BB2_123 Depth=1
	global_load_dwordx2 v[98:99], v[8:9], off
	v_lshl_add_u64 v[8:9], v[52:53], 0, v[38:39]
	global_load_dwordx2 v[100:101], v[8:9], off
	v_lshl_add_u64 v[8:9], v[56:57], 0, v[38:39]
	global_load_dwordx2 v[102:103], v[8:9], off
	s_or_b64 s[22:23], s[22:23], exec
                                        ; implicit-def: $sgpr9
.LBB2_150:                              ;   in Loop: Header=BB2_123 Depth=1
	v_mov_b32_e32 v104, s9
	v_mov_b32_e32 v105, s9
	s_and_saveexec_b64 s[24:25], s[22:23]
	s_cbranch_execz .LBB2_152
; %bb.151:                              ;   in Loop: Header=BB2_123 Depth=1
	v_lshl_add_u64 v[8:9], v[58:59], 0, v[38:39]
	global_load_dwordx2 v[104:105], v[8:9], off
.LBB2_152:                              ;   in Loop: Header=BB2_123 Depth=1
	s_or_b64 exec, exec, s[24:25]
	ds_read_b64 v[8:9], v138
	ds_read_b64 v[106:107], v145 offset:128
	s_and_b64 vcc, exec, s[4:5]
	s_waitcnt vmcnt(0) lgkmcnt(1)
	v_mul_f32_e32 v10, v99, v9
	v_mul_f32_e32 v11, v99, v8
	v_fmac_f32_e32 v10, v98, v8
	v_fma_f32 v11, v98, v9, -v11
	v_mul_f32_e32 v12, v101, v9
	ds_write_b64 v146, v[10:11]
	v_mul_f32_e32 v10, v101, v8
	v_fmac_f32_e32 v12, v100, v8
	v_fma_f32 v13, v100, v9, -v10
	v_mul_f32_e32 v10, v103, v9
	v_mul_f32_e32 v11, v103, v8
	ds_read_b64 v[108:109], v145 offset:136
	ds_write_b64 v146, v[12:13] offset:536
	v_fmac_f32_e32 v10, v102, v8
	v_fma_f32 v11, v102, v9, -v11
	ds_read_b64 v[110:111], v145 offset:144
	ds_write_b64 v146, v[10:11] offset:1072
	v_mul_f32_e32 v10, v105, v9
	v_fmac_f32_e32 v10, v104, v8
	v_mul_f32_e32 v8, v105, v8
	v_fma_f32 v11, v104, v9, -v8
	ds_read_b64 v[112:113], v145 offset:152
	ds_write_b64 v146, v[10:11] offset:1608
	s_waitcnt lgkmcnt(0)
	s_barrier
	ds_read2_b64 v[16:19], v141 offset1:1
	ds_read2_b64 v[12:15], v141 offset0:2 offset1:3
	v_lshl_add_u64 v[8:9], v[60:61], 0, v[38:39]
	s_waitcnt lgkmcnt(0)
	s_barrier
	s_cbranch_vccnz .LBB2_160
; %bb.153:                              ;   in Loop: Header=BB2_123 Depth=1
	s_mov_b32 s15, s14
	v_cmp_gt_i32_e32 vcc, s26, v151
	v_mov_b64_e32 v[114:115], s[14:15]
	s_and_saveexec_b64 s[22:23], vcc
	s_cbranch_execz .LBB2_155
; %bb.154:                              ;   in Loop: Header=BB2_123 Depth=1
	global_load_dwordx2 v[114:115], v[8:9], off
.LBB2_155:                              ;   in Loop: Header=BB2_123 Depth=1
	s_or_b64 exec, exec, s[22:23]
	v_cmp_gt_i32_e32 vcc, s26, v152
	v_mov_b64_e32 v[116:117], s[14:15]
	s_and_saveexec_b64 s[22:23], vcc
	s_cbranch_execz .LBB2_157
; %bb.156:                              ;   in Loop: Header=BB2_123 Depth=1
	v_lshl_add_u64 v[10:11], v[62:63], 0, v[38:39]
	global_load_dwordx2 v[116:117], v[10:11], off
.LBB2_157:                              ;   in Loop: Header=BB2_123 Depth=1
	s_or_b64 exec, exec, s[22:23]
	s_mov_b32 s15, s14
	v_cmp_gt_i32_e32 vcc, s26, v153
	v_mov_b64_e32 v[118:119], s[14:15]
	s_and_saveexec_b64 s[22:23], vcc
	s_cbranch_execz .LBB2_159
; %bb.158:                              ;   in Loop: Header=BB2_123 Depth=1
	v_lshl_add_u64 v[10:11], v[64:65], 0, v[38:39]
	global_load_dwordx2 v[118:119], v[10:11], off
.LBB2_159:                              ;   in Loop: Header=BB2_123 Depth=1
	s_or_b64 exec, exec, s[22:23]
	v_cmp_gt_i32_e64 s[22:23], s26, v154
	s_mov_b32 s9, 0
	s_branch .LBB2_162
.LBB2_160:                              ;   in Loop: Header=BB2_123 Depth=1
	s_mov_b64 s[22:23], 0
                                        ; implicit-def: $sgpr9
                                        ; implicit-def: $vgpr118_vgpr119
                                        ; implicit-def: $vgpr116_vgpr117
                                        ; implicit-def: $vgpr114_vgpr115
	s_cbranch_execz .LBB2_162
; %bb.161:                              ;   in Loop: Header=BB2_123 Depth=1
	global_load_dwordx2 v[114:115], v[8:9], off
	v_lshl_add_u64 v[8:9], v[62:63], 0, v[38:39]
	global_load_dwordx2 v[116:117], v[8:9], off
	v_lshl_add_u64 v[8:9], v[66:67], 0, v[38:39]
	global_load_dwordx2 v[118:119], v[8:9], off
	s_or_b64 s[22:23], s[22:23], exec
                                        ; implicit-def: $sgpr9
.LBB2_162:                              ;   in Loop: Header=BB2_123 Depth=1
	v_mov_b32_e32 v120, s9
	v_mov_b32_e32 v122, s9
	s_and_saveexec_b64 s[24:25], s[22:23]
	s_cbranch_execz .LBB2_164
; %bb.163:                              ;   in Loop: Header=BB2_123 Depth=1
	v_lshl_add_u64 v[8:9], v[68:69], 0, v[38:39]
	global_load_dwordx2 v[120:121], v[8:9], off
	s_waitcnt vmcnt(0)
	v_mov_b32_e32 v122, v121
.LBB2_164:                              ;   in Loop: Header=BB2_123 Depth=1
	s_or_b64 exec, exec, s[24:25]
	ds_read_b64 v[8:9], v138
	ds_read_b64 v[124:125], v145 offset:256
	s_and_b64 vcc, exec, s[4:5]
	v_lshl_add_u64 v[134:135], v[70:71], 0, v[38:39]
	s_waitcnt vmcnt(0) lgkmcnt(1)
	v_mul_f32_e32 v10, v115, v9
	v_mul_f32_e32 v11, v115, v8
	;; [unrolled: 1-line block ×4, first 2 shown]
	v_fmac_f32_e32 v10, v114, v8
	v_fma_f32 v11, v114, v9, -v11
	v_fmac_f32_e32 v20, v116, v8
	v_fma_f32 v21, v116, v9, -v21
	ds_write2_b64 v146, v[10:11], v[20:21] offset1:67
	v_mul_f32_e32 v10, v119, v9
	v_mul_f32_e32 v20, v122, v9
	v_fmac_f32_e32 v10, v118, v8
	v_mul_f32_e32 v11, v119, v8
	v_fmac_f32_e32 v20, v120, v8
	v_mul_f32_e32 v8, v122, v8
	v_fma_f32 v11, v118, v9, -v11
	v_fma_f32 v21, v120, v9, -v8
	ds_write2_b64 v146, v[10:11], v[20:21] offset0:134 offset1:201
	ds_read2_b64 v[8:11], v145 offset0:33 offset1:34
	ds_read_b64 v[126:127], v145 offset:280
	s_waitcnt lgkmcnt(0)
	s_barrier
	ds_read2_b64 v[24:27], v141 offset1:1
	ds_read2_b64 v[20:23], v141 offset0:2 offset1:3
	s_waitcnt lgkmcnt(0)
	s_barrier
	s_cbranch_vccnz .LBB2_172
; %bb.165:                              ;   in Loop: Header=BB2_123 Depth=1
	s_mov_b32 s15, s14
	v_cmp_gt_i32_e32 vcc, s26, v155
	v_mov_b64_e32 v[128:129], s[14:15]
	s_and_saveexec_b64 s[4:5], vcc
	s_cbranch_execz .LBB2_167
; %bb.166:                              ;   in Loop: Header=BB2_123 Depth=1
	global_load_dwordx2 v[128:129], v[134:135], off
.LBB2_167:                              ;   in Loop: Header=BB2_123 Depth=1
	s_or_b64 exec, exec, s[4:5]
	v_cmp_gt_i32_e32 vcc, s26, v156
	v_mov_b64_e32 v[130:131], s[14:15]
	s_and_saveexec_b64 s[4:5], vcc
	s_cbranch_execz .LBB2_169
; %bb.168:                              ;   in Loop: Header=BB2_123 Depth=1
	v_lshl_add_u64 v[130:131], v[72:73], 0, v[38:39]
	global_load_dwordx2 v[130:131], v[130:131], off
.LBB2_169:                              ;   in Loop: Header=BB2_123 Depth=1
	s_or_b64 exec, exec, s[4:5]
	s_mov_b32 s15, s14
	v_cmp_gt_i32_e32 vcc, s26, v157
	v_mov_b64_e32 v[132:133], s[14:15]
	s_and_saveexec_b64 s[4:5], vcc
	s_cbranch_execz .LBB2_171
; %bb.170:                              ;   in Loop: Header=BB2_123 Depth=1
	v_lshl_add_u64 v[132:133], v[74:75], 0, v[38:39]
	global_load_dwordx2 v[132:133], v[132:133], off
.LBB2_171:                              ;   in Loop: Header=BB2_123 Depth=1
	s_or_b64 exec, exec, s[4:5]
	v_cmp_gt_i32_e64 s[4:5], s26, v158
	s_mov_b32 s9, 0
	s_branch .LBB2_174
.LBB2_172:                              ;   in Loop: Header=BB2_123 Depth=1
	s_mov_b64 s[4:5], 0
                                        ; implicit-def: $sgpr9
                                        ; implicit-def: $vgpr132_vgpr133
                                        ; implicit-def: $vgpr130_vgpr131
                                        ; implicit-def: $vgpr128_vgpr129
	s_cbranch_execz .LBB2_174
; %bb.173:                              ;   in Loop: Header=BB2_123 Depth=1
	s_waitcnt vmcnt(0)
	v_lshl_add_u64 v[130:131], v[72:73], 0, v[38:39]
	v_lshl_add_u64 v[132:133], v[76:77], 0, v[38:39]
	global_load_dwordx2 v[128:129], v[134:135], off
	s_or_b64 s[4:5], s[4:5], exec
	global_load_dwordx2 v[130:131], v[130:131], off
                                        ; implicit-def: $sgpr9
	s_nop 0
	global_load_dwordx2 v[132:133], v[132:133], off
.LBB2_174:                              ;   in Loop: Header=BB2_123 Depth=1
	v_mov_b32_e32 v134, s9
	v_mov_b32_e32 v136, s9
	s_and_saveexec_b64 s[22:23], s[4:5]
	s_cbranch_execz .LBB2_176
; %bb.175:                              ;   in Loop: Header=BB2_123 Depth=1
	v_lshl_add_u64 v[134:135], v[78:79], 0, v[38:39]
	global_load_dwordx2 v[134:135], v[134:135], off
	s_waitcnt vmcnt(0)
	v_mov_b32_e32 v136, v135
.LBB2_176:                              ;   in Loop: Header=BB2_123 Depth=1
	s_or_b64 exec, exec, s[22:23]
	v_pk_add_f32 v[24:25], v[24:25], 0 op_sel_hi:[1,0]
	v_pk_add_f32 v[16:17], v[16:17], 0 op_sel_hi:[1,0]
	v_pk_add_f32 v[24:25], v[24:25], v[26:27]
	v_pk_add_f32 v[16:17], v[16:17], v[18:19]
	;; [unrolled: 1-line block ×5, first 2 shown]
	ds_read_b64 v[20:21], v138
	v_pk_add_f32 v[26:27], v[12:13], v[14:15]
	v_pk_add_f32 v[4:5], v[4:5], 0 op_sel_hi:[1,0]
	v_cmp_gt_i32_e32 vcc, s26, v30
	v_pk_add_f32 v[160:161], v[4:5], v[6:7]
	s_waitcnt vmcnt(0) lgkmcnt(0)
	v_mul_f32_e32 v12, v129, v21
	v_mul_f32_e32 v13, v129, v20
	;; [unrolled: 1-line block ×4, first 2 shown]
	v_fmac_f32_e32 v12, v128, v20
	v_fma_f32 v13, v128, v21, -v13
	v_fmac_f32_e32 v14, v130, v20
	v_fma_f32 v15, v130, v21, -v15
	ds_write2_b64 v146, v[12:13], v[14:15] offset1:67
	v_mul_f32_e32 v12, v133, v21
	v_mul_f32_e32 v13, v133, v20
	;; [unrolled: 1-line block ×4, first 2 shown]
	v_fmac_f32_e32 v12, v132, v20
	v_fma_f32 v13, v132, v21, -v13
	v_fmac_f32_e32 v14, v134, v20
	v_fma_f32 v15, v134, v21, -v15
	ds_write2_b64 v146, v[12:13], v[14:15] offset0:134 offset1:201
	ds_read_b128 v[16:19], v145 offset:384
	ds_read_b128 v[12:15], v145 offset:400
	s_waitcnt lgkmcnt(0)
	s_barrier
	ds_read2_b64 v[20:23], v141 offset1:1
	ds_read2_b64 v[4:7], v141 offset0:2 offset1:3
	v_pk_add_f32 v[0:1], v[160:161], v[0:1]
	s_or_b64 s[4:5], s[18:19], vcc
	v_pk_add_f32 v[0:1], v[0:1], v[2:3]
	s_waitcnt lgkmcnt(1)
	v_pk_add_f32 v[2:3], v[20:21], 0 op_sel_hi:[1,0]
	s_and_b64 s[18:19], s[0:1], s[4:5]
	v_pk_add_f32 v[2:3], v[2:3], v[22:23]
	s_waitcnt lgkmcnt(0)
	v_pk_add_f32 v[2:3], v[2:3], v[4:5]
	s_barrier
	v_pk_add_f32 v[2:3], v[2:3], v[6:7]
	ds_write2_b64 v159, v[0:1], v[26:27] offset1:16
	ds_write2_b64 v159, v[24:25], v[2:3] offset0:32 offset1:48
	s_waitcnt lgkmcnt(0)
	s_barrier
	s_and_saveexec_b64 s[4:5], s[18:19]
	s_cbranch_execz .LBB2_122
; %bb.177:                              ;   in Loop: Header=BB2_123 Depth=1
	ds_read_b64 v[20:21], v139
	ds_read2_b64 v[0:3], v139 offset0:1 offset1:2
	ds_read2_b64 v[4:7], v139 offset0:3 offset1:4
	v_ashrrev_i32_e32 v37, 31, v36
	v_lshl_add_u64 v[24:25], v[36:37], 3, s[6:7]
	s_waitcnt lgkmcnt(1)
	v_add_f32_e32 v0, v0, v20
	v_add_f32_e32 v1, v1, v21
	;; [unrolled: 1-line block ×4, first 2 shown]
	ds_read2_b64 v[0:3], v139 offset0:5 offset1:6
	s_waitcnt lgkmcnt(1)
	v_add_f32_e32 v4, v20, v4
	v_add_f32_e32 v5, v21, v5
	v_add_f32_e32 v20, v4, v6
	v_add_f32_e32 v21, v5, v7
	ds_read2_b64 v[4:7], v139 offset0:7 offset1:8
	s_waitcnt lgkmcnt(1)
	v_pk_add_f32 v[0:1], v[20:21], v[0:1]
	ds_read2_b64 v[20:23], v139 offset0:9 offset1:10
	v_pk_add_f32 v[0:1], v[0:1], v[2:3]
	s_waitcnt lgkmcnt(1)
	v_pk_add_f32 v[0:1], v[0:1], v[4:5]
	s_nop 0
	v_pk_add_f32 v[4:5], v[0:1], v[6:7]
	ds_read2_b64 v[0:3], v139 offset0:11 offset1:12
	s_waitcnt lgkmcnt(1)
	v_pk_add_f32 v[20:21], v[4:5], v[20:21]
	ds_read2_b64 v[4:7], v139 offset0:13 offset1:14
	v_pk_add_f32 v[20:21], v[20:21], v[22:23]
	ds_read_b64 v[22:23], v140
	s_waitcnt lgkmcnt(2)
	v_pk_add_f32 v[0:1], v[20:21], v[0:1]
	s_nop 0
	v_pk_add_f32 v[0:1], v[0:1], v[2:3]
	s_waitcnt lgkmcnt(1)
	v_pk_add_f32 v[0:1], v[0:1], v[4:5]
	s_nop 0
	v_pk_add_f32 v[0:1], v[0:1], v[6:7]
	s_waitcnt lgkmcnt(0)
	v_pk_add_f32 v[0:1], v[0:1], v[22:23]
	global_store_dwordx2 v[24:25], v[0:1], off
	s_branch .LBB2_122
.LBB2_178:
	s_movk_i32 s0, 0x218
	v_cmp_gt_i32_e32 vcc, s16, v30
	v_mad_u32_u24 v0, v29, s0, v31
	s_or_b64 s[0:1], s[20:21], vcc
	s_and_b64 s[0:1], s[12:13], s[0:1]
	ds_write_b64 v0, v[32:33]
	s_waitcnt lgkmcnt(0)
	s_barrier
	s_and_saveexec_b64 s[2:3], s[0:1]
	s_cbranch_execz .LBB2_180
; %bb.179:
	ds_read2_b64 v[0:3], v31 offset1:67
	ds_read2_b64 v[4:7], v31 offset0:134 offset1:201
	v_ashrrev_i32_e32 v29, 31, v28
	v_lshl_add_u64 v[8:9], v[28:29], 3, s[6:7]
	s_waitcnt lgkmcnt(1)
	v_pk_add_f32 v[0:1], v[2:3], v[0:1]
	s_waitcnt lgkmcnt(0)
	v_pk_add_f32 v[0:1], v[0:1], v[4:5]
	s_nop 0
	v_pk_add_f32 v[0:1], v[0:1], v[6:7]
	global_store_dwordx2 v[8:9], v[0:1], off
.LBB2_180:
	s_endpgm
	.section	.rodata,"a",@progbits
	.p2align	6, 0x0
	.amdhsa_kernel _ZL26rocblas_hemvn_kernel_upperILb1ELi64ELi4ELi33ELi32ELi16EiPK19rocblas_complex_numIfES3_PS1_EviT6_lT7_lT5_lS6_lS7_lS5_lT8_i
		.amdhsa_group_segment_fixed_size 9600
		.amdhsa_private_segment_fixed_size 0
		.amdhsa_kernarg_size 376
		.amdhsa_user_sgpr_count 2
		.amdhsa_user_sgpr_dispatch_ptr 0
		.amdhsa_user_sgpr_queue_ptr 0
		.amdhsa_user_sgpr_kernarg_segment_ptr 1
		.amdhsa_user_sgpr_dispatch_id 0
		.amdhsa_user_sgpr_kernarg_preload_length 0
		.amdhsa_user_sgpr_kernarg_preload_offset 0
		.amdhsa_user_sgpr_private_segment_size 0
		.amdhsa_uses_dynamic_stack 0
		.amdhsa_enable_private_segment 0
		.amdhsa_system_sgpr_workgroup_id_x 1
		.amdhsa_system_sgpr_workgroup_id_y 0
		.amdhsa_system_sgpr_workgroup_id_z 1
		.amdhsa_system_sgpr_workgroup_info 0
		.amdhsa_system_vgpr_workitem_id 1
		.amdhsa_next_free_vgpr 162
		.amdhsa_next_free_sgpr 44
		.amdhsa_accum_offset 164
		.amdhsa_reserve_vcc 1
		.amdhsa_float_round_mode_32 0
		.amdhsa_float_round_mode_16_64 0
		.amdhsa_float_denorm_mode_32 3
		.amdhsa_float_denorm_mode_16_64 3
		.amdhsa_dx10_clamp 1
		.amdhsa_ieee_mode 1
		.amdhsa_fp16_overflow 0
		.amdhsa_tg_split 0
		.amdhsa_exception_fp_ieee_invalid_op 0
		.amdhsa_exception_fp_denorm_src 0
		.amdhsa_exception_fp_ieee_div_zero 0
		.amdhsa_exception_fp_ieee_overflow 0
		.amdhsa_exception_fp_ieee_underflow 0
		.amdhsa_exception_fp_ieee_inexact 0
		.amdhsa_exception_int_div_zero 0
	.end_amdhsa_kernel
	.section	.text._ZL26rocblas_hemvn_kernel_upperILb1ELi64ELi4ELi33ELi32ELi16EiPK19rocblas_complex_numIfES3_PS1_EviT6_lT7_lT5_lS6_lS7_lS5_lT8_i,"axG",@progbits,_ZL26rocblas_hemvn_kernel_upperILb1ELi64ELi4ELi33ELi32ELi16EiPK19rocblas_complex_numIfES3_PS1_EviT6_lT7_lT5_lS6_lS7_lS5_lT8_i,comdat
.Lfunc_end2:
	.size	_ZL26rocblas_hemvn_kernel_upperILb1ELi64ELi4ELi33ELi32ELi16EiPK19rocblas_complex_numIfES3_PS1_EviT6_lT7_lT5_lS6_lS7_lS5_lT8_i, .Lfunc_end2-_ZL26rocblas_hemvn_kernel_upperILb1ELi64ELi4ELi33ELi32ELi16EiPK19rocblas_complex_numIfES3_PS1_EviT6_lT7_lT5_lS6_lS7_lS5_lT8_i
                                        ; -- End function
	.section	.AMDGPU.csdata,"",@progbits
; Kernel info:
; codeLenInByte = 8908
; NumSgprs: 50
; NumVgprs: 162
; NumAgprs: 0
; TotalNumVgprs: 162
; ScratchSize: 0
; MemoryBound: 1
; FloatMode: 240
; IeeeMode: 1
; LDSByteSize: 9600 bytes/workgroup (compile time only)
; SGPRBlocks: 6
; VGPRBlocks: 20
; NumSGPRsForWavesPerEU: 50
; NumVGPRsForWavesPerEU: 162
; AccumOffset: 164
; Occupancy: 3
; WaveLimiterHint : 1
; COMPUTE_PGM_RSRC2:SCRATCH_EN: 0
; COMPUTE_PGM_RSRC2:USER_SGPR: 2
; COMPUTE_PGM_RSRC2:TRAP_HANDLER: 0
; COMPUTE_PGM_RSRC2:TGID_X_EN: 1
; COMPUTE_PGM_RSRC2:TGID_Y_EN: 0
; COMPUTE_PGM_RSRC2:TGID_Z_EN: 1
; COMPUTE_PGM_RSRC2:TIDIG_COMP_CNT: 1
; COMPUTE_PGM_RSRC3_GFX90A:ACCUM_OFFSET: 40
; COMPUTE_PGM_RSRC3_GFX90A:TG_SPLIT: 0
	.section	.text._ZL36rocblas_hemvn_kernel_upper_block_sumILi64EiPK19rocblas_complex_numIfEPS1_S1_EviT1_lS5_lT2_lT0_lPT3_i,"axG",@progbits,_ZL36rocblas_hemvn_kernel_upper_block_sumILi64EiPK19rocblas_complex_numIfEPS1_S1_EviT1_lS5_lT2_lT0_lPT3_i,comdat
	.globl	_ZL36rocblas_hemvn_kernel_upper_block_sumILi64EiPK19rocblas_complex_numIfEPS1_S1_EviT1_lS5_lT2_lT0_lPT3_i ; -- Begin function _ZL36rocblas_hemvn_kernel_upper_block_sumILi64EiPK19rocblas_complex_numIfEPS1_S1_EviT1_lS5_lT2_lT0_lPT3_i
	.p2align	8
	.type	_ZL36rocblas_hemvn_kernel_upper_block_sumILi64EiPK19rocblas_complex_numIfEPS1_S1_EviT1_lS5_lT2_lT0_lPT3_i,@function
_ZL36rocblas_hemvn_kernel_upper_block_sumILi64EiPK19rocblas_complex_numIfEPS1_S1_EviT1_lS5_lT2_lT0_lPT3_i: ; @_ZL36rocblas_hemvn_kernel_upper_block_sumILi64EiPK19rocblas_complex_numIfEPS1_S1_EviT1_lS5_lT2_lT0_lPT3_i
; %bb.0:
	s_load_dwordx8 s[8:15], s[0:1], 0x8
	s_waitcnt lgkmcnt(0)
	s_mul_i32 s4, s3, s11
	s_mul_hi_u32 s5, s3, s10
	s_add_i32 s5, s5, s4
	s_mul_i32 s4, s3, s10
	s_lshl_b64 s[4:5], s[4:5], 3
	s_add_u32 s4, s8, s4
	s_mul_i32 s6, s3, s15
	s_mul_hi_u32 s7, s3, s14
	s_addc_u32 s5, s9, s5
	s_add_i32 s7, s7, s6
	s_mul_i32 s6, s3, s14
	s_load_dwordx2 s[8:9], s[4:5], 0x0
	s_lshl_b64 s[4:5], s[6:7], 3
	s_add_u32 s4, s12, s4
	s_addc_u32 s5, s13, s5
	s_load_dwordx2 s[10:11], s[4:5], 0x0
	s_waitcnt lgkmcnt(0)
	s_or_b32 s4, s8, s9
	s_bitset0_b32 s4, 31
	s_cmp_eq_u32 s4, 0
	s_cselect_b64 s[16:17], -1, 0
	v_cmp_eq_f32_e64 s[4:5], s10, 1.0
	v_cmp_eq_f32_e64 s[6:7], s11, 0
	s_and_b64 s[4:5], s[4:5], s[6:7]
	s_and_b64 s[4:5], s[16:17], s[4:5]
	s_and_b64 vcc, exec, s[4:5]
	s_cbranch_vccnz .LBB3_17
; %bb.1:
	s_load_dwordx4 s[4:7], s[0:1], 0x40
	s_load_dword s20, s[0:1], 0x38
	s_load_dwordx4 s[24:27], s[0:1], 0x28
	s_load_dword s14, s[0:1], 0x0
	v_lshl_or_b32 v0, s2, 6, v0
	s_waitcnt lgkmcnt(0)
	s_mul_i32 s5, s3, s5
	s_mul_hi_u32 s12, s3, s4
	s_add_i32 s5, s12, s5
	s_mul_i32 s4, s3, s4
	s_lshl_b64 s[4:5], s[4:5], 3
	s_add_u32 s12, s24, s4
	s_addc_u32 s13, s25, s5
	s_lshl_b64 s[4:5], s[26:27], 3
	s_add_u32 s12, s12, s4
	s_addc_u32 s13, s13, s5
	s_mov_b64 s[18:19], -1
	s_andn2_b64 vcc, exec, s[16:17]
	v_cmp_gt_i32_e64 s[4:5], s14, v0
	s_cbranch_vccnz .LBB3_7
; %bb.2:
	s_and_saveexec_b64 s[16:17], s[4:5]
	s_cbranch_execz .LBB3_6
; %bb.3:
	v_cmp_neq_f32_e64 s[4:5], s10, 0
	v_cmp_neq_f32_e64 s[18:19], s11, 0
	v_mul_lo_u32 v2, v0, s20
	v_ashrrev_i32_e32 v3, 31, v2
	s_or_b64 s[4:5], s[4:5], s[18:19]
	s_andn2_b64 vcc, exec, s[4:5]
	v_mov_b32_e32 v4, 0
	v_lshl_add_u64 v[2:3], v[2:3], 3, s[12:13]
	v_mov_b32_e32 v5, 0
	s_cbranch_vccnz .LBB3_5
; %bb.4:
	global_load_dwordx2 v[6:7], v[2:3], off
	s_waitcnt vmcnt(0)
	v_pk_mul_f32 v[8:9], v[6:7], s[10:11] op_sel:[1,0]
	s_nop 0
	v_pk_fma_f32 v[4:5], v[6:7], s[10:11], v[8:9] op_sel:[0,0,1] op_sel_hi:[1,1,0] neg_lo:[0,0,1] neg_hi:[0,0,1]
	v_pk_fma_f32 v[6:7], v[6:7], s[10:11], v[8:9] op_sel:[0,0,1] op_sel_hi:[0,1,0]
	v_mov_b32_e32 v5, v7
.LBB3_5:
	global_store_dwordx2 v[2:3], v[4:5], off
.LBB3_6:
	s_or_b64 exec, exec, s[16:17]
	s_mov_b64 s[18:19], 0
.LBB3_7:
	s_andn2_b64 vcc, exec, s[18:19]
	s_cbranch_vccnz .LBB3_17
; %bb.8:
	v_cmp_gt_i32_e32 vcc, s14, v0
	s_and_saveexec_b64 s[4:5], vcc
	s_cbranch_execz .LBB3_17
; %bb.9:
	v_mov_b32_e32 v3, 0
	s_cmp_lt_i32 s2, 0
	v_mov_b32_e32 v2, v3
	s_cbranch_scc1 .LBB3_12
; %bb.10:
	s_load_dword s0, s[0:1], 0x58
	s_ashr_i32 s15, s14, 31
	s_mul_hi_u32 s1, s14, s3
	s_mul_i32 s4, s15, s3
	s_add_i32 s1, s1, s4
	s_mul_i32 s3, s14, s3
	s_waitcnt lgkmcnt(0)
	s_mul_i32 s1, s1, s0
	s_mul_hi_u32 s4, s3, s0
	s_add_i32 s1, s4, s1
	s_mul_i32 s0, s3, s0
	s_lshl_b64 s[0:1], s[0:1], 3
	s_add_u32 s0, s6, s0
	s_addc_u32 s1, s7, s1
	v_mov_b32_e32 v1, 0
	v_lshl_add_u64 v[4:5], v[0:1], 3, s[0:1]
	s_add_i32 s2, s2, 1
	s_lshl_b64 s[0:1], s[14:15], 3
	v_mov_b32_e32 v2, v1
	v_mov_b32_e32 v3, v1
.LBB3_11:                               ; =>This Inner Loop Header: Depth=1
	global_load_dwordx2 v[6:7], v[4:5], off
	s_add_i32 s2, s2, -1
	v_lshl_add_u64 v[4:5], v[4:5], 0, s[0:1]
	s_cmp_eq_u32 s2, 0
	s_waitcnt vmcnt(0)
	v_pk_add_f32 v[2:3], v[2:3], v[6:7]
	s_cbranch_scc0 .LBB3_11
.LBB3_12:
	v_cmp_neq_f32_e64 s[0:1], s10, 0
	v_cmp_neq_f32_e64 s[2:3], s11, 0
	s_or_b64 s[0:1], s[0:1], s[2:3]
	v_pk_mul_f32 v[6:7], v[2:3], s[8:9] op_sel:[1,0]
	v_mul_lo_u32 v4, v0, s20
	s_andn2_b64 vcc, exec, s[0:1]
	v_pk_fma_f32 v[0:1], v[2:3], s[8:9], v[6:7] op_sel:[0,0,1] op_sel_hi:[0,1,0]
	v_ashrrev_i32_e32 v5, 31, v4
	s_cbranch_vccz .LBB3_14
; %bb.13:
	v_pk_mul_f32 v[8:9], v[2:3], s[8:9] op_sel_hi:[0,1]
	v_sub_f32_e32 v0, v8, v7
	s_cbranch_execz .LBB3_15
	s_branch .LBB3_16
.LBB3_14:
.LBB3_15:
	v_lshl_add_u64 v[8:9], v[4:5], 3, s[12:13]
	global_load_dwordx2 v[8:9], v[8:9], off
	v_pk_fma_f32 v[2:3], v[2:3], s[8:9], v[6:7] op_sel:[0,0,1] op_sel_hi:[1,1,0] neg_lo:[0,0,1] neg_hi:[0,0,1]
	s_waitcnt vmcnt(0)
	v_pk_mul_f32 v[6:7], v[8:9], s[10:11] op_sel:[1,0]
	s_nop 0
	v_pk_fma_f32 v[10:11], v[8:9], s[10:11], v[6:7] op_sel:[0,0,1] op_sel_hi:[1,1,0] neg_lo:[0,0,1] neg_hi:[0,0,1]
	v_pk_fma_f32 v[6:7], v[8:9], s[10:11], v[6:7] op_sel:[0,0,1] op_sel_hi:[0,1,0]
	v_mov_b32_e32 v11, v7
	v_mov_b32_e32 v3, v1
	v_pk_add_f32 v[0:1], v[2:3], v[10:11]
.LBB3_16:
	v_lshl_add_u64 v[2:3], v[4:5], 3, s[12:13]
	global_store_dwordx2 v[2:3], v[0:1], off
.LBB3_17:
	s_endpgm
	.section	.rodata,"a",@progbits
	.p2align	6, 0x0
	.amdhsa_kernel _ZL36rocblas_hemvn_kernel_upper_block_sumILi64EiPK19rocblas_complex_numIfEPS1_S1_EviT1_lS5_lT2_lT0_lPT3_i
		.amdhsa_group_segment_fixed_size 0
		.amdhsa_private_segment_fixed_size 0
		.amdhsa_kernarg_size 344
		.amdhsa_user_sgpr_count 2
		.amdhsa_user_sgpr_dispatch_ptr 0
		.amdhsa_user_sgpr_queue_ptr 0
		.amdhsa_user_sgpr_kernarg_segment_ptr 1
		.amdhsa_user_sgpr_dispatch_id 0
		.amdhsa_user_sgpr_kernarg_preload_length 0
		.amdhsa_user_sgpr_kernarg_preload_offset 0
		.amdhsa_user_sgpr_private_segment_size 0
		.amdhsa_uses_dynamic_stack 0
		.amdhsa_enable_private_segment 0
		.amdhsa_system_sgpr_workgroup_id_x 1
		.amdhsa_system_sgpr_workgroup_id_y 0
		.amdhsa_system_sgpr_workgroup_id_z 1
		.amdhsa_system_sgpr_workgroup_info 0
		.amdhsa_system_vgpr_workitem_id 0
		.amdhsa_next_free_vgpr 12
		.amdhsa_next_free_sgpr 28
		.amdhsa_accum_offset 12
		.amdhsa_reserve_vcc 1
		.amdhsa_float_round_mode_32 0
		.amdhsa_float_round_mode_16_64 0
		.amdhsa_float_denorm_mode_32 3
		.amdhsa_float_denorm_mode_16_64 3
		.amdhsa_dx10_clamp 1
		.amdhsa_ieee_mode 1
		.amdhsa_fp16_overflow 0
		.amdhsa_tg_split 0
		.amdhsa_exception_fp_ieee_invalid_op 0
		.amdhsa_exception_fp_denorm_src 0
		.amdhsa_exception_fp_ieee_div_zero 0
		.amdhsa_exception_fp_ieee_overflow 0
		.amdhsa_exception_fp_ieee_underflow 0
		.amdhsa_exception_fp_ieee_inexact 0
		.amdhsa_exception_int_div_zero 0
	.end_amdhsa_kernel
	.section	.text._ZL36rocblas_hemvn_kernel_upper_block_sumILi64EiPK19rocblas_complex_numIfEPS1_S1_EviT1_lS5_lT2_lT0_lPT3_i,"axG",@progbits,_ZL36rocblas_hemvn_kernel_upper_block_sumILi64EiPK19rocblas_complex_numIfEPS1_S1_EviT1_lS5_lT2_lT0_lPT3_i,comdat
.Lfunc_end3:
	.size	_ZL36rocblas_hemvn_kernel_upper_block_sumILi64EiPK19rocblas_complex_numIfEPS1_S1_EviT1_lS5_lT2_lT0_lPT3_i, .Lfunc_end3-_ZL36rocblas_hemvn_kernel_upper_block_sumILi64EiPK19rocblas_complex_numIfEPS1_S1_EviT1_lS5_lT2_lT0_lPT3_i
                                        ; -- End function
	.section	.AMDGPU.csdata,"",@progbits
; Kernel info:
; codeLenInByte = 696
; NumSgprs: 34
; NumVgprs: 12
; NumAgprs: 0
; TotalNumVgprs: 12
; ScratchSize: 0
; MemoryBound: 0
; FloatMode: 240
; IeeeMode: 1
; LDSByteSize: 0 bytes/workgroup (compile time only)
; SGPRBlocks: 4
; VGPRBlocks: 1
; NumSGPRsForWavesPerEU: 34
; NumVGPRsForWavesPerEU: 12
; AccumOffset: 12
; Occupancy: 8
; WaveLimiterHint : 0
; COMPUTE_PGM_RSRC2:SCRATCH_EN: 0
; COMPUTE_PGM_RSRC2:USER_SGPR: 2
; COMPUTE_PGM_RSRC2:TRAP_HANDLER: 0
; COMPUTE_PGM_RSRC2:TGID_X_EN: 1
; COMPUTE_PGM_RSRC2:TGID_Y_EN: 0
; COMPUTE_PGM_RSRC2:TGID_Z_EN: 1
; COMPUTE_PGM_RSRC2:TIDIG_COMP_CNT: 0
; COMPUTE_PGM_RSRC3_GFX90A:ACCUM_OFFSET: 2
; COMPUTE_PGM_RSRC3_GFX90A:TG_SPLIT: 0
	.section	.text._ZL26rocblas_hemvn_kernel_upperILb1ELi64ELi4ELi33ELi32ELi16El19rocblas_complex_numIfEPKS1_PS1_EviT6_lT7_lT5_lS6_lS7_lS5_lT8_i,"axG",@progbits,_ZL26rocblas_hemvn_kernel_upperILb1ELi64ELi4ELi33ELi32ELi16El19rocblas_complex_numIfEPKS1_PS1_EviT6_lT7_lT5_lS6_lS7_lS5_lT8_i,comdat
	.globl	_ZL26rocblas_hemvn_kernel_upperILb1ELi64ELi4ELi33ELi32ELi16El19rocblas_complex_numIfEPKS1_PS1_EviT6_lT7_lT5_lS6_lS7_lS5_lT8_i ; -- Begin function _ZL26rocblas_hemvn_kernel_upperILb1ELi64ELi4ELi33ELi32ELi16El19rocblas_complex_numIfEPKS1_PS1_EviT6_lT7_lT5_lS6_lS7_lS5_lT8_i
	.p2align	8
	.type	_ZL26rocblas_hemvn_kernel_upperILb1ELi64ELi4ELi33ELi32ELi16El19rocblas_complex_numIfEPKS1_PS1_EviT6_lT7_lT5_lS6_lS7_lS5_lT8_i,@function
_ZL26rocblas_hemvn_kernel_upperILb1ELi64ELi4ELi33ELi32ELi16El19rocblas_complex_numIfEPKS1_PS1_EviT6_lT7_lT5_lS6_lS7_lS5_lT8_i: ; @_ZL26rocblas_hemvn_kernel_upperILb1ELi64ELi4ELi33ELi32ELi16El19rocblas_complex_numIfEPKS1_PS1_EviT6_lT7_lT5_lS6_lS7_lS5_lT8_i
; %bb.0:
	s_load_dwordx2 s[6:7], s[0:1], 0x84
	s_add_u32 s4, s0, 0x78
	s_addc_u32 s5, s1, 0
	s_waitcnt lgkmcnt(0)
	s_lshr_b32 s8, s6, 16
	s_and_b32 s6, s6, 0xffff
	s_and_b32 s7, s7, 0xffff
	s_mul_i32 s6, s8, s6
	s_mul_i32 s6, s6, s7
	s_cmpk_lg_i32 s6, 0x100
	s_cbranch_scc1 .LBB4_180
; %bb.1:
	s_load_dwordx2 s[6:7], s[0:1], 0x4
	s_mov_b64 s[8:9], -1
	s_waitcnt lgkmcnt(0)
	s_or_b32 s6, s6, s7
	s_bitset0_b32 s6, 31
	s_cmp_lg_u32 s6, 0
	s_cselect_b64 s[6:7], -1, 0
	s_and_b64 vcc, exec, s[6:7]
	s_cbranch_vccnz .LBB4_3
; %bb.2:
	s_load_dwordx2 s[8:9], s[0:1], 0x58
	s_waitcnt lgkmcnt(0)
	v_cmp_neq_f32_e64 s[10:11], s8, 1.0
	v_cmp_neq_f32_e64 s[8:9], s9, 0
	s_or_b64 s[8:9], s[10:11], s[8:9]
.LBB4_3:
	s_andn2_b64 vcc, exec, s[8:9]
	s_cbranch_vccnz .LBB4_180
; %bb.4:
	s_andn2_b64 vcc, exec, s[6:7]
	s_cbranch_vccnz .LBB4_180
; %bb.5:
	s_load_dwordx16 s[16:31], s[0:1], 0x18
	s_load_dword s33, s[4:5], 0x0
	s_load_dword s35, s[0:1], 0x0
	v_and_b32_e32 v111, 0x3ff, v0
	v_bfe_u32 v125, v0, 10, 10
	s_waitcnt lgkmcnt(0)
	s_mul_i32 s5, s3, s31
	s_mul_hi_u32 s6, s3, s30
	s_mul_i32 s4, s3, s30
	s_add_i32 s5, s6, s5
	s_lshl_b64 s[4:5], s[4:5], 3
	s_add_u32 s6, s24, s4
	s_addc_u32 s7, s25, s5
	s_lshl_b64 s[4:5], s[26:27], 3
	s_add_u32 s4, s6, s4
	s_addc_u32 s5, s7, s5
	s_ashr_i32 s36, s35, 31
	s_lshr_b32 s7, s36, 26
	s_lshl_b32 s26, s2, 6
	s_add_i32 s7, s35, s7
	s_andn2_b32 s7, s7, 63
	v_add_u32_e32 v28, s26, v111
	s_add_i32 s6, s33, -1
	s_sub_i32 s34, s35, s7
	v_ashrrev_i32_e32 v29, 31, v28
	s_cmp_eq_u32 s2, s6
	v_mul_lo_u32 v2, v29, s28
	v_mul_lo_u32 v3, v28, s29
	v_mad_u64_u32 v[0:1], s[6:7], v28, s28, 0
	v_add3_u32 v1, v1, v3, v2
	s_cselect_b32 s24, s34, 0
	v_lshl_add_u64 v[12:13], v[0:1], 3, s[4:5]
	v_cmp_eq_u32_e64 s[14:15], 0, v125
	s_and_saveexec_b64 s[4:5], s[14:15]
	s_cbranch_execz .LBB4_10
; %bb.6:
	s_cmp_lg_u32 s24, 0
	s_cselect_b64 s[6:7], -1, 0
	v_cmp_le_i32_e32 vcc, s24, v111
	v_mov_b32_e32 v0, 0x2380
	s_and_b64 s[6:7], s[6:7], vcc
	v_lshl_add_u32 v0, v111, 3, v0
	s_and_saveexec_b64 s[8:9], s[6:7]
	s_xor_b64 s[6:7], exec, s[8:9]
	s_cbranch_execz .LBB4_8
; %bb.7:
	v_mov_b32_e32 v2, 0
	v_mov_b32_e32 v3, v2
	ds_write_b64 v0, v[2:3]
                                        ; implicit-def: $vgpr0
.LBB4_8:
	s_andn2_saveexec_b64 s[6:7], s[6:7]
	s_cbranch_execz .LBB4_10
; %bb.9:
	global_load_dwordx2 v[2:3], v[12:13], off
	s_waitcnt vmcnt(0)
	ds_write_b64 v0, v[2:3]
.LBB4_10:
	s_or_b64 exec, exec, s[4:5]
	s_mul_i32 s4, s3, s23
	s_mul_hi_u32 s5, s3, s22
	s_add_i32 s5, s5, s4
	s_mul_i32 s4, s3, s22
	s_lshl_b64 s[4:5], s[4:5], 3
	s_add_u32 s6, s16, s4
	s_addc_u32 s7, s17, s5
	s_lshl_b64 s[4:5], s[18:19], 3
	s_add_u32 s6, s6, s4
	s_addc_u32 s7, s7, s5
	s_ashr_i32 s27, s26, 31
	v_lshl_add_u32 v22, v125, 6, v111
	s_lshl_b64 s[4:5], s[26:27], 3
	v_and_b32_e32 v0, 31, v111
	v_lshrrev_b32_e32 v18, 5, v22
	s_add_u32 s6, s6, s4
	v_mov_b32_e32 v1, 0
	s_addc_u32 s7, s7, s5
	v_mad_u64_u32 v[14:15], s[4:5], v18, s20, v[0:1]
	v_mov_b32_e32 v2, v15
	v_mad_u64_u32 v[2:3], s[4:5], v18, s21, v[2:3]
	s_mul_i32 s4, s26, s21
	s_mul_hi_u32 s5, s26, s20
	s_add_i32 s4, s5, s4
	s_mul_i32 s5, s27, s20
	s_add_i32 s5, s4, s5
	s_mul_i32 s4, s26, s20
	s_lshl_b64 s[4:5], s[4:5], 3
	s_add_u32 s4, s4, s6
	s_addc_u32 s5, s5, s7
	s_cmp_eq_u32 s24, 0
	s_cselect_b64 s[18:19], -1, 0
	s_cmp_lg_u32 s24, 0
	v_mov_b32_e32 v15, v2
	s_cselect_b64 s[22:23], -1, 0
	v_lshl_add_u64 v[6:7], v[14:15], 3, s[4:5]
	s_and_b64 vcc, exec, s[22:23]
	v_cmp_gt_i32_e64 s[4:5], s24, v0
	v_lshlrev_b32_e32 v2, 3, v0
	s_mul_i32 s37, s21, 0xc0
	s_cbranch_vccz .LBB4_26
; %bb.11:
	v_sub_co_u32_e32 v4, vcc, v6, v2
	s_ashr_i32 s25, s24, 31
	s_nop 0
	v_subbrev_co_u32_e32 v5, vcc, 0, v7, vcc
	v_lshl_add_u64 v[4:5], s[24:25], 3, v[4:5]
	v_lshl_add_u64 v[4:5], v[4:5], 0, -8
	v_cndmask_b32_e64 v5, v5, v7, s[4:5]
	v_cndmask_b32_e64 v4, v4, v6, s[4:5]
	v_cmp_gt_i32_e32 vcc, s24, v18
	v_mov_b32_e32 v9, 0
	s_and_saveexec_b64 s[6:7], vcc
	s_cbranch_execz .LBB4_13
; %bb.12:
	global_load_dwordx2 v[8:9], v[4:5], off
	s_waitcnt vmcnt(0)
	v_mov_b32_e32 v1, v8
.LBB4_13:
	s_or_b64 exec, exec, s[6:7]
	v_mul_u32_u24_e32 v3, 33, v18
	v_mov_b32_e32 v8, v1
	v_add_u32_e32 v1, 8, v18
	v_add_lshl_u32 v3, v3, v0, 3
	v_cmp_le_i32_e32 vcc, s24, v1
	ds_write_b64 v3, v[8:9]
	s_and_saveexec_b64 s[6:7], vcc
	s_xor_b64 s[6:7], exec, s[6:7]
	s_cbranch_execz .LBB4_15
; %bb.14:
	v_mul_u32_u24_e32 v1, 33, v1
	v_mov_b32_e32 v8, 0
	v_add_lshl_u32 v1, v1, v0, 3
	v_mov_b32_e32 v9, v8
	ds_write_b64 v1, v[8:9]
.LBB4_15:
	s_andn2_saveexec_b64 s[6:7], s[6:7]
	s_cbranch_execz .LBB4_17
; %bb.16:
	s_lshl_b64 s[8:9], s[20:21], 6
	v_lshl_add_u64 v[8:9], v[4:5], 0, s[8:9]
	global_load_dwordx2 v[8:9], v[8:9], off
	s_waitcnt vmcnt(0)
	ds_write_b64 v3, v[8:9] offset:2112
.LBB4_17:
	s_or_b64 exec, exec, s[6:7]
	v_add_u32_e32 v1, 16, v18
	v_cmp_le_i32_e32 vcc, s24, v1
	s_and_saveexec_b64 s[6:7], vcc
	s_xor_b64 s[6:7], exec, s[6:7]
	s_cbranch_execz .LBB4_19
; %bb.18:
	v_mov_b32_e32 v8, 0
	v_mov_b32_e32 v9, v8
	ds_write_b64 v3, v[8:9] offset:4224
.LBB4_19:
	s_andn2_saveexec_b64 s[6:7], s[6:7]
	s_cbranch_execz .LBB4_21
; %bb.20:
	s_lshl_b64 s[8:9], s[20:21], 7
	v_lshl_add_u64 v[8:9], v[4:5], 0, s[8:9]
	global_load_dwordx2 v[8:9], v[8:9], off
	s_waitcnt vmcnt(0)
	ds_write_b64 v3, v[8:9] offset:4224
.LBB4_21:
	s_or_b64 exec, exec, s[6:7]
	v_add_u32_e32 v1, 24, v18
	v_cmp_le_i32_e32 vcc, s24, v1
	s_and_saveexec_b64 s[6:7], vcc
	s_xor_b64 s[6:7], exec, s[6:7]
	s_cbranch_execz .LBB4_23
; %bb.22:
	v_mov_b32_e32 v8, 0
	v_mov_b32_e32 v9, v8
	ds_write_b64 v3, v[8:9] offset:6336
                                        ; implicit-def: $vgpr3
.LBB4_23:
	s_andn2_saveexec_b64 s[6:7], s[6:7]
	s_cbranch_execz .LBB4_25
; %bb.24:
	v_mov_b32_e32 v1, 0xc0
	v_mad_u64_u32 v[8:9], s[8:9], s20, v1, v[4:5]
	v_add_u32_e32 v9, s37, v9
	global_load_dwordx2 v[8:9], v[8:9], off
	s_waitcnt vmcnt(0)
	ds_write_b64 v3, v[8:9] offset:6336
.LBB4_25:
	s_or_b64 exec, exec, s[6:7]
	v_mov_b32_e32 v3, 0
	v_lshl_add_u64 v[4:5], v[4:5], 0, v[2:3]
	s_lshl_b64 s[6:7], s[24:25], 3
	v_mov_b32_e32 v1, s7
	v_subrev_co_u32_e32 v4, vcc, s6, v4
	s_nop 1
	v_subb_co_u32_e32 v5, vcc, v5, v1, vcc
	v_lshl_add_u64 v[4:5], v[4:5], 0, 8
	v_cndmask_b32_e64 v5, v5, v7, s[4:5]
	v_cndmask_b32_e64 v4, v4, v6, s[4:5]
	v_mul_u32_u24_e32 v1, 33, v18
	s_branch .LBB4_28
.LBB4_26:
                                        ; implicit-def: $vgpr4_vgpr5
	v_mul_u32_u24_e32 v1, 33, v18
	s_cbranch_execz .LBB4_28
; %bb.27:
	s_lshl_b64 s[4:5], s[20:21], 6
	v_lshl_add_u64 v[4:5], v[6:7], 0, s[4:5]
	global_load_dwordx2 v[8:9], v[6:7], off
	global_load_dwordx2 v[10:11], v[4:5], off
	v_mov_b32_e32 v3, 0xc0
	v_lshl_add_u64 v[4:5], v[4:5], 0, s[4:5]
	v_mad_u64_u32 v[16:17], s[4:5], s20, v3, v[6:7]
	global_load_dwordx2 v[4:5], v[4:5], off
	v_add_u32_e32 v17, s37, v17
	global_load_dwordx2 v[16:17], v[16:17], off
	v_add_lshl_u32 v3, v1, v0, 3
	s_waitcnt vmcnt(3)
	ds_write_b64 v3, v[8:9]
	s_waitcnt vmcnt(2)
	ds_write_b64 v3, v[10:11] offset:2112
	s_waitcnt vmcnt(1)
	ds_write_b64 v3, v[4:5] offset:4224
	;; [unrolled: 2-line block ×3, first 2 shown]
	v_mov_b64_e32 v[4:5], v[6:7]
.LBB4_28:
	v_lshlrev_b32_e32 v21, 2, v18
	v_cmp_le_u32_e64 s[6:7], v21, v0
	s_waitcnt lgkmcnt(0)
	s_barrier
	s_and_saveexec_b64 s[4:5], s[6:7]
	s_xor_b64 s[4:5], exec, s[4:5]
	s_cbranch_execz .LBB4_32
; %bb.29:
	v_cmp_eq_u32_e32 vcc, v21, v0
	s_and_saveexec_b64 s[8:9], vcc
	s_cbranch_execz .LBB4_31
; %bb.30:
	v_mul_u32_u24_e32 v3, 34, v0
	v_lshlrev_b32_e32 v3, 3, v3
	v_mov_b32_e32 v6, 0
	ds_write_b32 v3, v6 offset:4
.LBB4_31:
	s_or_b64 exec, exec, s[8:9]
.LBB4_32:
	s_or_saveexec_b64 s[4:5], s[4:5]
	v_mul_u32_u24_e32 v19, 33, v0
	v_add_lshl_u32 v16, v21, v19, 3
	s_xor_b64 exec, exec, s[4:5]
	s_cbranch_execz .LBB4_34
; %bb.33:
	v_mul_u32_u24_e32 v3, 0x84, v18
	v_add_lshl_u32 v3, v3, v0, 3
	ds_read_b64 v[6:7], v3
	s_waitcnt lgkmcnt(0)
	v_xor_b32_e32 v7, 0x80000000, v7
	ds_write_b64 v16, v[6:7]
.LBB4_34:
	s_or_b64 exec, exec, s[4:5]
	v_or_b32_e32 v17, 1, v21
	v_cmp_ge_u32_e64 s[8:9], v21, v0
	v_mul_u32_u24_e32 v3, 33, v17
	s_and_saveexec_b64 s[4:5], s[8:9]
	s_xor_b64 s[4:5], exec, s[4:5]
	s_cbranch_execz .LBB4_36
; %bb.35:
	v_add_lshl_u32 v6, v3, v0, 3
	ds_read_b64 v[6:7], v6
	s_waitcnt lgkmcnt(0)
	v_xor_b32_e32 v7, 0x80000000, v7
	ds_write_b64 v16, v[6:7] offset:8
.LBB4_36:
	s_andn2_saveexec_b64 s[4:5], s[4:5]
	s_cbranch_execz .LBB4_40
; %bb.37:
	v_cmp_eq_u32_e32 vcc, v17, v0
	s_and_saveexec_b64 s[10:11], vcc
	s_cbranch_execz .LBB4_39
; %bb.38:
	v_mul_u32_u24_e32 v6, 34, v0
	v_lshlrev_b32_e32 v6, 3, v6
	v_mov_b32_e32 v7, 0
	ds_write_b32 v6, v7 offset:4
.LBB4_39:
	s_or_b64 exec, exec, s[10:11]
.LBB4_40:
	s_or_b64 exec, exec, s[4:5]
	v_or_b32_e32 v26, 2, v21
	v_cmp_le_u32_e64 s[10:11], v26, v0
	s_and_saveexec_b64 s[4:5], s[10:11]
	s_xor_b64 s[4:5], exec, s[4:5]
	s_cbranch_execz .LBB4_44
; %bb.41:
	v_cmp_eq_u32_e32 vcc, v26, v0
	s_and_saveexec_b64 s[12:13], vcc
	s_cbranch_execz .LBB4_43
; %bb.42:
	v_mul_u32_u24_e32 v6, 34, v0
	v_lshlrev_b32_e32 v6, 3, v6
	v_mov_b32_e32 v7, 0
	ds_write_b32 v6, v7 offset:4
.LBB4_43:
	s_or_b64 exec, exec, s[12:13]
.LBB4_44:
	s_andn2_saveexec_b64 s[4:5], s[4:5]
	s_cbranch_execz .LBB4_46
; %bb.45:
	v_mul_u32_u24_e32 v6, 33, v26
	v_add_lshl_u32 v6, v6, v0, 3
	ds_read_b64 v[6:7], v6
	s_waitcnt lgkmcnt(0)
	v_xor_b32_e32 v7, 0x80000000, v7
	ds_write_b64 v16, v[6:7] offset:16
.LBB4_46:
	s_or_b64 exec, exec, s[4:5]
	v_or_b32_e32 v27, 3, v21
	v_cmp_le_u32_e64 s[12:13], v27, v0
	s_and_saveexec_b64 s[4:5], s[12:13]
	s_xor_b64 s[4:5], exec, s[4:5]
	s_cbranch_execz .LBB4_50
; %bb.47:
	v_cmp_eq_u32_e32 vcc, v27, v0
	s_and_saveexec_b64 s[16:17], vcc
	s_cbranch_execz .LBB4_49
; %bb.48:
	v_mul_u32_u24_e32 v6, 34, v0
	v_lshlrev_b32_e32 v6, 3, v6
	v_mov_b32_e32 v7, 0
	ds_write_b32 v6, v7 offset:4
.LBB4_49:
	s_or_b64 exec, exec, s[16:17]
.LBB4_50:
	s_andn2_saveexec_b64 s[4:5], s[4:5]
	s_cbranch_execz .LBB4_52
; %bb.51:
	v_mul_u32_u24_e32 v6, 33, v27
	v_add_lshl_u32 v6, v6, v0, 3
	ds_read_b64 v[6:7], v6
	s_waitcnt lgkmcnt(0)
	v_xor_b32_e32 v7, 0x80000000, v7
	ds_write_b64 v16, v[6:7] offset:24
.LBB4_52:
	s_or_b64 exec, exec, s[4:5]
	v_mul_u32_u24_e32 v6, 0x84, v18
	v_lshlrev_b32_e32 v32, 3, v21
	s_waitcnt lgkmcnt(0)
	s_barrier
	v_add_lshl_u32 v20, v6, v0, 3
	v_add_lshl_u32 v25, v3, v0, 3
	ds_read_b128 v[6:9], v32 offset:9088
	ds_read_b64 v[10:11], v20
	ds_read2_b64 v[34:37], v25 offset1:33
	ds_read_b64 v[30:31], v25 offset:528
	ds_read_b128 v[38:41], v32 offset:9104
	s_mov_b32 s16, 0
	s_waitcnt lgkmcnt(3)
	v_pk_mul_f32 v[42:43], v[6:7], v[10:11] op_sel:[0,1]
	s_mov_b32 s17, s16
	v_pk_fma_f32 v[44:45], v[6:7], v[10:11], v[42:43] op_sel:[0,0,1] op_sel_hi:[1,1,0] neg_lo:[0,0,1] neg_hi:[0,0,1]
	v_pk_fma_f32 v[6:7], v[6:7], v[10:11], v[42:43] op_sel:[0,0,1] op_sel_hi:[1,0,0]
	s_waitcnt lgkmcnt(2)
	v_pk_mul_f32 v[10:11], v[8:9], v[34:35] op_sel:[0,1]
	v_mov_b32_e32 v45, v7
	v_pk_fma_f32 v[42:43], v[8:9], v[34:35], v[10:11] op_sel:[0,0,1] op_sel_hi:[1,1,0] neg_lo:[0,0,1] neg_hi:[0,0,1]
	v_pk_fma_f32 v[8:9], v[8:9], v[34:35], v[10:11] op_sel:[0,0,1] op_sel_hi:[1,0,0]
	v_pk_add_f32 v[6:7], v[44:45], 0 op_sel_hi:[1,0]
	v_mov_b32_e32 v43, v9
	s_waitcnt lgkmcnt(0)
	v_pk_mul_f32 v[8:9], v[38:39], v[36:37] op_sel:[0,1]
	v_pk_add_f32 v[6:7], v[6:7], v[42:43]
	v_pk_fma_f32 v[10:11], v[38:39], v[36:37], v[8:9] op_sel:[0,0,1] op_sel_hi:[1,1,0] neg_lo:[0,0,1] neg_hi:[0,0,1]
	v_pk_fma_f32 v[8:9], v[38:39], v[36:37], v[8:9] op_sel:[0,0,1] op_sel_hi:[1,0,0]
	v_add_lshl_u32 v23, v18, v19, 3
	v_mov_b32_e32 v11, v9
	v_pk_mul_f32 v[8:9], v[40:41], v[30:31] op_sel:[0,1]
	v_pk_add_f32 v[6:7], v[6:7], v[10:11]
	v_pk_fma_f32 v[10:11], v[40:41], v[30:31], v[8:9] op_sel:[0,0,1] op_sel_hi:[1,1,0] neg_lo:[0,0,1] neg_hi:[0,0,1]
	v_pk_fma_f32 v[8:9], v[40:41], v[30:31], v[8:9] op_sel:[0,0,1] op_sel_hi:[1,0,0]
	v_cmp_gt_u32_e64 s[4:5], 32, v22
	v_mov_b32_e32 v11, v9
	v_pk_add_f32 v[6:7], v[6:7], v[10:11]
	v_mov_b64_e32 v[30:31], s[16:17]
	v_lshlrev_b32_e32 v24, 3, v19
	s_barrier
	ds_write_b64 v23, v[6:7]
	s_waitcnt lgkmcnt(0)
	s_barrier
	s_and_saveexec_b64 s[16:17], s[4:5]
	s_cbranch_execz .LBB4_54
; %bb.53:
	ds_read2_b64 v[6:9], v24 offset1:7
	ds_read2_b64 v[34:37], v24 offset0:1 offset1:2
	ds_read2_b64 v[38:41], v24 offset0:3 offset1:4
	s_waitcnt lgkmcnt(1)
	v_add_f32_e32 v3, v34, v6
	v_add_f32_e32 v6, v35, v7
	;; [unrolled: 1-line block ×4, first 2 shown]
	ds_read2_b64 v[34:37], v24 offset0:5 offset1:6
	s_waitcnt lgkmcnt(1)
	v_add_f32_e32 v3, v3, v38
	v_add_f32_e32 v6, v6, v39
	v_add_f32_e32 v3, v3, v40
	v_add_f32_e32 v6, v6, v41
	s_waitcnt lgkmcnt(0)
	v_add_f32_e32 v3, v3, v34
	v_add_f32_e32 v7, v6, v35
	;; [unrolled: 1-line block ×4, first 2 shown]
	v_pk_add_f32 v[30:31], v[6:7], v[8:9]
.LBB4_54:
	s_or_b64 exec, exec, s[16:17]
	s_lshl_b64 s[16:17], s[20:21], 8
	v_lshl_add_u64 v[8:9], v[4:5], 0, s[16:17]
	s_mov_b64 s[16:17], 0x100
	v_lshl_add_u64 v[6:7], v[8:9], 0, s[16:17]
	s_and_b64 vcc, exec, s[22:23]
	s_barrier
	s_cbranch_vccz .LBB4_70
; %bb.55:
	v_sub_co_u32_e32 v4, vcc, v6, v2
	s_ashr_i32 s25, s24, 31
	s_nop 0
	v_subbrev_co_u32_e32 v5, vcc, 0, v7, vcc
	s_movk_i32 s16, 0xfef8
	v_or_b32_e32 v3, 32, v0
	v_lshl_add_u64 v[4:5], s[24:25], 3, v[4:5]
	s_mov_b32 s17, -1
	v_lshl_add_u64 v[4:5], v[4:5], 0, s[16:17]
	v_cmp_gt_i32_e32 vcc, s24, v3
	s_sub_i32 s38, s24, 32
	v_mov_b32_e32 v10, 0
	v_cndmask_b32_e32 v5, v5, v7, vcc
	v_cndmask_b32_e32 v4, v4, v6, vcc
	v_cmp_gt_i32_e64 s[16:17], s38, v18
	v_mov_b32_e32 v11, v10
	s_and_saveexec_b64 s[30:31], s[16:17]
	s_cbranch_execz .LBB4_57
; %bb.56:
	global_load_dwordx2 v[10:11], v[4:5], off
.LBB4_57:
	s_or_b64 exec, exec, s[30:31]
	v_add_lshl_u32 v3, v1, v0, 3
	s_waitcnt vmcnt(0)
	ds_write_b64 v3, v[10:11]
	v_add_u32_e32 v10, 8, v18
	v_cmp_le_i32_e64 s[16:17], s38, v10
	s_and_saveexec_b64 s[30:31], s[16:17]
	s_xor_b64 s[16:17], exec, s[30:31]
	s_cbranch_execz .LBB4_59
; %bb.58:
	v_mul_u32_u24_e32 v10, 33, v10
	v_add_lshl_u32 v33, v10, v0, 3
	v_mov_b32_e32 v10, 0
	v_mov_b32_e32 v11, v10
	ds_write_b64 v33, v[10:11]
.LBB4_59:
	s_andn2_saveexec_b64 s[16:17], s[16:17]
	s_cbranch_execz .LBB4_61
; %bb.60:
	s_lshl_b64 s[30:31], s[20:21], 6
	v_lshl_add_u64 v[10:11], v[4:5], 0, s[30:31]
	global_load_dwordx2 v[10:11], v[10:11], off
	s_waitcnt vmcnt(0)
	ds_write_b64 v3, v[10:11] offset:2112
.LBB4_61:
	s_or_b64 exec, exec, s[16:17]
	v_add_u32_e32 v10, 16, v18
	v_cmp_le_i32_e64 s[16:17], s38, v10
	s_and_saveexec_b64 s[30:31], s[16:17]
	s_xor_b64 s[16:17], exec, s[30:31]
	s_cbranch_execz .LBB4_63
; %bb.62:
	v_mov_b32_e32 v10, 0
	v_mov_b32_e32 v11, v10
	ds_write_b64 v3, v[10:11] offset:4224
.LBB4_63:
	s_andn2_saveexec_b64 s[16:17], s[16:17]
	s_cbranch_execz .LBB4_65
; %bb.64:
	s_lshl_b64 s[30:31], s[20:21], 7
	v_lshl_add_u64 v[10:11], v[4:5], 0, s[30:31]
	global_load_dwordx2 v[10:11], v[10:11], off
	s_waitcnt vmcnt(0)
	ds_write_b64 v3, v[10:11] offset:4224
.LBB4_65:
	s_or_b64 exec, exec, s[16:17]
	v_add_u32_e32 v10, 24, v18
	v_cmp_le_i32_e64 s[16:17], s38, v10
	s_and_saveexec_b64 s[30:31], s[16:17]
	s_xor_b64 s[16:17], exec, s[30:31]
	s_cbranch_execz .LBB4_67
; %bb.66:
	v_mov_b32_e32 v10, 0
	v_mov_b32_e32 v11, v10
	ds_write_b64 v3, v[10:11] offset:6336
                                        ; implicit-def: $vgpr3
.LBB4_67:
	s_andn2_saveexec_b64 s[16:17], s[16:17]
	s_cbranch_execz .LBB4_69
; %bb.68:
	v_mov_b32_e32 v10, 0xc0
	v_mad_u64_u32 v[10:11], s[30:31], s20, v10, v[4:5]
	v_add_u32_e32 v11, s37, v11
	global_load_dwordx2 v[10:11], v[10:11], off
	s_waitcnt vmcnt(0)
	ds_write_b64 v3, v[10:11] offset:6336
.LBB4_69:
	s_or_b64 exec, exec, s[16:17]
	v_mov_b32_e32 v3, 0
	v_lshl_add_u64 v[4:5], v[4:5], 0, v[2:3]
	s_lshl_b64 s[16:17], s[24:25], 3
	v_mov_b32_e32 v3, s17
	v_subrev_co_u32_e64 v4, s[16:17], s16, v4
	s_nop 1
	v_subb_co_u32_e64 v5, s[16:17], v5, v3, s[16:17]
	s_mov_b64 s[16:17], 0x108
	s_nop 0
	v_lshl_add_u64 v[4:5], v[4:5], 0, s[16:17]
	v_cndmask_b32_e32 v5, v5, v7, vcc
	v_cndmask_b32_e32 v4, v4, v6, vcc
	s_branch .LBB4_72
.LBB4_70:
                                        ; implicit-def: $vgpr4_vgpr5
	s_cbranch_execz .LBB4_72
; %bb.71:
	s_lshl_b64 s[16:17], s[20:21], 6
	v_lshl_add_u64 v[4:5], v[8:9], 0, s[16:17]
	v_mov_b32_e32 v3, 0xc0
	v_lshl_add_u64 v[10:11], v[4:5], 0, s[16:17]
	v_mad_u64_u32 v[34:35], s[16:17], s20, v3, v[8:9]
	v_add_u32_e32 v35, s37, v35
	global_load_dwordx2 v[36:37], v[8:9], off offset:256
	global_load_dwordx2 v[38:39], v[4:5], off offset:256
	;; [unrolled: 1-line block ×4, first 2 shown]
	v_add_lshl_u32 v3, v1, v0, 3
	v_mov_b64_e32 v[4:5], v[6:7]
	s_waitcnt vmcnt(3)
	ds_write_b64 v3, v[36:37]
	s_waitcnt vmcnt(2)
	ds_write_b64 v3, v[38:39] offset:2112
	s_waitcnt vmcnt(1)
	ds_write_b64 v3, v[40:41] offset:4224
	;; [unrolled: 2-line block ×3, first 2 shown]
.LBB4_72:
	s_waitcnt lgkmcnt(0)
	s_barrier
	s_and_saveexec_b64 s[16:17], s[6:7]
	s_xor_b64 s[6:7], exec, s[16:17]
	s_cbranch_execnz .LBB4_99
; %bb.73:
	s_andn2_saveexec_b64 s[6:7], s[6:7]
	s_cbranch_execnz .LBB4_102
.LBB4_74:
	s_or_b64 exec, exec, s[6:7]
	s_and_saveexec_b64 s[6:7], s[8:9]
	s_xor_b64 s[6:7], exec, s[6:7]
	s_cbranch_execnz .LBB4_103
.LBB4_75:
	s_andn2_saveexec_b64 s[6:7], s[6:7]
	s_cbranch_execnz .LBB4_104
.LBB4_76:
	s_or_b64 exec, exec, s[6:7]
	s_and_saveexec_b64 s[6:7], s[10:11]
	s_xor_b64 s[6:7], exec, s[6:7]
	s_cbranch_execnz .LBB4_107
.LBB4_77:
	s_andn2_saveexec_b64 s[6:7], s[6:7]
	s_cbranch_execnz .LBB4_110
.LBB4_78:
	s_or_b64 exec, exec, s[6:7]
	s_and_saveexec_b64 s[6:7], s[12:13]
	s_xor_b64 s[6:7], exec, s[6:7]
	s_cbranch_execnz .LBB4_111
.LBB4_79:
	s_or_saveexec_b64 s[6:7], s[6:7]
	v_add_u32_e32 v26, 0x2380, v32
	s_xor_b64 exec, exec, s[6:7]
	s_cbranch_execz .LBB4_81
.LBB4_80:
	ds_read_b64 v[6:7], v25 offset:528
	s_waitcnt lgkmcnt(0)
	v_xor_b32_e32 v7, 0x80000000, v7
	ds_write_b64 v16, v[6:7] offset:24
.LBB4_81:
	s_or_b64 exec, exec, s[6:7]
	s_waitcnt lgkmcnt(0)
	s_barrier
	ds_read_b64 v[10:11], v20
	ds_read_b128 v[6:9], v26 offset:256
	ds_read2_b64 v[32:35], v25 offset1:33
	ds_read_b64 v[16:17], v25 offset:528
	ds_read_b128 v[36:39], v26 offset:272
	v_cmp_eq_u32_e64 s[6:7], 1, v18
	s_waitcnt lgkmcnt(3)
	v_pk_mul_f32 v[40:41], v[6:7], v[10:11] op_sel:[0,1]
	s_waitcnt lgkmcnt(0)
	v_pk_fma_f32 v[42:43], v[6:7], v[10:11], v[40:41] op_sel:[0,0,1] op_sel_hi:[1,1,0] neg_lo:[0,0,1] neg_hi:[0,0,1]
	v_pk_fma_f32 v[6:7], v[6:7], v[10:11], v[40:41] op_sel:[0,0,1] op_sel_hi:[1,0,0]
	v_pk_mul_f32 v[10:11], v[8:9], v[32:33] op_sel:[0,1]
	v_mov_b32_e32 v43, v7
	v_pk_fma_f32 v[40:41], v[8:9], v[32:33], v[10:11] op_sel:[0,0,1] op_sel_hi:[1,1,0] neg_lo:[0,0,1] neg_hi:[0,0,1]
	v_pk_fma_f32 v[8:9], v[8:9], v[32:33], v[10:11] op_sel:[0,0,1] op_sel_hi:[1,0,0]
	v_pk_add_f32 v[6:7], v[42:43], 0 op_sel_hi:[1,0]
	v_mov_b32_e32 v41, v9
	v_pk_mul_f32 v[8:9], v[36:37], v[34:35] op_sel:[0,1]
	v_pk_add_f32 v[6:7], v[6:7], v[40:41]
	v_pk_fma_f32 v[10:11], v[36:37], v[34:35], v[8:9] op_sel:[0,0,1] op_sel_hi:[1,1,0] neg_lo:[0,0,1] neg_hi:[0,0,1]
	v_pk_fma_f32 v[8:9], v[36:37], v[34:35], v[8:9] op_sel:[0,0,1] op_sel_hi:[1,0,0]
	s_barrier
	v_mov_b32_e32 v11, v9
	v_pk_mul_f32 v[8:9], v[38:39], v[16:17] op_sel:[0,1]
	v_pk_add_f32 v[6:7], v[6:7], v[10:11]
	v_pk_fma_f32 v[10:11], v[38:39], v[16:17], v[8:9] op_sel:[0,0,1] op_sel_hi:[1,1,0] neg_lo:[0,0,1] neg_hi:[0,0,1]
	v_pk_fma_f32 v[8:9], v[38:39], v[16:17], v[8:9] op_sel:[0,0,1] op_sel_hi:[1,0,0]
	s_nop 0
	v_mov_b32_e32 v11, v9
	v_pk_add_f32 v[6:7], v[6:7], v[10:11]
	ds_write_b64 v23, v[6:7]
	s_waitcnt lgkmcnt(0)
	s_barrier
	s_and_saveexec_b64 s[8:9], s[6:7]
	s_cbranch_execz .LBB4_83
; %bb.82:
	ds_read2_b64 v[6:9], v24 offset1:7
	ds_read2_b64 v[30:33], v24 offset0:1 offset1:2
	ds_read2_b64 v[34:37], v24 offset0:3 offset1:4
	s_waitcnt lgkmcnt(1)
	v_add_f32_e32 v3, v30, v6
	v_add_f32_e32 v6, v31, v7
	;; [unrolled: 1-line block ×4, first 2 shown]
	ds_read2_b64 v[30:33], v24 offset0:5 offset1:6
	s_waitcnt lgkmcnt(1)
	v_add_f32_e32 v3, v3, v34
	v_add_f32_e32 v6, v6, v35
	;; [unrolled: 1-line block ×4, first 2 shown]
	s_waitcnt lgkmcnt(0)
	v_add_f32_e32 v6, v3, v30
	v_add_f32_e32 v7, v7, v31
	v_pk_add_f32 v[6:7], v[6:7], v[32:33]
	s_nop 0
	v_pk_add_f32 v[30:31], v[6:7], v[8:9]
.LBB4_83:
	s_or_b64 exec, exec, s[8:9]
	s_movk_i32 s8, 0xff00
	s_mov_b32 s9, -1
	v_lshl_add_u64 v[6:7], v[4:5], 0, s[8:9]
	s_and_b64 vcc, exec, s[22:23]
	s_barrier
	s_cbranch_vccz .LBB4_114
; %bb.84:
	v_sub_co_u32_e32 v8, vcc, v4, v2
	s_ashr_i32 s25, s24, 31
	s_nop 0
	v_subbrev_co_u32_e32 v9, vcc, 0, v5, vcc
	s_movk_i32 s8, 0xfef8
	v_lshl_add_u64 v[8:9], s[24:25], 3, v[8:9]
	s_mov_b32 s9, -1
	v_lshl_add_u64 v[8:9], v[8:9], 0, s[8:9]
	v_cmp_gt_i32_e32 vcc, s24, v0
	s_sub_i32 s12, s24, 32
	v_mov_b32_e32 v10, 0
	v_cndmask_b32_e32 v9, v9, v7, vcc
	v_cndmask_b32_e32 v8, v8, v6, vcc
	v_cmp_gt_i32_e64 s[8:9], s12, v18
	v_mov_b32_e32 v11, v10
	s_and_saveexec_b64 s[10:11], s[8:9]
	s_cbranch_execz .LBB4_86
; %bb.85:
	global_load_dwordx2 v[10:11], v[8:9], off
.LBB4_86:
	s_or_b64 exec, exec, s[10:11]
	v_add_lshl_u32 v3, v1, v0, 3
	s_waitcnt vmcnt(0)
	ds_write_b64 v3, v[10:11]
	v_add_u32_e32 v10, 8, v18
	v_cmp_le_i32_e64 s[8:9], s12, v10
	s_and_saveexec_b64 s[10:11], s[8:9]
	s_xor_b64 s[8:9], exec, s[10:11]
	s_cbranch_execz .LBB4_88
; %bb.87:
	v_mul_u32_u24_e32 v11, 33, v10
	v_mov_b32_e32 v16, 0
	v_add_lshl_u32 v11, v11, v0, 3
	v_mov_b32_e32 v17, v16
	ds_write_b64 v11, v[16:17]
.LBB4_88:
	s_andn2_saveexec_b64 s[8:9], s[8:9]
	s_cbranch_execz .LBB4_90
; %bb.89:
	s_lshl_b64 s[10:11], s[20:21], 6
	v_lshl_add_u64 v[16:17], v[8:9], 0, s[10:11]
	global_load_dwordx2 v[16:17], v[16:17], off
	s_waitcnt vmcnt(0)
	ds_write_b64 v3, v[16:17] offset:2112
.LBB4_90:
	s_or_b64 exec, exec, s[8:9]
	v_add_u32_e32 v11, 16, v18
	v_cmp_le_i32_e64 s[8:9], s12, v11
	s_and_saveexec_b64 s[10:11], s[8:9]
	s_xor_b64 s[8:9], exec, s[10:11]
	s_cbranch_execz .LBB4_92
; %bb.91:
	v_mov_b32_e32 v16, 0
	v_mov_b32_e32 v17, v16
	ds_write_b64 v3, v[16:17] offset:4224
.LBB4_92:
	s_andn2_saveexec_b64 s[8:9], s[8:9]
	s_cbranch_execz .LBB4_94
; %bb.93:
	s_lshl_b64 s[10:11], s[20:21], 7
	v_lshl_add_u64 v[16:17], v[8:9], 0, s[10:11]
	global_load_dwordx2 v[16:17], v[16:17], off
	s_waitcnt vmcnt(0)
	ds_write_b64 v3, v[16:17] offset:4224
.LBB4_94:
	s_or_b64 exec, exec, s[8:9]
	v_add_u32_e32 v21, 24, v18
	v_cmp_le_i32_e64 s[8:9], s12, v21
	s_and_saveexec_b64 s[10:11], s[8:9]
	s_xor_b64 s[8:9], exec, s[10:11]
	s_cbranch_execz .LBB4_96
; %bb.95:
	v_mov_b32_e32 v16, 0
	v_mov_b32_e32 v17, v16
	ds_write_b64 v3, v[16:17] offset:6336
                                        ; implicit-def: $vgpr3
.LBB4_96:
	s_andn2_saveexec_b64 s[8:9], s[8:9]
	s_cbranch_execz .LBB4_98
; %bb.97:
	v_mov_b32_e32 v16, 0xc0
	v_mad_u64_u32 v[16:17], s[10:11], s20, v16, v[8:9]
	v_add_u32_e32 v17, s37, v17
	global_load_dwordx2 v[16:17], v[16:17], off
	s_waitcnt vmcnt(0)
	ds_write_b64 v3, v[16:17] offset:6336
.LBB4_98:
	s_or_b64 exec, exec, s[8:9]
	v_mov_b32_e32 v3, 0
	v_lshl_add_u64 v[2:3], v[8:9], 0, v[2:3]
	s_lshl_b64 s[8:9], s[24:25], 3
	v_mov_b32_e32 v8, s9
	v_subrev_co_u32_e64 v2, s[8:9], s8, v2
	s_nop 1
	v_subb_co_u32_e64 v3, s[8:9], v3, v8, s[8:9]
	v_lshl_add_u64 v[2:3], v[2:3], 0, 8
	v_cndmask_b32_e32 v17, v3, v7, vcc
	v_cndmask_b32_e32 v16, v2, v6, vcc
	s_branch .LBB4_116
.LBB4_99:
	v_cmp_eq_u32_e32 vcc, v21, v0
	s_and_saveexec_b64 s[16:17], vcc
	s_cbranch_execz .LBB4_101
; %bb.100:
	v_mul_u32_u24_e32 v3, 34, v0
	v_lshlrev_b32_e32 v3, 3, v3
	v_mov_b32_e32 v6, 0
	ds_write_b32 v3, v6 offset:4
.LBB4_101:
	s_or_b64 exec, exec, s[16:17]
	s_andn2_saveexec_b64 s[6:7], s[6:7]
	s_cbranch_execz .LBB4_74
.LBB4_102:
	ds_read_b64 v[6:7], v20
	s_waitcnt lgkmcnt(0)
	v_xor_b32_e32 v7, 0x80000000, v7
	ds_write_b64 v16, v[6:7]
	s_or_b64 exec, exec, s[6:7]
	s_and_saveexec_b64 s[6:7], s[8:9]
	s_xor_b64 s[6:7], exec, s[6:7]
	s_cbranch_execz .LBB4_75
.LBB4_103:
	ds_read_b64 v[6:7], v25
                                        ; implicit-def: $vgpr17
	s_waitcnt lgkmcnt(0)
	v_xor_b32_e32 v7, 0x80000000, v7
	ds_write_b64 v16, v[6:7] offset:8
	s_andn2_saveexec_b64 s[6:7], s[6:7]
	s_cbranch_execz .LBB4_76
.LBB4_104:
	v_cmp_eq_u32_e32 vcc, v17, v0
	s_and_saveexec_b64 s[8:9], vcc
	s_cbranch_execz .LBB4_106
; %bb.105:
	v_mul_u32_u24_e32 v3, 34, v0
	v_lshlrev_b32_e32 v3, 3, v3
	v_mov_b32_e32 v6, 0
	ds_write_b32 v3, v6 offset:4
.LBB4_106:
	s_or_b64 exec, exec, s[8:9]
	s_or_b64 exec, exec, s[6:7]
	s_and_saveexec_b64 s[6:7], s[10:11]
	s_xor_b64 s[6:7], exec, s[6:7]
	s_cbranch_execz .LBB4_77
.LBB4_107:
	v_cmp_eq_u32_e32 vcc, v26, v0
	s_and_saveexec_b64 s[8:9], vcc
	s_cbranch_execz .LBB4_109
; %bb.108:
	v_mul_u32_u24_e32 v3, 34, v0
	v_lshlrev_b32_e32 v3, 3, v3
	v_mov_b32_e32 v6, 0
	ds_write_b32 v3, v6 offset:4
.LBB4_109:
	s_or_b64 exec, exec, s[8:9]
	s_andn2_saveexec_b64 s[6:7], s[6:7]
	s_cbranch_execz .LBB4_78
.LBB4_110:
	ds_read_b64 v[6:7], v25 offset:264
	s_waitcnt lgkmcnt(0)
	v_xor_b32_e32 v7, 0x80000000, v7
	ds_write_b64 v16, v[6:7] offset:16
	s_or_b64 exec, exec, s[6:7]
	s_and_saveexec_b64 s[6:7], s[12:13]
	s_xor_b64 s[6:7], exec, s[6:7]
	s_cbranch_execz .LBB4_79
.LBB4_111:
	v_cmp_eq_u32_e32 vcc, v27, v0
	s_and_saveexec_b64 s[8:9], vcc
	s_cbranch_execz .LBB4_113
; %bb.112:
	v_mul_u32_u24_e32 v3, 34, v0
	v_lshlrev_b32_e32 v3, 3, v3
	v_mov_b32_e32 v6, 0
	ds_write_b32 v3, v6 offset:4
.LBB4_113:
	s_or_b64 exec, exec, s[8:9]
                                        ; implicit-def: $vgpr16
	s_or_saveexec_b64 s[6:7], s[6:7]
	v_add_u32_e32 v26, 0x2380, v32
	s_xor_b64 exec, exec, s[6:7]
	s_cbranch_execnz .LBB4_80
	s_branch .LBB4_81
.LBB4_114:
                                        ; implicit-def: $vgpr16_vgpr17
                                        ; implicit-def: $vgpr10
                                        ; implicit-def: $vgpr11
                                        ; implicit-def: $vgpr21
	s_cbranch_execz .LBB4_116
; %bb.115:
	s_lshl_b64 s[8:9], s[20:21], 6
	v_lshl_add_u64 v[2:3], v[4:5], 0, s[8:9]
	v_lshl_add_u64 v[8:9], v[2:3], 0, s[8:9]
	global_load_dwordx2 v[16:17], v[2:3], off offset:-256
	global_load_dwordx2 v[32:33], v[8:9], off offset:-256
	v_mov_b32_e32 v8, 0xc0
	global_load_dwordx2 v[2:3], v[4:5], off offset:-256
	v_mad_u64_u32 v[4:5], s[8:9], s20, v8, v[4:5]
	v_add_u32_e32 v5, s37, v5
	global_load_dwordx2 v[4:5], v[4:5], off offset:-256
	v_add_lshl_u32 v0, v1, v0, 3
	v_add_u32_e32 v10, 8, v18
	v_add_u32_e32 v11, 16, v18
	;; [unrolled: 1-line block ×3, first 2 shown]
	s_waitcnt vmcnt(1)
	ds_write_b64 v0, v[2:3]
	ds_write_b64 v0, v[16:17] offset:2112
	ds_write_b64 v0, v[32:33] offset:4224
	s_waitcnt vmcnt(0)
	ds_write_b64 v0, v[4:5] offset:6336
	v_mov_b64_e32 v[16:17], v[6:7]
.LBB4_116:
	s_waitcnt lgkmcnt(0)
	s_barrier
	ds_read_b64 v[32:33], v23
	v_add_lshl_u32 v0, v11, v19, 3
	ds_read_b64 v[34:35], v0
	v_lshlrev_b32_e32 v4, 3, v18
	v_add_lshl_u32 v5, v10, v19, 3
	v_lshlrev_b32_e32 v6, 3, v10
	v_lshlrev_b32_e32 v7, 3, v11
	v_add_lshl_u32 v18, v21, v19, 3
	v_lshlrev_b32_e32 v19, 3, v21
	ds_read2_b64 v[0:3], v25 offset1:33
	ds_read_b64 v[20:21], v20
	ds_read_b128 v[8:11], v26 offset:256
	ds_read_b64 v[36:37], v6 offset:9088
	ds_read_b64 v[38:39], v5
	ds_read_b64 v[40:41], v4 offset:9088
	ds_read_b64 v[42:43], v19 offset:9088
	ds_read_b64 v[44:45], v18
	ds_read_b64 v[46:47], v7 offset:9088
	ds_read_b64 v[18:19], v25 offset:528
	ds_read_b128 v[4:7], v26 offset:272
	s_waitcnt lgkmcnt(5)
	v_pk_mul_f32 v[26:27], v[32:33], v[40:41] op_sel:[1,0]
	v_pk_mul_f32 v[48:49], v[38:39], v[36:37] op_sel:[1,0]
	v_pk_fma_f32 v[54:55], v[32:33], v[40:41], v[26:27] op_sel:[0,0,1] op_sel_hi:[1,1,0]
	v_pk_fma_f32 v[26:27], v[32:33], v[40:41], v[26:27] op_sel:[0,0,1] op_sel_hi:[0,1,0] neg_lo:[0,0,1] neg_hi:[0,0,1]
	v_mov_b32_e32 v55, v27
	v_pk_fma_f32 v[32:33], v[38:39], v[36:37], v[48:49] op_sel:[0,0,1] op_sel_hi:[1,1,0]
	v_pk_fma_f32 v[36:37], v[38:39], v[36:37], v[48:49] op_sel:[0,0,1] op_sel_hi:[0,1,0] neg_lo:[0,0,1] neg_hi:[0,0,1]
	s_waitcnt lgkmcnt(2)
	v_pk_mul_f32 v[50:51], v[34:35], v[46:47] op_sel:[1,0]
	v_pk_add_f32 v[26:27], v[54:55], 0 op_sel_hi:[1,0]
	v_mov_b32_e32 v33, v37
	v_pk_add_f32 v[26:27], v[26:27], v[32:33]
	v_pk_fma_f32 v[32:33], v[34:35], v[46:47], v[50:51] op_sel:[0,0,1] op_sel_hi:[1,1,0]
	v_pk_fma_f32 v[34:35], v[34:35], v[46:47], v[50:51] op_sel:[0,0,1] op_sel_hi:[0,1,0] neg_lo:[0,0,1] neg_hi:[0,0,1]
	v_pk_mul_f32 v[52:53], v[44:45], v[42:43] op_sel:[1,0]
	v_mov_b32_e32 v33, v35
	v_pk_add_f32 v[26:27], v[26:27], v[32:33]
	v_pk_fma_f32 v[32:33], v[44:45], v[42:43], v[52:53] op_sel:[0,0,1] op_sel_hi:[1,1,0]
	v_pk_fma_f32 v[34:35], v[44:45], v[42:43], v[52:53] op_sel:[0,0,1] op_sel_hi:[0,1,0] neg_lo:[0,0,1] neg_hi:[0,0,1]
	v_mov_b32_e32 v33, v35
	v_pk_add_f32 v[26:27], v[26:27], v[32:33]
	s_waitcnt lgkmcnt(0)
	s_barrier
	ds_write_b64 v23, v[26:27]
	s_waitcnt lgkmcnt(0)
	s_barrier
	s_and_saveexec_b64 s[8:9], s[6:7]
	s_cbranch_execz .LBB4_118
; %bb.117:
	ds_read2_b64 v[32:35], v24 offset1:1
	ds_read2_b64 v[36:39], v24 offset0:2 offset1:3
	ds_read2_b64 v[40:43], v24 offset0:6 offset1:7
	s_waitcnt lgkmcnt(2)
	v_pk_add_f32 v[26:27], v[30:31], v[32:33]
	ds_read2_b64 v[30:33], v24 offset0:4 offset1:5
	v_pk_add_f32 v[26:27], v[26:27], v[34:35]
	s_waitcnt lgkmcnt(2)
	v_pk_add_f32 v[26:27], v[26:27], v[36:37]
	s_nop 0
	v_pk_add_f32 v[26:27], v[26:27], v[38:39]
	s_waitcnt lgkmcnt(0)
	v_pk_add_f32 v[26:27], v[26:27], v[30:31]
	s_nop 0
	v_pk_add_f32 v[26:27], v[26:27], v[32:33]
	s_nop 0
	;; [unrolled: 2-line block ×3, first 2 shown]
	v_pk_add_f32 v[30:31], v[26:27], v[42:43]
.LBB4_118:
	s_or_b64 exec, exec, s[8:9]
	v_pk_mul_f32 v[26:27], v[8:9], v[20:21] op_sel:[0,1]
	s_nop 0
	v_pk_fma_f32 v[32:33], v[8:9], v[20:21], v[26:27] op_sel:[0,0,1] op_sel_hi:[1,1,0] neg_lo:[0,0,1] neg_hi:[0,0,1]
	v_pk_fma_f32 v[8:9], v[8:9], v[20:21], v[26:27] op_sel:[0,0,1] op_sel_hi:[1,0,0]
	v_pk_mul_f32 v[20:21], v[10:11], v[0:1] op_sel:[0,1]
	v_mov_b32_e32 v33, v9
	v_pk_fma_f32 v[26:27], v[10:11], v[0:1], v[20:21] op_sel:[0,0,1] op_sel_hi:[1,1,0] neg_lo:[0,0,1] neg_hi:[0,0,1]
	v_pk_fma_f32 v[0:1], v[10:11], v[0:1], v[20:21] op_sel:[0,0,1] op_sel_hi:[1,0,0]
	v_pk_add_f32 v[8:9], v[32:33], 0 op_sel_hi:[1,0]
	v_mov_b32_e32 v27, v1
	v_pk_add_f32 v[0:1], v[8:9], v[26:27]
	v_pk_mul_f32 v[8:9], v[4:5], v[2:3] op_sel:[0,1]
	s_barrier
	v_pk_fma_f32 v[10:11], v[4:5], v[2:3], v[8:9] op_sel:[0,0,1] op_sel_hi:[1,1,0] neg_lo:[0,0,1] neg_hi:[0,0,1]
	v_pk_fma_f32 v[2:3], v[4:5], v[2:3], v[8:9] op_sel:[0,0,1] op_sel_hi:[1,0,0]
	s_nop 0
	v_mov_b32_e32 v11, v3
	v_pk_mul_f32 v[2:3], v[6:7], v[18:19] op_sel:[0,1]
	v_pk_add_f32 v[0:1], v[0:1], v[10:11]
	v_pk_fma_f32 v[4:5], v[6:7], v[18:19], v[2:3] op_sel:[0,0,1] op_sel_hi:[1,1,0] neg_lo:[0,0,1] neg_hi:[0,0,1]
	v_pk_fma_f32 v[2:3], v[6:7], v[18:19], v[2:3] op_sel:[0,0,1] op_sel_hi:[1,0,0]
	s_nop 0
	v_mov_b32_e32 v5, v3
	v_pk_add_f32 v[0:1], v[0:1], v[4:5]
	ds_write_b64 v23, v[0:1]
	s_waitcnt lgkmcnt(0)
	s_barrier
	s_and_saveexec_b64 s[6:7], s[4:5]
	s_cbranch_execz .LBB4_120
; %bb.119:
	ds_read2_b64 v[0:3], v24 offset1:1
	ds_read2_b64 v[4:7], v24 offset0:2 offset1:3
	ds_read2_b64 v[8:11], v24 offset0:4 offset1:5
	s_waitcnt lgkmcnt(2)
	v_pk_add_f32 v[0:1], v[30:31], v[0:1]
	s_nop 0
	v_pk_add_f32 v[18:19], v[0:1], v[2:3]
	ds_read2_b64 v[0:3], v24 offset0:6 offset1:7
	s_waitcnt lgkmcnt(2)
	v_pk_add_f32 v[4:5], v[18:19], v[4:5]
	s_nop 0
	v_pk_add_f32 v[4:5], v[4:5], v[6:7]
	s_waitcnt lgkmcnt(1)
	v_pk_add_f32 v[4:5], v[4:5], v[8:9]
	s_nop 0
	v_pk_add_f32 v[4:5], v[4:5], v[10:11]
	;; [unrolled: 4-line block ×3, first 2 shown]
.LBB4_120:
	s_or_b64 exec, exec, s[6:7]
	s_load_dwordx2 s[0:1], s[0:1], 0x68
	s_mul_hi_u32 s4, s35, s3
	s_mul_i32 s36, s36, s3
	s_add_i32 s4, s4, s36
	s_mul_i32 s3, s35, s3
	s_mul_i32 s4, s4, s33
	s_mul_hi_u32 s5, s3, s33
	s_add_i32 s5, s5, s4
	s_mul_i32 s4, s3, s33
	s_lshl_b64 s[4:5], s[4:5], 3
	s_waitcnt lgkmcnt(0)
	s_add_u32 s3, s0, s4
	s_addc_u32 s4, s1, s5
	s_mul_hi_i32 s1, s35, s2
	s_mul_i32 s0, s35, s2
	s_lshl_b64 s[0:1], s[0:1], 3
	s_add_u32 s6, s3, s0
	s_addc_u32 s7, s4, s1
	s_add_i32 s0, s2, 1
	s_cmp_ge_u32 s0, s33
	v_lshlrev_b32_e32 v32, 3, v111
	s_barrier
	s_cbranch_scc1 .LBB4_178
; %bb.121:
	s_mul_i32 s0, s26, s29
	s_mul_hi_u32 s1, s26, s28
	s_add_i32 s0, s1, s0
	s_mul_i32 s1, s27, s28
	s_add_i32 s1, s0, s1
	s_mul_i32 s0, s26, s28
	s_lshl_b64 s[0:1], s[0:1], 3
	v_mov_b32_e32 v0, s1
	v_subrev_co_u32_e32 v34, vcc, s0, v12
	v_and_b32_e32 v2, 48, v111
	s_nop 0
	v_subb_co_u32_e32 v35, vcc, v13, v0, vcc
	v_and_b32_e32 v0, 15, v111
	v_lshlrev_b32_e32 v3, 3, v2
	s_movk_i32 s4, 0x218
	v_lshrrev_b32_e32 v1, 4, v22
	v_mad_u32_u24 v129, v0, s4, v3
	v_or_b32_e32 v3, 0x78, v32
	v_mad_u32_u24 v130, v0, s4, v3
	v_lshlrev_b32_e32 v3, 5, v1
	v_lshlrev_b32_e32 v6, 5, v125
	v_mad_u32_u24 v131, v0, s4, v3
	s_movk_i32 s4, 0x860
	v_add_u32_e32 v3, 0x100, v6
	v_mad_u32_u24 v136, v125, s4, v32
	v_mul_i32_i24_e32 v7, 0xffffffe8, v1
	v_or_b32_e32 v149, v2, v0
	v_mad_u64_u32 v[0:1], s[4:5], s20, v3, 0
	v_mov_b32_e32 v2, v1
	v_mad_u64_u32 v[2:3], s[4:5], s21, v3, v[2:3]
	v_mov_b32_e32 v1, v2
	v_lshlrev_b64 v[2:3], 3, v[14:15]
	v_sub_co_u32_e32 v0, vcc, v0, v2
	v_add_u32_e32 v5, 0x110, v6
	s_nop 0
	v_subb_co_u32_e32 v1, vcc, v1, v3, vcc
	v_lshl_add_u64 v[38:39], v[16:17], 0, v[0:1]
	v_mad_u64_u32 v[0:1], s[4:5], s20, v5, 0
	v_mov_b32_e32 v4, v1
	v_mad_u64_u32 v[4:5], s[4:5], s21, v5, v[4:5]
	v_mov_b32_e32 v1, v4
	v_sub_co_u32_e32 v0, vcc, v0, v2
	v_add_u32_e32 v5, 0x108, v6
	s_nop 0
	v_subb_co_u32_e32 v1, vcc, v1, v3, vcc
	v_lshl_add_u64 v[40:41], v[16:17], 0, v[0:1]
	v_mad_u64_u32 v[0:1], s[4:5], s20, v5, 0
	v_mov_b32_e32 v4, v1
	v_mad_u64_u32 v[4:5], s[4:5], s21, v5, v[4:5]
	v_mov_b32_e32 v1, v4
	v_sub_co_u32_e32 v0, vcc, v0, v2
	v_add_u32_e32 v5, 0x118, v6
	s_nop 0
	v_subb_co_u32_e32 v1, vcc, v1, v3, vcc
	v_lshl_add_u64 v[42:43], v[16:17], 0, v[0:1]
	v_mad_u64_u32 v[0:1], s[4:5], s20, v5, 0
	v_mov_b32_e32 v4, v1
	v_mad_u64_u32 v[4:5], s[4:5], s21, v5, v[4:5]
	v_mov_b32_e32 v1, v4
	v_sub_co_u32_e32 v0, vcc, v0, v2
	v_add_u32_e32 v5, 0x180, v6
	s_nop 0
	v_subb_co_u32_e32 v1, vcc, v1, v3, vcc
	v_lshl_add_u64 v[44:45], v[16:17], 0, v[0:1]
	v_mad_u64_u32 v[0:1], s[4:5], s20, v5, 0
	v_mov_b32_e32 v4, v1
	v_mad_u64_u32 v[4:5], s[4:5], s21, v5, v[4:5]
	v_mov_b32_e32 v1, v4
	v_sub_co_u32_e32 v0, vcc, v0, v2
	v_add_u32_e32 v5, 0x188, v6
	s_nop 0
	v_subb_co_u32_e32 v1, vcc, v1, v3, vcc
	v_lshl_add_u64 v[46:47], v[16:17], 0, v[0:1]
	v_mad_u64_u32 v[0:1], s[4:5], s20, v5, 0
	v_mov_b32_e32 v4, v1
	v_mad_u64_u32 v[4:5], s[4:5], s21, v5, v[4:5]
	v_mov_b32_e32 v1, v4
	v_sub_co_u32_e32 v0, vcc, v0, v2
	v_add_u32_e32 v5, 0x190, v6
	s_nop 0
	v_subb_co_u32_e32 v1, vcc, v1, v3, vcc
	v_lshl_add_u64 v[48:49], v[16:17], 0, v[0:1]
	v_mad_u64_u32 v[0:1], s[4:5], s20, v5, 0
	v_mov_b32_e32 v4, v1
	v_mad_u64_u32 v[4:5], s[4:5], s21, v5, v[4:5]
	v_mov_b32_e32 v1, v4
	v_sub_co_u32_e32 v0, vcc, v0, v2
	v_add_u32_e32 v5, 0x198, v6
	s_nop 0
	v_subb_co_u32_e32 v1, vcc, v1, v3, vcc
	v_lshl_add_u64 v[50:51], v[16:17], 0, v[0:1]
	v_mad_u64_u32 v[0:1], s[4:5], s20, v5, 0
	v_mov_b32_e32 v4, v1
	v_mad_u64_u32 v[4:5], s[4:5], s21, v5, v[4:5]
	v_mov_b32_e32 v1, v4
	v_sub_co_u32_e32 v0, vcc, v0, v2
	v_add_u32_e32 v5, 0x200, v6
	s_nop 0
	v_subb_co_u32_e32 v1, vcc, v1, v3, vcc
	v_lshl_add_u64 v[52:53], v[16:17], 0, v[0:1]
	v_mad_u64_u32 v[0:1], s[4:5], s20, v5, 0
	v_mov_b32_e32 v4, v1
	v_mad_u64_u32 v[4:5], s[4:5], s21, v5, v[4:5]
	v_mov_b32_e32 v1, v4
	v_sub_co_u32_e32 v0, vcc, v0, v2
	v_add_u32_e32 v5, 0x208, v6
	s_nop 0
	v_subb_co_u32_e32 v1, vcc, v1, v3, vcc
	v_lshl_add_u64 v[54:55], v[16:17], 0, v[0:1]
	v_mad_u64_u32 v[0:1], s[4:5], s20, v5, 0
	v_mov_b32_e32 v4, v1
	v_mad_u64_u32 v[4:5], s[4:5], s21, v5, v[4:5]
	v_mov_b32_e32 v1, v4
	v_sub_co_u32_e32 v0, vcc, v0, v2
	v_add_u32_e32 v5, 0x210, v6
	s_nop 0
	v_subb_co_u32_e32 v1, vcc, v1, v3, vcc
	v_lshl_add_u64 v[56:57], v[16:17], 0, v[0:1]
	v_mad_u64_u32 v[0:1], s[4:5], s20, v5, 0
	v_mov_b32_e32 v4, v1
	v_mad_u64_u32 v[4:5], s[4:5], s21, v5, v[4:5]
	v_mov_b32_e32 v1, v4
	v_sub_co_u32_e32 v0, vcc, v0, v2
	v_add_u32_e32 v5, 0x218, v6
	s_nop 0
	v_subb_co_u32_e32 v1, vcc, v1, v3, vcc
	v_lshl_add_u64 v[58:59], v[16:17], 0, v[0:1]
	v_mad_u64_u32 v[0:1], s[4:5], s20, v5, 0
	v_mov_b32_e32 v4, v1
	v_mad_u64_u32 v[4:5], s[4:5], s21, v5, v[4:5]
	v_mov_b32_e32 v1, v4
	v_sub_co_u32_e32 v0, vcc, v0, v2
	v_add_u32_e32 v5, 0x280, v6
	s_nop 0
	v_subb_co_u32_e32 v1, vcc, v1, v3, vcc
	v_lshl_add_u64 v[60:61], v[16:17], 0, v[0:1]
	v_mad_u64_u32 v[0:1], s[4:5], s20, v5, 0
	v_mov_b32_e32 v4, v1
	v_mad_u64_u32 v[4:5], s[4:5], s21, v5, v[4:5]
	v_mov_b32_e32 v1, v4
	v_sub_co_u32_e32 v0, vcc, v0, v2
	v_add_u32_e32 v5, 0x288, v6
	s_nop 0
	v_subb_co_u32_e32 v1, vcc, v1, v3, vcc
	v_lshl_add_u64 v[62:63], v[16:17], 0, v[0:1]
	v_mad_u64_u32 v[0:1], s[4:5], s20, v5, 0
	v_mov_b32_e32 v4, v1
	v_mad_u64_u32 v[4:5], s[4:5], s21, v5, v[4:5]
	v_mov_b32_e32 v1, v4
	v_sub_co_u32_e32 v0, vcc, v0, v2
	v_add_u32_e32 v5, 0x290, v6
	s_nop 0
	v_subb_co_u32_e32 v1, vcc, v1, v3, vcc
	v_lshl_add_u64 v[64:65], v[16:17], 0, v[0:1]
	v_mad_u64_u32 v[0:1], s[4:5], s20, v5, 0
	v_mov_b32_e32 v4, v1
	v_mad_u64_u32 v[4:5], s[4:5], s21, v5, v[4:5]
	v_mov_b32_e32 v1, v4
	v_sub_co_u32_e32 v0, vcc, v0, v2
	v_add_u32_e32 v5, 0x298, v6
	s_nop 0
	v_subb_co_u32_e32 v1, vcc, v1, v3, vcc
	v_lshl_add_u64 v[66:67], v[16:17], 0, v[0:1]
	v_mad_u64_u32 v[0:1], s[4:5], s20, v5, 0
	v_mov_b32_e32 v4, v1
	v_mad_u64_u32 v[4:5], s[4:5], s21, v5, v[4:5]
	v_mov_b32_e32 v1, v4
	v_sub_co_u32_e32 v0, vcc, v0, v2
	v_lshlrev_b32_e32 v126, 2, v125
	v_mov_b32_e32 v36, 0
	v_subb_co_u32_e32 v1, vcc, v1, v3, vcc
	s_add_i32 s3, s33, -2
	v_add_u32_e32 v127, 0x2180, v32
	v_add_u32_e32 v128, 0x2380, v32
	v_cmp_gt_u32_e64 s[0:1], 64, v22
	v_or_b32_e32 v132, 1, v126
	v_or_b32_e32 v133, 2, v126
	;; [unrolled: 1-line block ×3, first 2 shown]
	v_add_u32_e32 v135, 0x2180, v6
	v_add_u32_e32 v137, 16, v126
	;; [unrolled: 1-line block ×13, first 2 shown]
	s_add_i32 s22, s26, 64
	v_mov_b32_e32 v33, v36
	s_lshl_b64 s[8:9], s[20:21], 9
	v_lshl_add_u64 v[68:69], v[16:17], 0, v[0:1]
	s_mov_b32 s10, 0
	v_add_u32_e32 v150, v131, v7
	s_branch .LBB4_123
.LBB4_122:                              ;   in Loop: Header=BB4_123 Depth=1
	s_or_b64 exec, exec, s[4:5]
	v_mul_f32_e32 v0, v71, v79
	v_fma_f32 v0, v70, v78, -v0
	v_mul_f32_e32 v2, v73, v81
	v_add_f32_e32 v0, v30, v0
	v_fma_f32 v2, v72, v80, -v2
	v_add_f32_e32 v0, v0, v2
	v_mul_f32_e32 v2, v75, v83
	v_fma_f32 v2, v74, v82, -v2
	v_mul_f32_e32 v1, v70, v79
	v_add_f32_e32 v0, v0, v2
	v_mul_f32_e32 v2, v77, v85
	v_mul_f32_e32 v3, v72, v81
	v_fma_f32 v2, v76, v84, -v2
	v_fmac_f32_e32 v1, v71, v78
	v_mul_f32_e32 v4, v74, v83
	v_add_f32_e32 v0, v0, v2
	v_add_f32_e32 v1, v31, v1
	v_fmac_f32_e32 v3, v73, v80
	v_mul_f32_e32 v2, v87, v95
	v_mul_f32_e32 v5, v76, v85
	v_add_f32_e32 v1, v1, v3
	v_fmac_f32_e32 v4, v75, v82
	v_fma_f32 v2, v86, v94, -v2
	v_add_f32_e32 v1, v1, v4
	v_fmac_f32_e32 v5, v77, v84
	v_mul_f32_e32 v6, v86, v95
	v_add_f32_e32 v0, v0, v2
	v_mul_f32_e32 v2, v89, v97
	v_add_f32_e32 v1, v1, v5
	v_fma_f32 v2, v88, v96, -v2
	v_mul_f32_e32 v7, v88, v97
	v_fmac_f32_e32 v6, v87, v94
	v_add_f32_e32 v0, v0, v2
	v_mul_f32_e32 v2, v91, v99
	v_mul_f32_e32 v3, v90, v99
	v_add_f32_e32 v1, v1, v6
	v_fmac_f32_e32 v7, v89, v96
	v_fma_f32 v2, v90, v98, -v2
	v_mul_f32_e32 v4, v93, v101
	v_mul_f32_e32 v5, v92, v101
	v_add_f32_e32 v1, v1, v7
	v_fmac_f32_e32 v3, v91, v98
	v_fma_f32 v4, v92, v100, -v4
	v_pk_add_f32 v[0:1], v[0:1], v[2:3]
	v_fmac_f32_e32 v5, v93, v100
	v_pk_mul_f32 v[2:3], v[102:103], v[112:113] op_sel:[1,0]
	v_pk_add_f32 v[0:1], v[0:1], v[4:5]
	v_pk_fma_f32 v[4:5], v[102:103], v[112:113], v[2:3] op_sel:[0,0,1] op_sel_hi:[1,1,0] neg_lo:[0,0,1] neg_hi:[0,0,1]
	v_pk_fma_f32 v[2:3], v[102:103], v[112:113], v[2:3] op_sel:[0,0,1] op_sel_hi:[0,1,0]
	v_mov_b32_e32 v5, v3
	v_pk_mul_f32 v[2:3], v[104:105], v[8:9] op_sel:[1,0]
	v_pk_add_f32 v[0:1], v[0:1], v[4:5]
	v_pk_fma_f32 v[4:5], v[104:105], v[8:9], v[2:3] op_sel:[0,0,1] op_sel_hi:[1,1,0] neg_lo:[0,0,1] neg_hi:[0,0,1]
	v_pk_fma_f32 v[2:3], v[104:105], v[8:9], v[2:3] op_sel:[0,0,1] op_sel_hi:[0,1,0]
	v_mov_b32_e32 v5, v3
	;; [unrolled: 5-line block ×3, first 2 shown]
	v_pk_mul_f32 v[2:3], v[110:111], v[114:115] op_sel_hi:[0,1]
	v_pk_add_f32 v[0:1], v[0:1], v[4:5]
	v_pk_fma_f32 v[4:5], v[108:109], v[114:115], v[2:3] op_sel:[0,0,1] op_sel_hi:[1,1,0] neg_lo:[0,0,1] neg_hi:[0,0,1]
	v_pk_fma_f32 v[2:3], v[108:109], v[114:115], v[2:3] op_sel:[0,0,1] op_sel_hi:[0,1,0]
	v_mov_b32_e32 v5, v3
	v_pk_mul_f32 v[2:3], v[116:117], v[16:17] op_sel:[1,0]
	v_pk_add_f32 v[0:1], v[0:1], v[4:5]
	v_pk_fma_f32 v[4:5], v[116:117], v[16:17], v[2:3] op_sel:[0,0,1] op_sel_hi:[1,1,0] neg_lo:[0,0,1] neg_hi:[0,0,1]
	v_pk_fma_f32 v[2:3], v[116:117], v[16:17], v[2:3] op_sel:[0,0,1] op_sel_hi:[0,1,0]
	v_mov_b32_e32 v5, v3
	v_pk_mul_f32 v[2:3], v[118:119], v[18:19] op_sel:[1,0]
	;; [unrolled: 5-line block ×3, first 2 shown]
	v_pk_add_f32 v[0:1], v[0:1], v[6:7]
	v_pk_fma_f32 v[8:9], v[120:121], v[12:13], v[2:3] op_sel:[0,0,1] op_sel_hi:[1,1,0] neg_lo:[0,0,1] neg_hi:[0,0,1]
	v_pk_fma_f32 v[2:3], v[120:121], v[12:13], v[2:3] op_sel:[0,0,1] op_sel_hi:[0,1,0]
	v_mov_b32_e32 v9, v3
	v_pk_mul_f32 v[2:3], v[124:125], v[14:15] op_sel_hi:[0,1]
	v_pk_fma_f32 v[10:11], v[122:123], v[14:15], v[2:3] op_sel:[0,0,1] op_sel_hi:[1,1,0] neg_lo:[0,0,1] neg_hi:[0,0,1]
	v_pk_fma_f32 v[2:3], v[122:123], v[14:15], v[2:3] op_sel:[0,0,1] op_sel_hi:[0,1,0]
	v_mov_b32_e32 v11, v3
	v_pk_add_f32 v[0:1], v[0:1], v[8:9]
	s_add_i32 s4, s2, 1
	s_add_i32 s22, s22, 64
	;; [unrolled: 1-line block ×3, first 2 shown]
	v_pk_add_f32 v[30:31], v[0:1], v[10:11]
	v_lshl_add_u64 v[38:39], v[38:39], 0, s[8:9]
	v_lshl_add_u64 v[40:41], v[40:41], 0, s[8:9]
	;; [unrolled: 1-line block ×16, first 2 shown]
	s_cmp_ge_u32 s2, s33
	s_mov_b32 s2, s4
	s_barrier
	s_cbranch_scc1 .LBB4_178
.LBB4_123:                              ; =>This Inner Loop Header: Depth=1
	s_cmp_eq_u32 s3, s2
	s_cselect_b32 s23, s34, 0
	s_and_saveexec_b64 s[4:5], s[14:15]
	s_cbranch_execz .LBB4_128
; %bb.124:                              ;   in Loop: Header=BB4_123 Depth=1
	s_cmp_lg_u32 s23, 0
	s_cselect_b64 s[12:13], -1, 0
	v_cmp_le_i32_e32 vcc, s23, v111
	s_and_b64 s[12:13], s[12:13], vcc
	s_and_saveexec_b64 s[16:17], s[12:13]
	s_xor_b64 s[12:13], exec, s[16:17]
	s_cbranch_execz .LBB4_126
; %bb.125:                              ;   in Loop: Header=BB4_123 Depth=1
	v_mov_b32_e32 v37, v36
	ds_write_b64 v127, v[36:37]
.LBB4_126:                              ;   in Loop: Header=BB4_123 Depth=1
	s_andn2_saveexec_b64 s[12:13], s[12:13]
	s_cbranch_execz .LBB4_128
; %bb.127:                              ;   in Loop: Header=BB4_123 Depth=1
	s_ashr_i32 s11, s22, 31
	s_mul_i32 s12, s22, s29
	s_mul_hi_u32 s13, s22, s28
	s_add_i32 s12, s13, s12
	s_mul_i32 s11, s11, s28
	s_add_i32 s13, s12, s11
	s_mul_i32 s12, s22, s28
	v_lshl_add_u64 v[0:1], s[12:13], 3, v[34:35]
	global_load_dwordx2 v[0:1], v[0:1], off
	s_waitcnt vmcnt(0)
	ds_write_b64 v127, v[0:1]
.LBB4_128:                              ;   in Loop: Header=BB4_123 Depth=1
	s_or_b64 exec, exec, s[4:5]
	s_cmp_eq_u32 s23, 0
	s_cselect_b64 s[12:13], -1, 0
	s_cmp_lg_u32 s23, 0
	s_cselect_b64 s[16:17], -1, 0
	v_lshl_add_u64 v[0:1], v[38:39], 0, v[32:33]
	s_and_b64 vcc, exec, s[16:17]
	s_waitcnt lgkmcnt(0)
	s_barrier
	s_cbranch_vccz .LBB4_136
; %bb.129:                              ;   in Loop: Header=BB4_123 Depth=1
	s_mov_b32 s11, s10
	v_cmp_gt_i32_e32 vcc, s23, v126
	v_mov_b64_e32 v[70:71], s[10:11]
	s_and_saveexec_b64 s[4:5], vcc
	s_cbranch_execz .LBB4_131
; %bb.130:                              ;   in Loop: Header=BB4_123 Depth=1
	global_load_dwordx2 v[70:71], v[0:1], off
.LBB4_131:                              ;   in Loop: Header=BB4_123 Depth=1
	s_or_b64 exec, exec, s[4:5]
	v_cmp_gt_i32_e32 vcc, s23, v132
	v_mov_b64_e32 v[72:73], s[10:11]
	s_and_saveexec_b64 s[4:5], vcc
	s_cbranch_execz .LBB4_133
; %bb.132:                              ;   in Loop: Header=BB4_123 Depth=1
	v_lshl_add_u64 v[2:3], v[42:43], 0, v[32:33]
	global_load_dwordx2 v[72:73], v[2:3], off
.LBB4_133:                              ;   in Loop: Header=BB4_123 Depth=1
	s_or_b64 exec, exec, s[4:5]
	s_mov_b32 s11, s10
	v_cmp_gt_i32_e32 vcc, s23, v133
	v_mov_b64_e32 v[74:75], s[10:11]
	s_and_saveexec_b64 s[4:5], vcc
	s_cbranch_execz .LBB4_135
; %bb.134:                              ;   in Loop: Header=BB4_123 Depth=1
	v_lshl_add_u64 v[2:3], v[40:41], 0, v[32:33]
	global_load_dwordx2 v[74:75], v[2:3], off
.LBB4_135:                              ;   in Loop: Header=BB4_123 Depth=1
	s_or_b64 exec, exec, s[4:5]
	v_cmp_gt_i32_e64 s[4:5], s23, v134
	s_mov_b32 s11, 0
	s_branch .LBB4_138
.LBB4_136:                              ;   in Loop: Header=BB4_123 Depth=1
	s_mov_b64 s[4:5], 0
                                        ; implicit-def: $sgpr11
                                        ; implicit-def: $vgpr74_vgpr75
                                        ; implicit-def: $vgpr72_vgpr73
                                        ; implicit-def: $vgpr70_vgpr71
	s_cbranch_execz .LBB4_138
; %bb.137:                              ;   in Loop: Header=BB4_123 Depth=1
	global_load_dwordx2 v[70:71], v[0:1], off
	v_lshl_add_u64 v[0:1], v[42:43], 0, v[32:33]
	global_load_dwordx2 v[72:73], v[0:1], off
	v_lshl_add_u64 v[0:1], v[40:41], 0, v[32:33]
	global_load_dwordx2 v[74:75], v[0:1], off
	s_or_b64 s[4:5], s[4:5], exec
                                        ; implicit-def: $sgpr11
.LBB4_138:                              ;   in Loop: Header=BB4_123 Depth=1
	v_mov_b32_e32 v76, s11
	v_mov_b32_e32 v77, s11
	s_and_saveexec_b64 s[20:21], s[4:5]
	s_cbranch_execz .LBB4_140
; %bb.139:                              ;   in Loop: Header=BB4_123 Depth=1
	v_lshl_add_u64 v[0:1], v[44:45], 0, v[32:33]
	global_load_dwordx2 v[76:77], v[0:1], off
.LBB4_140:                              ;   in Loop: Header=BB4_123 Depth=1
	s_or_b64 exec, exec, s[20:21]
	ds_read_b64 v[0:1], v128
	ds_read_b64 v[78:79], v135
	v_cndmask_b32_e64 v8, 0, 1, s[16:17]
	v_cmp_ne_u32_e64 s[4:5], 1, v8
	s_andn2_b64 vcc, exec, s[16:17]
	s_waitcnt vmcnt(0) lgkmcnt(1)
	v_mul_f32_e32 v2, v71, v1
	v_mul_f32_e32 v3, v71, v0
	v_fmac_f32_e32 v2, v70, v0
	v_fma_f32 v3, v70, v1, -v3
	v_mul_f32_e32 v4, v73, v1
	ds_write_b64 v136, v[2:3]
	v_mul_f32_e32 v2, v73, v0
	v_fmac_f32_e32 v4, v72, v0
	v_fma_f32 v5, v72, v1, -v2
	v_mul_f32_e32 v2, v75, v1
	v_mul_f32_e32 v3, v75, v0
	ds_read_b64 v[80:81], v135 offset:8
	ds_write_b64 v136, v[4:5] offset:536
	v_fmac_f32_e32 v2, v74, v0
	v_fma_f32 v3, v74, v1, -v3
	ds_read_b64 v[82:83], v135 offset:16
	ds_write_b64 v136, v[2:3] offset:1072
	v_mul_f32_e32 v2, v77, v1
	v_fmac_f32_e32 v2, v76, v0
	v_mul_f32_e32 v0, v77, v0
	v_fma_f32 v3, v76, v1, -v0
	ds_read_b64 v[84:85], v135 offset:24
	ds_write_b64 v136, v[2:3] offset:1608
	s_waitcnt lgkmcnt(0)
	s_barrier
	ds_read2_b64 v[4:7], v131 offset1:1
	ds_read2_b64 v[0:3], v131 offset0:2 offset1:3
	v_lshl_add_u64 v[8:9], v[46:47], 0, v[32:33]
	s_waitcnt lgkmcnt(0)
	s_barrier
	s_cbranch_vccnz .LBB4_148
; %bb.141:                              ;   in Loop: Header=BB4_123 Depth=1
	s_mov_b32 s11, s10
	v_cmp_gt_i32_e32 vcc, s23, v137
	v_mov_b64_e32 v[86:87], s[10:11]
	s_and_saveexec_b64 s[16:17], vcc
	s_cbranch_execz .LBB4_143
; %bb.142:                              ;   in Loop: Header=BB4_123 Depth=1
	global_load_dwordx2 v[86:87], v[8:9], off
.LBB4_143:                              ;   in Loop: Header=BB4_123 Depth=1
	s_or_b64 exec, exec, s[16:17]
	v_cmp_gt_i32_e32 vcc, s23, v138
	v_mov_b64_e32 v[88:89], s[10:11]
	s_and_saveexec_b64 s[16:17], vcc
	s_cbranch_execz .LBB4_145
; %bb.144:                              ;   in Loop: Header=BB4_123 Depth=1
	v_lshl_add_u64 v[10:11], v[48:49], 0, v[32:33]
	global_load_dwordx2 v[88:89], v[10:11], off
.LBB4_145:                              ;   in Loop: Header=BB4_123 Depth=1
	s_or_b64 exec, exec, s[16:17]
	s_mov_b32 s11, s10
	v_cmp_gt_i32_e32 vcc, s23, v139
	v_mov_b64_e32 v[90:91], s[10:11]
	s_and_saveexec_b64 s[16:17], vcc
	s_cbranch_execz .LBB4_147
; %bb.146:                              ;   in Loop: Header=BB4_123 Depth=1
	v_lshl_add_u64 v[10:11], v[50:51], 0, v[32:33]
	global_load_dwordx2 v[90:91], v[10:11], off
.LBB4_147:                              ;   in Loop: Header=BB4_123 Depth=1
	s_or_b64 exec, exec, s[16:17]
	v_cmp_gt_i32_e64 s[16:17], s23, v140
	s_mov_b32 s11, 0
	s_branch .LBB4_150
.LBB4_148:                              ;   in Loop: Header=BB4_123 Depth=1
	s_mov_b64 s[16:17], 0
                                        ; implicit-def: $sgpr11
                                        ; implicit-def: $vgpr90_vgpr91
                                        ; implicit-def: $vgpr88_vgpr89
                                        ; implicit-def: $vgpr86_vgpr87
	s_cbranch_execz .LBB4_150
; %bb.149:                              ;   in Loop: Header=BB4_123 Depth=1
	global_load_dwordx2 v[86:87], v[8:9], off
	v_lshl_add_u64 v[8:9], v[48:49], 0, v[32:33]
	global_load_dwordx2 v[88:89], v[8:9], off
	v_lshl_add_u64 v[8:9], v[50:51], 0, v[32:33]
	global_load_dwordx2 v[90:91], v[8:9], off
	s_or_b64 s[16:17], s[16:17], exec
                                        ; implicit-def: $sgpr11
.LBB4_150:                              ;   in Loop: Header=BB4_123 Depth=1
	v_mov_b32_e32 v92, s11
	v_mov_b32_e32 v93, s11
	s_and_saveexec_b64 s[20:21], s[16:17]
	s_cbranch_execz .LBB4_152
; %bb.151:                              ;   in Loop: Header=BB4_123 Depth=1
	v_lshl_add_u64 v[8:9], v[52:53], 0, v[32:33]
	global_load_dwordx2 v[92:93], v[8:9], off
.LBB4_152:                              ;   in Loop: Header=BB4_123 Depth=1
	s_or_b64 exec, exec, s[20:21]
	ds_read_b64 v[8:9], v128
	ds_read_b64 v[94:95], v135 offset:128
	s_and_b64 vcc, exec, s[4:5]
	s_waitcnt vmcnt(0) lgkmcnt(1)
	v_mul_f32_e32 v10, v87, v9
	v_mul_f32_e32 v11, v87, v8
	v_fmac_f32_e32 v10, v86, v8
	v_fma_f32 v11, v86, v9, -v11
	v_mul_f32_e32 v12, v89, v9
	ds_write_b64 v136, v[10:11]
	v_mul_f32_e32 v10, v89, v8
	v_fmac_f32_e32 v12, v88, v8
	v_fma_f32 v13, v88, v9, -v10
	v_mul_f32_e32 v10, v91, v9
	v_mul_f32_e32 v11, v91, v8
	ds_read_b64 v[96:97], v135 offset:136
	ds_write_b64 v136, v[12:13] offset:536
	v_fmac_f32_e32 v10, v90, v8
	v_fma_f32 v11, v90, v9, -v11
	ds_read_b64 v[98:99], v135 offset:144
	ds_write_b64 v136, v[10:11] offset:1072
	v_mul_f32_e32 v10, v93, v9
	v_fmac_f32_e32 v10, v92, v8
	v_mul_f32_e32 v8, v93, v8
	v_fma_f32 v11, v92, v9, -v8
	ds_read_b64 v[100:101], v135 offset:152
	ds_write_b64 v136, v[10:11] offset:1608
	s_waitcnt lgkmcnt(0)
	s_barrier
	ds_read2_b64 v[16:19], v131 offset1:1
	ds_read2_b64 v[12:15], v131 offset0:2 offset1:3
	v_lshl_add_u64 v[8:9], v[54:55], 0, v[32:33]
	s_waitcnt lgkmcnt(0)
	s_barrier
	s_cbranch_vccnz .LBB4_160
; %bb.153:                              ;   in Loop: Header=BB4_123 Depth=1
	s_mov_b32 s11, s10
	v_cmp_gt_i32_e32 vcc, s23, v141
	v_mov_b64_e32 v[102:103], s[10:11]
	s_and_saveexec_b64 s[16:17], vcc
	s_cbranch_execz .LBB4_155
; %bb.154:                              ;   in Loop: Header=BB4_123 Depth=1
	global_load_dwordx2 v[102:103], v[8:9], off
.LBB4_155:                              ;   in Loop: Header=BB4_123 Depth=1
	s_or_b64 exec, exec, s[16:17]
	v_cmp_gt_i32_e32 vcc, s23, v142
	v_mov_b64_e32 v[104:105], s[10:11]
	s_and_saveexec_b64 s[16:17], vcc
	s_cbranch_execz .LBB4_157
; %bb.156:                              ;   in Loop: Header=BB4_123 Depth=1
	v_lshl_add_u64 v[10:11], v[56:57], 0, v[32:33]
	global_load_dwordx2 v[104:105], v[10:11], off
.LBB4_157:                              ;   in Loop: Header=BB4_123 Depth=1
	s_or_b64 exec, exec, s[16:17]
	s_mov_b32 s11, s10
	v_cmp_gt_i32_e32 vcc, s23, v143
	v_mov_b64_e32 v[106:107], s[10:11]
	s_and_saveexec_b64 s[16:17], vcc
	s_cbranch_execz .LBB4_159
; %bb.158:                              ;   in Loop: Header=BB4_123 Depth=1
	v_lshl_add_u64 v[10:11], v[58:59], 0, v[32:33]
	global_load_dwordx2 v[106:107], v[10:11], off
.LBB4_159:                              ;   in Loop: Header=BB4_123 Depth=1
	s_or_b64 exec, exec, s[16:17]
	v_cmp_gt_i32_e64 s[16:17], s23, v144
	s_mov_b32 s11, 0
	s_branch .LBB4_162
.LBB4_160:                              ;   in Loop: Header=BB4_123 Depth=1
	s_mov_b64 s[16:17], 0
                                        ; implicit-def: $sgpr11
                                        ; implicit-def: $vgpr106_vgpr107
                                        ; implicit-def: $vgpr104_vgpr105
                                        ; implicit-def: $vgpr102_vgpr103
	s_cbranch_execz .LBB4_162
; %bb.161:                              ;   in Loop: Header=BB4_123 Depth=1
	global_load_dwordx2 v[102:103], v[8:9], off
	v_lshl_add_u64 v[8:9], v[56:57], 0, v[32:33]
	global_load_dwordx2 v[104:105], v[8:9], off
	v_lshl_add_u64 v[8:9], v[58:59], 0, v[32:33]
	global_load_dwordx2 v[106:107], v[8:9], off
	s_or_b64 s[16:17], s[16:17], exec
                                        ; implicit-def: $sgpr11
.LBB4_162:                              ;   in Loop: Header=BB4_123 Depth=1
	v_mov_b32_e32 v108, s11
	v_mov_b32_e32 v110, s11
	s_and_saveexec_b64 s[20:21], s[16:17]
	s_cbranch_execz .LBB4_164
; %bb.163:                              ;   in Loop: Header=BB4_123 Depth=1
	v_lshl_add_u64 v[8:9], v[60:61], 0, v[32:33]
	global_load_dwordx2 v[108:109], v[8:9], off
	s_waitcnt vmcnt(0)
	v_mov_b32_e32 v110, v109
.LBB4_164:                              ;   in Loop: Header=BB4_123 Depth=1
	s_or_b64 exec, exec, s[20:21]
	ds_read_b64 v[8:9], v128
	ds_read_b64 v[112:113], v135 offset:256
	s_and_b64 vcc, exec, s[4:5]
	v_lshl_add_u64 v[122:123], v[62:63], 0, v[32:33]
	s_waitcnt vmcnt(0) lgkmcnt(1)
	v_mul_f32_e32 v10, v103, v9
	v_mul_f32_e32 v11, v103, v8
	;; [unrolled: 1-line block ×4, first 2 shown]
	v_fmac_f32_e32 v10, v102, v8
	v_fma_f32 v11, v102, v9, -v11
	v_fmac_f32_e32 v20, v104, v8
	v_fma_f32 v21, v104, v9, -v21
	ds_write2_b64 v136, v[10:11], v[20:21] offset1:67
	v_mul_f32_e32 v10, v107, v9
	v_mul_f32_e32 v20, v110, v9
	v_fmac_f32_e32 v10, v106, v8
	v_mul_f32_e32 v11, v107, v8
	v_fmac_f32_e32 v20, v108, v8
	v_mul_f32_e32 v8, v110, v8
	v_fma_f32 v11, v106, v9, -v11
	v_fma_f32 v21, v108, v9, -v8
	ds_write2_b64 v136, v[10:11], v[20:21] offset0:134 offset1:201
	ds_read2_b64 v[8:11], v135 offset0:33 offset1:34
	ds_read_b64 v[114:115], v135 offset:280
	s_waitcnt lgkmcnt(0)
	s_barrier
	ds_read2_b64 v[24:27], v131 offset1:1
	ds_read2_b64 v[20:23], v131 offset0:2 offset1:3
	s_waitcnt lgkmcnt(0)
	s_barrier
	s_cbranch_vccnz .LBB4_172
; %bb.165:                              ;   in Loop: Header=BB4_123 Depth=1
	s_mov_b32 s11, s10
	v_cmp_gt_i32_e32 vcc, s23, v145
	v_mov_b64_e32 v[116:117], s[10:11]
	s_and_saveexec_b64 s[4:5], vcc
	s_cbranch_execz .LBB4_167
; %bb.166:                              ;   in Loop: Header=BB4_123 Depth=1
	global_load_dwordx2 v[116:117], v[122:123], off
.LBB4_167:                              ;   in Loop: Header=BB4_123 Depth=1
	s_or_b64 exec, exec, s[4:5]
	v_cmp_gt_i32_e32 vcc, s23, v146
	v_mov_b64_e32 v[118:119], s[10:11]
	s_and_saveexec_b64 s[4:5], vcc
	s_cbranch_execz .LBB4_169
; %bb.168:                              ;   in Loop: Header=BB4_123 Depth=1
	v_lshl_add_u64 v[118:119], v[64:65], 0, v[32:33]
	global_load_dwordx2 v[118:119], v[118:119], off
.LBB4_169:                              ;   in Loop: Header=BB4_123 Depth=1
	s_or_b64 exec, exec, s[4:5]
	s_mov_b32 s11, s10
	v_cmp_gt_i32_e32 vcc, s23, v147
	v_mov_b64_e32 v[120:121], s[10:11]
	s_and_saveexec_b64 s[4:5], vcc
	s_cbranch_execz .LBB4_171
; %bb.170:                              ;   in Loop: Header=BB4_123 Depth=1
	v_lshl_add_u64 v[120:121], v[66:67], 0, v[32:33]
	global_load_dwordx2 v[120:121], v[120:121], off
.LBB4_171:                              ;   in Loop: Header=BB4_123 Depth=1
	s_or_b64 exec, exec, s[4:5]
	v_cmp_gt_i32_e64 s[4:5], s23, v148
	s_mov_b32 s11, 0
	s_branch .LBB4_174
.LBB4_172:                              ;   in Loop: Header=BB4_123 Depth=1
	s_mov_b64 s[4:5], 0
                                        ; implicit-def: $sgpr11
                                        ; implicit-def: $vgpr120_vgpr121
                                        ; implicit-def: $vgpr118_vgpr119
                                        ; implicit-def: $vgpr116_vgpr117
	s_cbranch_execz .LBB4_174
; %bb.173:                              ;   in Loop: Header=BB4_123 Depth=1
	s_waitcnt vmcnt(0)
	v_lshl_add_u64 v[118:119], v[64:65], 0, v[32:33]
	v_lshl_add_u64 v[120:121], v[66:67], 0, v[32:33]
	global_load_dwordx2 v[116:117], v[122:123], off
	s_or_b64 s[4:5], s[4:5], exec
	global_load_dwordx2 v[118:119], v[118:119], off
                                        ; implicit-def: $sgpr11
	s_nop 0
	global_load_dwordx2 v[120:121], v[120:121], off
.LBB4_174:                              ;   in Loop: Header=BB4_123 Depth=1
	v_mov_b32_e32 v122, s11
	v_mov_b32_e32 v124, s11
	s_and_saveexec_b64 s[16:17], s[4:5]
	s_cbranch_execz .LBB4_176
; %bb.175:                              ;   in Loop: Header=BB4_123 Depth=1
	v_lshl_add_u64 v[122:123], v[68:69], 0, v[32:33]
	global_load_dwordx2 v[122:123], v[122:123], off
	s_waitcnt vmcnt(0)
	v_mov_b32_e32 v124, v123
.LBB4_176:                              ;   in Loop: Header=BB4_123 Depth=1
	s_or_b64 exec, exec, s[16:17]
	v_pk_add_f32 v[24:25], v[24:25], 0 op_sel_hi:[1,0]
	v_pk_add_f32 v[16:17], v[16:17], 0 op_sel_hi:[1,0]
	v_pk_add_f32 v[24:25], v[24:25], v[26:27]
	v_pk_add_f32 v[16:17], v[16:17], v[18:19]
	;; [unrolled: 1-line block ×5, first 2 shown]
	ds_read_b64 v[20:21], v128
	v_pk_add_f32 v[26:27], v[12:13], v[14:15]
	v_pk_add_f32 v[4:5], v[4:5], 0 op_sel_hi:[1,0]
	v_cmp_gt_i32_e32 vcc, s23, v111
	v_pk_add_f32 v[152:153], v[4:5], v[6:7]
	s_waitcnt vmcnt(0) lgkmcnt(0)
	v_mul_f32_e32 v12, v117, v21
	v_mul_f32_e32 v13, v117, v20
	;; [unrolled: 1-line block ×4, first 2 shown]
	v_fmac_f32_e32 v12, v116, v20
	v_fma_f32 v13, v116, v21, -v13
	v_fmac_f32_e32 v14, v118, v20
	v_fma_f32 v15, v118, v21, -v15
	ds_write2_b64 v136, v[12:13], v[14:15] offset1:67
	v_mul_f32_e32 v12, v121, v21
	v_mul_f32_e32 v13, v121, v20
	v_mul_f32_e32 v14, v124, v21
	v_mul_f32_e32 v15, v124, v20
	v_fmac_f32_e32 v12, v120, v20
	v_fma_f32 v13, v120, v21, -v13
	v_fmac_f32_e32 v14, v122, v20
	v_fma_f32 v15, v122, v21, -v15
	ds_write2_b64 v136, v[12:13], v[14:15] offset0:134 offset1:201
	ds_read_b128 v[16:19], v135 offset:384
	ds_read_b128 v[12:15], v135 offset:400
	s_waitcnt lgkmcnt(0)
	s_barrier
	ds_read2_b64 v[20:23], v131 offset1:1
	ds_read2_b64 v[4:7], v131 offset0:2 offset1:3
	v_pk_add_f32 v[0:1], v[152:153], v[0:1]
	s_or_b64 s[4:5], s[12:13], vcc
	v_pk_add_f32 v[0:1], v[0:1], v[2:3]
	s_waitcnt lgkmcnt(1)
	v_pk_add_f32 v[2:3], v[20:21], 0 op_sel_hi:[1,0]
	s_and_b64 s[12:13], s[0:1], s[4:5]
	v_pk_add_f32 v[2:3], v[2:3], v[22:23]
	s_waitcnt lgkmcnt(0)
	v_pk_add_f32 v[2:3], v[2:3], v[4:5]
	s_barrier
	v_pk_add_f32 v[2:3], v[2:3], v[6:7]
	ds_write2_b64 v150, v[0:1], v[26:27] offset1:16
	ds_write2_b64 v150, v[24:25], v[2:3] offset0:32 offset1:48
	s_waitcnt lgkmcnt(0)
	s_barrier
	s_and_saveexec_b64 s[4:5], s[12:13]
	s_cbranch_execz .LBB4_122
; %bb.177:                              ;   in Loop: Header=BB4_123 Depth=1
	ds_read_b64 v[20:21], v129
	ds_read2_b64 v[0:3], v129 offset0:1 offset1:2
	ds_read2_b64 v[4:7], v129 offset0:3 offset1:4
	v_add_u32_e32 v22, s22, v149
	v_ashrrev_i32_e32 v23, 31, v22
	v_lshl_add_u64 v[24:25], v[22:23], 3, s[6:7]
	s_waitcnt lgkmcnt(1)
	v_add_f32_e32 v0, v0, v20
	v_add_f32_e32 v1, v1, v21
	;; [unrolled: 1-line block ×4, first 2 shown]
	ds_read2_b64 v[0:3], v129 offset0:5 offset1:6
	s_waitcnt lgkmcnt(1)
	v_add_f32_e32 v4, v20, v4
	v_add_f32_e32 v5, v21, v5
	v_add_f32_e32 v20, v4, v6
	v_add_f32_e32 v21, v5, v7
	ds_read2_b64 v[4:7], v129 offset0:7 offset1:8
	s_waitcnt lgkmcnt(1)
	v_pk_add_f32 v[0:1], v[20:21], v[0:1]
	ds_read2_b64 v[20:23], v129 offset0:9 offset1:10
	v_pk_add_f32 v[0:1], v[0:1], v[2:3]
	s_waitcnt lgkmcnt(1)
	v_pk_add_f32 v[0:1], v[0:1], v[4:5]
	s_nop 0
	v_pk_add_f32 v[4:5], v[0:1], v[6:7]
	ds_read2_b64 v[0:3], v129 offset0:11 offset1:12
	s_waitcnt lgkmcnt(1)
	v_pk_add_f32 v[20:21], v[4:5], v[20:21]
	ds_read2_b64 v[4:7], v129 offset0:13 offset1:14
	v_pk_add_f32 v[20:21], v[20:21], v[22:23]
	ds_read_b64 v[22:23], v130
	s_waitcnt lgkmcnt(2)
	v_pk_add_f32 v[0:1], v[20:21], v[0:1]
	s_nop 0
	v_pk_add_f32 v[0:1], v[0:1], v[2:3]
	s_waitcnt lgkmcnt(1)
	v_pk_add_f32 v[0:1], v[0:1], v[4:5]
	s_nop 0
	v_pk_add_f32 v[0:1], v[0:1], v[6:7]
	s_waitcnt lgkmcnt(0)
	v_pk_add_f32 v[0:1], v[0:1], v[22:23]
	global_store_dwordx2 v[24:25], v[0:1], off
	s_branch .LBB4_122
.LBB4_178:
	s_movk_i32 s0, 0x218
	v_cmp_gt_i32_e32 vcc, s24, v111
	v_mad_u32_u24 v0, v125, s0, v32
	s_or_b64 s[0:1], s[18:19], vcc
	s_and_b64 s[0:1], s[14:15], s[0:1]
	ds_write_b64 v0, v[30:31]
	s_waitcnt lgkmcnt(0)
	s_barrier
	s_and_saveexec_b64 s[2:3], s[0:1]
	s_cbranch_execz .LBB4_180
; %bb.179:
	ds_read2_b64 v[0:3], v32 offset1:67
	ds_read2_b64 v[4:7], v32 offset0:134 offset1:201
	v_lshl_add_u64 v[8:9], v[28:29], 3, s[6:7]
	s_waitcnt lgkmcnt(1)
	v_pk_add_f32 v[0:1], v[2:3], v[0:1]
	s_waitcnt lgkmcnt(0)
	v_pk_add_f32 v[0:1], v[0:1], v[4:5]
	s_nop 0
	v_pk_add_f32 v[0:1], v[0:1], v[6:7]
	global_store_dwordx2 v[8:9], v[0:1], off
.LBB4_180:
	s_endpgm
	.section	.rodata,"a",@progbits
	.p2align	6, 0x0
	.amdhsa_kernel _ZL26rocblas_hemvn_kernel_upperILb1ELi64ELi4ELi33ELi32ELi16El19rocblas_complex_numIfEPKS1_PS1_EviT6_lT7_lT5_lS6_lS7_lS5_lT8_i
		.amdhsa_group_segment_fixed_size 9600
		.amdhsa_private_segment_fixed_size 0
		.amdhsa_kernarg_size 376
		.amdhsa_user_sgpr_count 2
		.amdhsa_user_sgpr_dispatch_ptr 0
		.amdhsa_user_sgpr_queue_ptr 0
		.amdhsa_user_sgpr_kernarg_segment_ptr 1
		.amdhsa_user_sgpr_dispatch_id 0
		.amdhsa_user_sgpr_kernarg_preload_length 0
		.amdhsa_user_sgpr_kernarg_preload_offset 0
		.amdhsa_user_sgpr_private_segment_size 0
		.amdhsa_uses_dynamic_stack 0
		.amdhsa_enable_private_segment 0
		.amdhsa_system_sgpr_workgroup_id_x 1
		.amdhsa_system_sgpr_workgroup_id_y 0
		.amdhsa_system_sgpr_workgroup_id_z 1
		.amdhsa_system_sgpr_workgroup_info 0
		.amdhsa_system_vgpr_workitem_id 1
		.amdhsa_next_free_vgpr 154
		.amdhsa_next_free_sgpr 39
		.amdhsa_accum_offset 156
		.amdhsa_reserve_vcc 1
		.amdhsa_float_round_mode_32 0
		.amdhsa_float_round_mode_16_64 0
		.amdhsa_float_denorm_mode_32 3
		.amdhsa_float_denorm_mode_16_64 3
		.amdhsa_dx10_clamp 1
		.amdhsa_ieee_mode 1
		.amdhsa_fp16_overflow 0
		.amdhsa_tg_split 0
		.amdhsa_exception_fp_ieee_invalid_op 0
		.amdhsa_exception_fp_denorm_src 0
		.amdhsa_exception_fp_ieee_div_zero 0
		.amdhsa_exception_fp_ieee_overflow 0
		.amdhsa_exception_fp_ieee_underflow 0
		.amdhsa_exception_fp_ieee_inexact 0
		.amdhsa_exception_int_div_zero 0
	.end_amdhsa_kernel
	.section	.text._ZL26rocblas_hemvn_kernel_upperILb1ELi64ELi4ELi33ELi32ELi16El19rocblas_complex_numIfEPKS1_PS1_EviT6_lT7_lT5_lS6_lS7_lS5_lT8_i,"axG",@progbits,_ZL26rocblas_hemvn_kernel_upperILb1ELi64ELi4ELi33ELi32ELi16El19rocblas_complex_numIfEPKS1_PS1_EviT6_lT7_lT5_lS6_lS7_lS5_lT8_i,comdat
.Lfunc_end4:
	.size	_ZL26rocblas_hemvn_kernel_upperILb1ELi64ELi4ELi33ELi32ELi16El19rocblas_complex_numIfEPKS1_PS1_EviT6_lT7_lT5_lS6_lS7_lS5_lT8_i, .Lfunc_end4-_ZL26rocblas_hemvn_kernel_upperILb1ELi64ELi4ELi33ELi32ELi16El19rocblas_complex_numIfEPKS1_PS1_EviT6_lT7_lT5_lS6_lS7_lS5_lT8_i
                                        ; -- End function
	.section	.AMDGPU.csdata,"",@progbits
; Kernel info:
; codeLenInByte = 9116
; NumSgprs: 45
; NumVgprs: 154
; NumAgprs: 0
; TotalNumVgprs: 154
; ScratchSize: 0
; MemoryBound: 1
; FloatMode: 240
; IeeeMode: 1
; LDSByteSize: 9600 bytes/workgroup (compile time only)
; SGPRBlocks: 5
; VGPRBlocks: 19
; NumSGPRsForWavesPerEU: 45
; NumVGPRsForWavesPerEU: 154
; AccumOffset: 156
; Occupancy: 3
; WaveLimiterHint : 0
; COMPUTE_PGM_RSRC2:SCRATCH_EN: 0
; COMPUTE_PGM_RSRC2:USER_SGPR: 2
; COMPUTE_PGM_RSRC2:TRAP_HANDLER: 0
; COMPUTE_PGM_RSRC2:TGID_X_EN: 1
; COMPUTE_PGM_RSRC2:TGID_Y_EN: 0
; COMPUTE_PGM_RSRC2:TGID_Z_EN: 1
; COMPUTE_PGM_RSRC2:TIDIG_COMP_CNT: 1
; COMPUTE_PGM_RSRC3_GFX90A:ACCUM_OFFSET: 38
; COMPUTE_PGM_RSRC3_GFX90A:TG_SPLIT: 0
	.section	.text._ZL36rocblas_hemvn_kernel_upper_block_sumILi64El19rocblas_complex_numIfEPS1_S1_EviT1_lS3_lT2_lT0_lPT3_i,"axG",@progbits,_ZL36rocblas_hemvn_kernel_upper_block_sumILi64El19rocblas_complex_numIfEPS1_S1_EviT1_lS3_lT2_lT0_lPT3_i,comdat
	.globl	_ZL36rocblas_hemvn_kernel_upper_block_sumILi64El19rocblas_complex_numIfEPS1_S1_EviT1_lS3_lT2_lT0_lPT3_i ; -- Begin function _ZL36rocblas_hemvn_kernel_upper_block_sumILi64El19rocblas_complex_numIfEPS1_S1_EviT1_lS3_lT2_lT0_lPT3_i
	.p2align	8
	.type	_ZL36rocblas_hemvn_kernel_upper_block_sumILi64El19rocblas_complex_numIfEPS1_S1_EviT1_lS3_lT2_lT0_lPT3_i,@function
_ZL36rocblas_hemvn_kernel_upper_block_sumILi64El19rocblas_complex_numIfEPS1_S1_EviT1_lS3_lT2_lT0_lPT3_i: ; @_ZL36rocblas_hemvn_kernel_upper_block_sumILi64El19rocblas_complex_numIfEPS1_S1_EviT1_lS3_lT2_lT0_lPT3_i
; %bb.0:
	s_load_dwordx4 s[12:15], s[0:1], 0x0
	s_load_dwordx2 s[16:17], s[0:1], 0x18
	s_waitcnt lgkmcnt(0)
	s_or_b32 s4, s13, s14
	s_bitset0_b32 s4, 31
	s_cmp_eq_u32 s4, 0
	v_cmp_eq_f32_e64 s[4:5], s16, 1.0
	v_cmp_eq_f32_e64 s[6:7], s17, 0
	s_mov_b32 s19, s14
	s_cselect_b64 s[14:15], -1, 0
	s_and_b64 s[4:5], s[4:5], s[6:7]
	s_and_b64 s[4:5], s[14:15], s[4:5]
	s_and_b64 vcc, exec, s[4:5]
	s_cbranch_vccnz .LBB5_17
; %bb.1:
	s_load_dwordx8 s[4:11], s[0:1], 0x30
	s_load_dwordx2 s[20:21], s[0:1], 0x28
	s_mov_b32 s18, s13
	v_lshl_or_b32 v0, s2, 6, v0
	s_waitcnt lgkmcnt(0)
	s_mul_i32 s9, s3, s9
	s_mul_hi_u32 s13, s3, s8
	s_mul_i32 s8, s3, s8
	s_add_i32 s9, s13, s9
	s_lshl_b64 s[8:9], s[8:9], 3
	s_add_u32 s8, s20, s8
	s_addc_u32 s9, s21, s9
	s_lshl_b64 s[4:5], s[4:5], 3
	s_add_u32 s8, s8, s4
	s_addc_u32 s9, s9, s5
	s_mov_b64 s[20:21], -1
	s_andn2_b64 vcc, exec, s[14:15]
	v_cmp_gt_i32_e64 s[4:5], s12, v0
	s_cbranch_vccnz .LBB5_7
; %bb.2:
	s_and_saveexec_b64 s[14:15], s[4:5]
	s_cbranch_execz .LBB5_6
; %bb.3:
	v_ashrrev_i32_e32 v1, 31, v0
	v_cmp_neq_f32_e64 s[4:5], s16, 0
	v_cmp_neq_f32_e64 s[20:21], s17, 0
	v_mul_lo_u32 v4, v0, s7
	v_mul_lo_u32 v1, v1, s6
	v_mad_u64_u32 v[2:3], s[22:23], v0, s6, 0
	v_add3_u32 v3, v3, v4, v1
	s_or_b64 s[4:5], s[4:5], s[20:21]
	s_andn2_b64 vcc, exec, s[4:5]
	v_mov_b32_e32 v4, 0
	v_lshl_add_u64 v[2:3], v[2:3], 3, s[8:9]
	v_mov_b32_e32 v5, 0
	s_cbranch_vccnz .LBB5_5
; %bb.4:
	global_load_dwordx2 v[6:7], v[2:3], off
	s_waitcnt vmcnt(0)
	v_pk_mul_f32 v[8:9], v[6:7], s[16:17] op_sel:[1,0]
	s_nop 0
	v_pk_fma_f32 v[4:5], v[6:7], s[16:17], v[8:9] op_sel:[0,0,1] op_sel_hi:[1,1,0] neg_lo:[0,0,1] neg_hi:[0,0,1]
	v_pk_fma_f32 v[6:7], v[6:7], s[16:17], v[8:9] op_sel:[0,0,1] op_sel_hi:[0,1,0]
	v_mov_b32_e32 v5, v7
.LBB5_5:
	global_store_dwordx2 v[2:3], v[4:5], off
.LBB5_6:
	s_or_b64 exec, exec, s[14:15]
	s_mov_b64 s[20:21], 0
.LBB5_7:
	s_andn2_b64 vcc, exec, s[20:21]
	s_cbranch_vccnz .LBB5_17
; %bb.8:
	v_cmp_gt_i32_e32 vcc, s12, v0
	s_and_saveexec_b64 s[4:5], vcc
	s_cbranch_execz .LBB5_17
; %bb.9:
	v_mov_b32_e32 v3, 0
	v_ashrrev_i32_e32 v1, 31, v0
	s_cmp_lt_i32 s2, 0
	v_mov_b32_e32 v2, v3
	s_cbranch_scc1 .LBB5_12
; %bb.10:
	s_load_dword s0, s[0:1], 0x58
	s_ashr_i32 s13, s12, 31
	s_mul_hi_u32 s1, s12, s3
	s_mul_i32 s4, s13, s3
	s_add_i32 s1, s1, s4
	s_mul_i32 s3, s12, s3
	s_waitcnt lgkmcnt(0)
	s_mul_i32 s1, s1, s0
	s_mul_hi_u32 s4, s3, s0
	s_add_i32 s1, s4, s1
	s_mul_i32 s0, s3, s0
	s_lshl_b64 s[0:1], s[0:1], 3
	s_add_u32 s0, s10, s0
	s_addc_u32 s1, s11, s1
	v_mov_b32_e32 v2, 0
	v_lshl_add_u64 v[4:5], v[0:1], 3, s[0:1]
	s_add_i32 s2, s2, 1
	s_lshl_b64 s[0:1], s[12:13], 3
	v_mov_b32_e32 v3, v2
.LBB5_11:                               ; =>This Inner Loop Header: Depth=1
	global_load_dwordx2 v[6:7], v[4:5], off
	s_add_i32 s2, s2, -1
	v_lshl_add_u64 v[4:5], v[4:5], 0, s[0:1]
	s_cmp_eq_u32 s2, 0
	s_waitcnt vmcnt(0)
	v_pk_add_f32 v[2:3], v[2:3], v[6:7]
	s_cbranch_scc0 .LBB5_11
.LBB5_12:
	v_cmp_neq_f32_e64 s[0:1], s16, 0
	v_cmp_neq_f32_e64 s[2:3], s17, 0
	s_or_b64 s[0:1], s[0:1], s[2:3]
	v_pk_mul_f32 v[8:9], v[2:3], s[18:19] op_sel:[1,0]
	s_andn2_b64 vcc, exec, s[0:1]
	v_pk_fma_f32 v[4:5], v[2:3], s[18:19], v[8:9] op_sel:[0,0,1] op_sel_hi:[0,1,0]
	v_mul_lo_u32 v1, v1, s6
	v_mul_lo_u32 v10, v0, s7
	s_cbranch_vccz .LBB5_14
; %bb.13:
	v_pk_mul_f32 v[12:13], v[2:3], s[18:19] op_sel_hi:[0,1]
	v_mad_u64_u32 v[6:7], s[0:1], v0, s6, 0
	v_add3_u32 v7, v7, v10, v1
	v_sub_f32_e32 v4, v12, v9
	s_cbranch_execz .LBB5_15
	s_branch .LBB5_16
.LBB5_14:
                                        ; implicit-def: $vgpr6_vgpr7
.LBB5_15:
	v_mad_u64_u32 v[6:7], s[0:1], v0, s6, 0
	v_add3_u32 v7, v7, v10, v1
	v_lshl_add_u64 v[0:1], v[6:7], 3, s[8:9]
	global_load_dwordx2 v[0:1], v[0:1], off
	v_pk_fma_f32 v[2:3], v[2:3], s[18:19], v[8:9] op_sel:[0,0,1] op_sel_hi:[1,1,0] neg_lo:[0,0,1] neg_hi:[0,0,1]
	s_waitcnt vmcnt(0)
	v_pk_mul_f32 v[8:9], v[0:1], s[16:17] op_sel:[1,0]
	s_nop 0
	v_pk_fma_f32 v[10:11], v[0:1], s[16:17], v[8:9] op_sel:[0,0,1] op_sel_hi:[1,1,0] neg_lo:[0,0,1] neg_hi:[0,0,1]
	v_pk_fma_f32 v[0:1], v[0:1], s[16:17], v[8:9] op_sel:[0,0,1] op_sel_hi:[0,1,0]
	v_mov_b32_e32 v11, v1
	v_mov_b32_e32 v3, v5
	v_pk_add_f32 v[4:5], v[2:3], v[10:11]
.LBB5_16:
	v_lshl_add_u64 v[0:1], v[6:7], 3, s[8:9]
	global_store_dwordx2 v[0:1], v[4:5], off
.LBB5_17:
	s_endpgm
	.section	.rodata,"a",@progbits
	.p2align	6, 0x0
	.amdhsa_kernel _ZL36rocblas_hemvn_kernel_upper_block_sumILi64El19rocblas_complex_numIfEPS1_S1_EviT1_lS3_lT2_lT0_lPT3_i
		.amdhsa_group_segment_fixed_size 0
		.amdhsa_private_segment_fixed_size 0
		.amdhsa_kernarg_size 344
		.amdhsa_user_sgpr_count 2
		.amdhsa_user_sgpr_dispatch_ptr 0
		.amdhsa_user_sgpr_queue_ptr 0
		.amdhsa_user_sgpr_kernarg_segment_ptr 1
		.amdhsa_user_sgpr_dispatch_id 0
		.amdhsa_user_sgpr_kernarg_preload_length 0
		.amdhsa_user_sgpr_kernarg_preload_offset 0
		.amdhsa_user_sgpr_private_segment_size 0
		.amdhsa_uses_dynamic_stack 0
		.amdhsa_enable_private_segment 0
		.amdhsa_system_sgpr_workgroup_id_x 1
		.amdhsa_system_sgpr_workgroup_id_y 0
		.amdhsa_system_sgpr_workgroup_id_z 1
		.amdhsa_system_sgpr_workgroup_info 0
		.amdhsa_system_vgpr_workitem_id 0
		.amdhsa_next_free_vgpr 14
		.amdhsa_next_free_sgpr 24
		.amdhsa_accum_offset 16
		.amdhsa_reserve_vcc 1
		.amdhsa_float_round_mode_32 0
		.amdhsa_float_round_mode_16_64 0
		.amdhsa_float_denorm_mode_32 3
		.amdhsa_float_denorm_mode_16_64 3
		.amdhsa_dx10_clamp 1
		.amdhsa_ieee_mode 1
		.amdhsa_fp16_overflow 0
		.amdhsa_tg_split 0
		.amdhsa_exception_fp_ieee_invalid_op 0
		.amdhsa_exception_fp_denorm_src 0
		.amdhsa_exception_fp_ieee_div_zero 0
		.amdhsa_exception_fp_ieee_overflow 0
		.amdhsa_exception_fp_ieee_underflow 0
		.amdhsa_exception_fp_ieee_inexact 0
		.amdhsa_exception_int_div_zero 0
	.end_amdhsa_kernel
	.section	.text._ZL36rocblas_hemvn_kernel_upper_block_sumILi64El19rocblas_complex_numIfEPS1_S1_EviT1_lS3_lT2_lT0_lPT3_i,"axG",@progbits,_ZL36rocblas_hemvn_kernel_upper_block_sumILi64El19rocblas_complex_numIfEPS1_S1_EviT1_lS3_lT2_lT0_lPT3_i,comdat
.Lfunc_end5:
	.size	_ZL36rocblas_hemvn_kernel_upper_block_sumILi64El19rocblas_complex_numIfEPS1_S1_EviT1_lS3_lT2_lT0_lPT3_i, .Lfunc_end5-_ZL36rocblas_hemvn_kernel_upper_block_sumILi64El19rocblas_complex_numIfEPS1_S1_EviT1_lS3_lT2_lT0_lPT3_i
                                        ; -- End function
	.section	.AMDGPU.csdata,"",@progbits
; Kernel info:
; codeLenInByte = 680
; NumSgprs: 30
; NumVgprs: 14
; NumAgprs: 0
; TotalNumVgprs: 14
; ScratchSize: 0
; MemoryBound: 0
; FloatMode: 240
; IeeeMode: 1
; LDSByteSize: 0 bytes/workgroup (compile time only)
; SGPRBlocks: 3
; VGPRBlocks: 1
; NumSGPRsForWavesPerEU: 30
; NumVGPRsForWavesPerEU: 14
; AccumOffset: 16
; Occupancy: 8
; WaveLimiterHint : 0
; COMPUTE_PGM_RSRC2:SCRATCH_EN: 0
; COMPUTE_PGM_RSRC2:USER_SGPR: 2
; COMPUTE_PGM_RSRC2:TRAP_HANDLER: 0
; COMPUTE_PGM_RSRC2:TGID_X_EN: 1
; COMPUTE_PGM_RSRC2:TGID_Y_EN: 0
; COMPUTE_PGM_RSRC2:TGID_Z_EN: 1
; COMPUTE_PGM_RSRC2:TIDIG_COMP_CNT: 0
; COMPUTE_PGM_RSRC3_GFX90A:ACCUM_OFFSET: 3
; COMPUTE_PGM_RSRC3_GFX90A:TG_SPLIT: 0
	.section	.text._ZL26rocblas_hemvn_kernel_upperILb1ELi64ELi4ELi33ELi32ELi16Ei19rocblas_complex_numIfEPKS1_PS1_EviT6_lT7_lT5_lS6_lS7_lS5_lT8_i,"axG",@progbits,_ZL26rocblas_hemvn_kernel_upperILb1ELi64ELi4ELi33ELi32ELi16Ei19rocblas_complex_numIfEPKS1_PS1_EviT6_lT7_lT5_lS6_lS7_lS5_lT8_i,comdat
	.globl	_ZL26rocblas_hemvn_kernel_upperILb1ELi64ELi4ELi33ELi32ELi16Ei19rocblas_complex_numIfEPKS1_PS1_EviT6_lT7_lT5_lS6_lS7_lS5_lT8_i ; -- Begin function _ZL26rocblas_hemvn_kernel_upperILb1ELi64ELi4ELi33ELi32ELi16Ei19rocblas_complex_numIfEPKS1_PS1_EviT6_lT7_lT5_lS6_lS7_lS5_lT8_i
	.p2align	8
	.type	_ZL26rocblas_hemvn_kernel_upperILb1ELi64ELi4ELi33ELi32ELi16Ei19rocblas_complex_numIfEPKS1_PS1_EviT6_lT7_lT5_lS6_lS7_lS5_lT8_i,@function
_ZL26rocblas_hemvn_kernel_upperILb1ELi64ELi4ELi33ELi32ELi16Ei19rocblas_complex_numIfEPKS1_PS1_EviT6_lT7_lT5_lS6_lS7_lS5_lT8_i: ; @_ZL26rocblas_hemvn_kernel_upperILb1ELi64ELi4ELi33ELi32ELi16Ei19rocblas_complex_numIfEPKS1_PS1_EviT6_lT7_lT5_lS6_lS7_lS5_lT8_i
; %bb.0:
	s_load_dwordx2 s[4:5], s[0:1], 0x84
	s_add_u32 s8, s0, 0x78
	s_addc_u32 s9, s1, 0
	s_waitcnt lgkmcnt(0)
	s_lshr_b32 s6, s4, 16
	s_and_b32 s4, s4, 0xffff
	s_and_b32 s5, s5, 0xffff
	s_mul_i32 s4, s6, s4
	s_mul_i32 s4, s4, s5
	s_cmpk_lg_i32 s4, 0x100
	s_cbranch_scc1 .LBB6_180
; %bb.1:
	s_load_dwordx2 s[4:5], s[0:1], 0x4
	s_mov_b64 s[6:7], -1
	s_waitcnt lgkmcnt(0)
	s_or_b32 s4, s4, s5
	s_bitset0_b32 s4, 31
	s_cmp_lg_u32 s4, 0
	s_cselect_b64 s[4:5], -1, 0
	s_and_b64 vcc, exec, s[4:5]
	s_cbranch_vccnz .LBB6_3
; %bb.2:
	s_load_dwordx2 s[6:7], s[0:1], 0x58
	s_waitcnt lgkmcnt(0)
	v_cmp_neq_f32_e64 s[10:11], s6, 1.0
	v_cmp_neq_f32_e64 s[6:7], s7, 0
	s_or_b64 s[6:7], s[10:11], s[6:7]
.LBB6_3:
	s_andn2_b64 vcc, exec, s[6:7]
	s_cbranch_vccnz .LBB6_180
; %bb.4:
	s_andn2_b64 vcc, exec, s[4:5]
	s_cbranch_vccnz .LBB6_180
; %bb.5:
	s_load_dwordx2 s[10:11], s[0:1], 0x50
	s_load_dwordx2 s[12:13], s[0:1], 0x40
	s_load_dword s35, s[0:1], 0x48
	s_load_dword s33, s[8:9], 0x0
	;; [unrolled: 1-line block ×3, first 2 shown]
	s_load_dwordx4 s[4:7], s[0:1], 0x30
	s_waitcnt lgkmcnt(0)
	s_mul_i32 s8, s3, s11
	s_mul_hi_u32 s9, s3, s10
	s_add_i32 s9, s9, s8
	s_mul_i32 s8, s3, s10
	s_lshl_b64 s[8:9], s[8:9], 3
	s_add_u32 s8, s6, s8
	s_addc_u32 s9, s7, s9
	s_lshl_b64 s[6:7], s[12:13], 3
	s_add_u32 s6, s8, s6
	s_addc_u32 s7, s9, s7
	s_ashr_i32 s37, s36, 31
	s_lshr_b32 s9, s37, 26
	v_and_b32_e32 v30, 0x3ff, v0
	s_lshl_b32 s24, s2, 6
	s_add_i32 s9, s36, s9
	s_andn2_b32 s9, s9, 63
	v_add_u32_e32 v28, s24, v30
	v_bfe_u32 v29, v0, 10, 10
	s_add_i32 s8, s33, -1
	s_sub_i32 s34, s36, s9
	v_mul_lo_u32 v0, v28, s35
	s_cmp_eq_u32 s2, s8
	v_ashrrev_i32_e32 v1, 31, v0
	s_cselect_b32 s18, s34, 0
	v_lshl_add_u64 v[12:13], v[0:1], 3, s[6:7]
	v_cmp_eq_u32_e64 s[14:15], 0, v29
	s_and_saveexec_b64 s[6:7], s[14:15]
	s_cbranch_execz .LBB6_10
; %bb.6:
	s_cmp_lg_u32 s18, 0
	s_cselect_b64 s[8:9], -1, 0
	v_cmp_le_i32_e32 vcc, s18, v30
	v_mov_b32_e32 v0, 0x2380
	s_and_b64 s[8:9], s[8:9], vcc
	v_lshl_add_u32 v0, v30, 3, v0
	s_and_saveexec_b64 s[10:11], s[8:9]
	s_xor_b64 s[8:9], exec, s[10:11]
	s_cbranch_execz .LBB6_8
; %bb.7:
	v_mov_b32_e32 v2, 0
	v_mov_b32_e32 v3, v2
	ds_write_b64 v0, v[2:3]
                                        ; implicit-def: $vgpr0
.LBB6_8:
	s_andn2_saveexec_b64 s[8:9], s[8:9]
	s_cbranch_execz .LBB6_10
; %bb.9:
	global_load_dwordx2 v[2:3], v[12:13], off
	s_waitcnt vmcnt(0)
	ds_write_b64 v0, v[2:3]
.LBB6_10:
	s_or_b64 exec, exec, s[6:7]
	s_load_dwordx4 s[8:11], s[0:1], 0x18
	s_load_dword s22, s[0:1], 0x28
	s_mul_i32 s5, s3, s5
	s_mul_hi_u32 s6, s3, s4
	s_add_i32 s5, s6, s5
	s_mul_i32 s4, s3, s4
	s_lshl_b64 s[4:5], s[4:5], 3
	s_waitcnt lgkmcnt(0)
	s_add_u32 s6, s8, s4
	s_addc_u32 s7, s9, s5
	s_lshl_b64 s[4:5], s[10:11], 3
	s_add_u32 s6, s6, s4
	s_addc_u32 s7, s7, s5
	s_ashr_i32 s25, s24, 31
	v_lshl_add_u32 v22, v29, 6, v30
	s_lshl_b64 s[4:5], s[24:25], 3
	v_and_b32_e32 v0, 31, v30
	v_lshrrev_b32_e32 v1, 5, v22
	s_add_u32 s6, s6, s4
	s_addc_u32 s7, s7, s5
	v_mad_u64_u32 v[14:15], s[4:5], v1, s22, v[0:1]
	s_mul_i32 s4, s24, s22
	s_ashr_i32 s5, s4, 31
	s_lshl_b64 s[4:5], s[4:5], 3
	s_add_u32 s4, s4, s6
	s_addc_u32 s5, s5, s7
	s_cmp_eq_u32 s18, 0
	s_cselect_b64 s[20:21], -1, 0
	s_cmp_lg_u32 s18, 0
	v_ashrrev_i32_e32 v15, 31, v14
	s_cselect_b64 s[28:29], -1, 0
	v_lshl_add_u64 v[6:7], v[14:15], 3, s[4:5]
	s_and_b64 vcc, exec, s[28:29]
	v_cmp_gt_i32_e64 s[4:5], s18, v0
	v_lshlrev_b32_e32 v2, 3, v0
	s_cbranch_vccz .LBB6_26
; %bb.11:
	v_sub_co_u32_e32 v4, vcc, v6, v2
	s_ashr_i32 s19, s18, 31
	s_nop 0
	v_subbrev_co_u32_e32 v5, vcc, 0, v7, vcc
	v_lshl_add_u64 v[4:5], s[18:19], 3, v[4:5]
	v_lshl_add_u64 v[4:5], v[4:5], 0, -8
	v_mov_b32_e32 v8, 0
	v_cndmask_b32_e64 v5, v5, v7, s[4:5]
	v_cndmask_b32_e64 v4, v4, v6, s[4:5]
	v_cmp_gt_i32_e32 vcc, s18, v1
	v_mov_b32_e32 v9, v8
	s_and_saveexec_b64 s[6:7], vcc
	s_cbranch_execz .LBB6_13
; %bb.12:
	global_load_dwordx2 v[8:9], v[4:5], off
.LBB6_13:
	s_or_b64 exec, exec, s[6:7]
	v_mul_u32_u24_e32 v3, 33, v1
	v_add_lshl_u32 v3, v3, v0, 3
	s_waitcnt vmcnt(0)
	ds_write_b64 v3, v[8:9]
	v_add_u32_e32 v8, 8, v1
	v_cmp_le_i32_e32 vcc, s18, v8
	s_and_saveexec_b64 s[6:7], vcc
	s_xor_b64 s[6:7], exec, s[6:7]
	s_cbranch_execz .LBB6_15
; %bb.14:
	v_mul_u32_u24_e32 v8, 33, v8
	v_add_lshl_u32 v10, v8, v0, 3
	v_mov_b32_e32 v8, 0
	v_mov_b32_e32 v9, v8
	ds_write_b64 v10, v[8:9]
.LBB6_15:
	s_andn2_saveexec_b64 s[6:7], s[6:7]
	s_cbranch_execz .LBB6_17
; %bb.16:
	s_lshl_b32 s8, s22, 3
	s_ashr_i32 s9, s8, 31
	v_lshl_add_u64 v[8:9], s[8:9], 3, v[4:5]
	global_load_dwordx2 v[8:9], v[8:9], off
	s_waitcnt vmcnt(0)
	ds_write_b64 v3, v[8:9] offset:2112
.LBB6_17:
	s_or_b64 exec, exec, s[6:7]
	v_add_u32_e32 v8, 16, v1
	v_cmp_le_i32_e32 vcc, s18, v8
	s_and_saveexec_b64 s[6:7], vcc
	s_xor_b64 s[6:7], exec, s[6:7]
	s_cbranch_execz .LBB6_19
; %bb.18:
	v_mov_b32_e32 v8, 0
	v_mov_b32_e32 v9, v8
	ds_write_b64 v3, v[8:9] offset:4224
.LBB6_19:
	s_andn2_saveexec_b64 s[6:7], s[6:7]
	s_cbranch_execz .LBB6_21
; %bb.20:
	s_lshl_b32 s8, s22, 4
	s_ashr_i32 s9, s8, 31
	v_lshl_add_u64 v[8:9], s[8:9], 3, v[4:5]
	global_load_dwordx2 v[8:9], v[8:9], off
	s_waitcnt vmcnt(0)
	ds_write_b64 v3, v[8:9] offset:4224
.LBB6_21:
	s_or_b64 exec, exec, s[6:7]
	v_add_u32_e32 v8, 24, v1
	v_cmp_le_i32_e32 vcc, s18, v8
	s_and_saveexec_b64 s[6:7], vcc
	s_xor_b64 s[6:7], exec, s[6:7]
	s_cbranch_execz .LBB6_23
; %bb.22:
	v_mov_b32_e32 v8, 0
	v_mov_b32_e32 v9, v8
	ds_write_b64 v3, v[8:9] offset:6336
                                        ; implicit-def: $vgpr3
.LBB6_23:
	s_andn2_saveexec_b64 s[6:7], s[6:7]
	s_cbranch_execz .LBB6_25
; %bb.24:
	s_mul_i32 s8, s22, 24
	s_ashr_i32 s9, s8, 31
	v_lshl_add_u64 v[8:9], s[8:9], 3, v[4:5]
	global_load_dwordx2 v[8:9], v[8:9], off
	s_waitcnt vmcnt(0)
	ds_write_b64 v3, v[8:9] offset:6336
.LBB6_25:
	s_or_b64 exec, exec, s[6:7]
	v_mov_b32_e32 v3, 0
	v_lshl_add_u64 v[4:5], v[4:5], 0, v[2:3]
	s_lshl_b64 s[6:7], s[18:19], 3
	v_mov_b32_e32 v3, s7
	v_subrev_co_u32_e32 v4, vcc, s6, v4
	s_nop 1
	v_subb_co_u32_e32 v5, vcc, v5, v3, vcc
	v_lshl_add_u64 v[4:5], v[4:5], 0, 8
	v_cndmask_b32_e64 v5, v5, v7, s[4:5]
	v_cndmask_b32_e64 v4, v4, v6, s[4:5]
	v_mul_u32_u24_e32 v18, 33, v1
	s_branch .LBB6_28
.LBB6_26:
                                        ; implicit-def: $vgpr4_vgpr5
	v_mul_u32_u24_e32 v18, 33, v1
	s_cbranch_execz .LBB6_28
; %bb.27:
	s_lshl_b32 s4, s22, 3
	s_ashr_i32 s5, s4, 31
	s_ashr_i32 s23, s22, 31
	v_lshl_add_u64 v[4:5], s[4:5], 3, v[6:7]
	global_load_dwordx2 v[8:9], v[6:7], off
	global_load_dwordx2 v[10:11], v[4:5], off
	s_lshl_b64 s[4:5], s[22:23], 6
	v_lshl_add_u64 v[4:5], v[4:5], 0, s[4:5]
	global_load_dwordx2 v[16:17], v[4:5], off
	v_lshl_add_u64 v[4:5], v[4:5], 0, s[4:5]
	global_load_dwordx2 v[4:5], v[4:5], off
	v_add_lshl_u32 v3, v18, v0, 3
	s_waitcnt vmcnt(3)
	ds_write_b64 v3, v[8:9]
	s_waitcnt vmcnt(2)
	ds_write_b64 v3, v[10:11] offset:2112
	s_waitcnt vmcnt(1)
	ds_write_b64 v3, v[16:17] offset:4224
	;; [unrolled: 2-line block ×3, first 2 shown]
	v_mov_b64_e32 v[4:5], v[6:7]
.LBB6_28:
	v_lshlrev_b32_e32 v21, 2, v1
	v_cmp_le_u32_e64 s[6:7], v21, v0
	s_waitcnt lgkmcnt(0)
	s_barrier
	s_and_saveexec_b64 s[4:5], s[6:7]
	s_xor_b64 s[4:5], exec, s[4:5]
	s_cbranch_execz .LBB6_32
; %bb.29:
	v_cmp_eq_u32_e32 vcc, v21, v0
	s_and_saveexec_b64 s[8:9], vcc
	s_cbranch_execz .LBB6_31
; %bb.30:
	v_mul_u32_u24_e32 v3, 34, v0
	v_lshlrev_b32_e32 v3, 3, v3
	v_mov_b32_e32 v6, 0
	ds_write_b32 v3, v6 offset:4
.LBB6_31:
	s_or_b64 exec, exec, s[8:9]
.LBB6_32:
	s_or_saveexec_b64 s[4:5], s[4:5]
	v_mul_u32_u24_e32 v19, 33, v0
	v_add_lshl_u32 v16, v21, v19, 3
	s_xor_b64 exec, exec, s[4:5]
	s_cbranch_execz .LBB6_34
; %bb.33:
	v_mul_u32_u24_e32 v3, 0x84, v1
	v_add_lshl_u32 v3, v3, v0, 3
	ds_read_b64 v[6:7], v3
	s_waitcnt lgkmcnt(0)
	v_xor_b32_e32 v7, 0x80000000, v7
	ds_write_b64 v16, v[6:7]
.LBB6_34:
	s_or_b64 exec, exec, s[4:5]
	v_or_b32_e32 v17, 1, v21
	v_cmp_ge_u32_e64 s[8:9], v21, v0
	v_mul_u32_u24_e32 v3, 33, v17
	s_and_saveexec_b64 s[4:5], s[8:9]
	s_xor_b64 s[4:5], exec, s[4:5]
	s_cbranch_execz .LBB6_36
; %bb.35:
	v_add_lshl_u32 v6, v3, v0, 3
	ds_read_b64 v[6:7], v6
	s_waitcnt lgkmcnt(0)
	v_xor_b32_e32 v7, 0x80000000, v7
	ds_write_b64 v16, v[6:7] offset:8
.LBB6_36:
	s_andn2_saveexec_b64 s[4:5], s[4:5]
	s_cbranch_execz .LBB6_40
; %bb.37:
	v_cmp_eq_u32_e32 vcc, v17, v0
	s_and_saveexec_b64 s[10:11], vcc
	s_cbranch_execz .LBB6_39
; %bb.38:
	v_mul_u32_u24_e32 v6, 34, v0
	v_lshlrev_b32_e32 v6, 3, v6
	v_mov_b32_e32 v7, 0
	ds_write_b32 v6, v7 offset:4
.LBB6_39:
	s_or_b64 exec, exec, s[10:11]
.LBB6_40:
	s_or_b64 exec, exec, s[4:5]
	v_or_b32_e32 v26, 2, v21
	v_cmp_le_u32_e64 s[10:11], v26, v0
	s_and_saveexec_b64 s[4:5], s[10:11]
	s_xor_b64 s[4:5], exec, s[4:5]
	s_cbranch_execz .LBB6_44
; %bb.41:
	v_cmp_eq_u32_e32 vcc, v26, v0
	s_and_saveexec_b64 s[12:13], vcc
	s_cbranch_execz .LBB6_43
; %bb.42:
	v_mul_u32_u24_e32 v6, 34, v0
	v_lshlrev_b32_e32 v6, 3, v6
	v_mov_b32_e32 v7, 0
	ds_write_b32 v6, v7 offset:4
.LBB6_43:
	s_or_b64 exec, exec, s[12:13]
.LBB6_44:
	s_andn2_saveexec_b64 s[4:5], s[4:5]
	s_cbranch_execz .LBB6_46
; %bb.45:
	v_mul_u32_u24_e32 v6, 33, v26
	v_add_lshl_u32 v6, v6, v0, 3
	ds_read_b64 v[6:7], v6
	s_waitcnt lgkmcnt(0)
	v_xor_b32_e32 v7, 0x80000000, v7
	ds_write_b64 v16, v[6:7] offset:16
.LBB6_46:
	s_or_b64 exec, exec, s[4:5]
	v_or_b32_e32 v27, 3, v21
	v_cmp_le_u32_e64 s[12:13], v27, v0
	s_and_saveexec_b64 s[4:5], s[12:13]
	s_xor_b64 s[4:5], exec, s[4:5]
	s_cbranch_execz .LBB6_50
; %bb.47:
	v_cmp_eq_u32_e32 vcc, v27, v0
	s_and_saveexec_b64 s[16:17], vcc
	s_cbranch_execz .LBB6_49
; %bb.48:
	v_mul_u32_u24_e32 v6, 34, v0
	v_lshlrev_b32_e32 v6, 3, v6
	v_mov_b32_e32 v7, 0
	ds_write_b32 v6, v7 offset:4
.LBB6_49:
	s_or_b64 exec, exec, s[16:17]
.LBB6_50:
	s_andn2_saveexec_b64 s[4:5], s[4:5]
	s_cbranch_execz .LBB6_52
; %bb.51:
	v_mul_u32_u24_e32 v6, 33, v27
	v_add_lshl_u32 v6, v6, v0, 3
	ds_read_b64 v[6:7], v6
	s_waitcnt lgkmcnt(0)
	v_xor_b32_e32 v7, 0x80000000, v7
	ds_write_b64 v16, v[6:7] offset:24
.LBB6_52:
	s_or_b64 exec, exec, s[4:5]
	v_mul_u32_u24_e32 v6, 0x84, v1
	v_lshlrev_b32_e32 v31, 3, v21
	s_waitcnt lgkmcnt(0)
	s_barrier
	v_add_lshl_u32 v20, v6, v0, 3
	v_add_lshl_u32 v25, v3, v0, 3
	ds_read_b128 v[6:9], v31 offset:9088
	ds_read_b64 v[10:11], v20
	ds_read2_b64 v[32:35], v25 offset1:33
	ds_read_b64 v[40:41], v25 offset:528
	ds_read_b128 v[36:39], v31 offset:9104
	s_mov_b32 s16, 0
	s_waitcnt lgkmcnt(3)
	v_pk_mul_f32 v[42:43], v[6:7], v[10:11] op_sel:[0,1]
	s_mov_b32 s17, s16
	v_pk_fma_f32 v[44:45], v[6:7], v[10:11], v[42:43] op_sel:[0,0,1] op_sel_hi:[1,1,0] neg_lo:[0,0,1] neg_hi:[0,0,1]
	v_pk_fma_f32 v[6:7], v[6:7], v[10:11], v[42:43] op_sel:[0,0,1] op_sel_hi:[1,0,0]
	s_waitcnt lgkmcnt(2)
	v_pk_mul_f32 v[10:11], v[8:9], v[32:33] op_sel:[0,1]
	v_mov_b32_e32 v45, v7
	v_pk_fma_f32 v[42:43], v[8:9], v[32:33], v[10:11] op_sel:[0,0,1] op_sel_hi:[1,1,0] neg_lo:[0,0,1] neg_hi:[0,0,1]
	v_pk_fma_f32 v[8:9], v[8:9], v[32:33], v[10:11] op_sel:[0,0,1] op_sel_hi:[1,0,0]
	v_pk_add_f32 v[6:7], v[44:45], 0 op_sel_hi:[1,0]
	v_mov_b32_e32 v43, v9
	s_waitcnt lgkmcnt(0)
	v_pk_mul_f32 v[8:9], v[36:37], v[34:35] op_sel:[0,1]
	v_pk_add_f32 v[6:7], v[6:7], v[42:43]
	v_pk_fma_f32 v[10:11], v[36:37], v[34:35], v[8:9] op_sel:[0,0,1] op_sel_hi:[1,1,0] neg_lo:[0,0,1] neg_hi:[0,0,1]
	v_pk_fma_f32 v[8:9], v[36:37], v[34:35], v[8:9] op_sel:[0,0,1] op_sel_hi:[1,0,0]
	v_add_lshl_u32 v23, v1, v19, 3
	v_mov_b32_e32 v11, v9
	v_pk_mul_f32 v[8:9], v[38:39], v[40:41] op_sel:[0,1]
	v_pk_add_f32 v[6:7], v[6:7], v[10:11]
	v_pk_fma_f32 v[10:11], v[38:39], v[40:41], v[8:9] op_sel:[0,0,1] op_sel_hi:[1,1,0] neg_lo:[0,0,1] neg_hi:[0,0,1]
	v_pk_fma_f32 v[8:9], v[38:39], v[40:41], v[8:9] op_sel:[0,0,1] op_sel_hi:[1,0,0]
	v_cmp_gt_u32_e64 s[4:5], 32, v22
	v_mov_b32_e32 v11, v9
	v_pk_add_f32 v[6:7], v[6:7], v[10:11]
	v_mov_b64_e32 v[32:33], s[16:17]
	v_lshlrev_b32_e32 v24, 3, v19
	s_barrier
	ds_write_b64 v23, v[6:7]
	s_waitcnt lgkmcnt(0)
	s_barrier
	s_and_saveexec_b64 s[16:17], s[4:5]
	s_cbranch_execz .LBB6_54
; %bb.53:
	ds_read2_b64 v[6:9], v24 offset1:7
	ds_read2_b64 v[32:35], v24 offset0:1 offset1:2
	ds_read2_b64 v[36:39], v24 offset0:3 offset1:4
	s_waitcnt lgkmcnt(1)
	v_add_f32_e32 v3, v32, v6
	v_add_f32_e32 v6, v33, v7
	;; [unrolled: 1-line block ×4, first 2 shown]
	ds_read2_b64 v[32:35], v24 offset0:5 offset1:6
	s_waitcnt lgkmcnt(1)
	v_add_f32_e32 v3, v3, v36
	v_add_f32_e32 v6, v6, v37
	;; [unrolled: 1-line block ×4, first 2 shown]
	s_waitcnt lgkmcnt(0)
	v_add_f32_e32 v3, v3, v32
	v_add_f32_e32 v7, v6, v33
	v_add_f32_e32 v6, v3, v34
	v_add_f32_e32 v7, v7, v35
	v_pk_add_f32 v[32:33], v[6:7], v[8:9]
.LBB6_54:
	s_or_b64 exec, exec, s[16:17]
	s_lshl_b32 s26, s22, 5
	s_ashr_i32 s27, s26, 31
	v_lshl_add_u64 v[8:9], s[26:27], 3, v[4:5]
	s_mov_b64 s[16:17], 0x100
	v_lshl_add_u64 v[6:7], v[8:9], 0, s[16:17]
	s_and_b64 vcc, exec, s[28:29]
	s_barrier
	s_cbranch_vccz .LBB6_70
; %bb.55:
	v_sub_co_u32_e32 v4, vcc, v6, v2
	s_ashr_i32 s19, s18, 31
	s_nop 0
	v_subbrev_co_u32_e32 v5, vcc, 0, v7, vcc
	s_movk_i32 s16, 0xfef8
	v_or_b32_e32 v3, 32, v0
	v_lshl_add_u64 v[4:5], s[18:19], 3, v[4:5]
	s_mov_b32 s17, -1
	v_lshl_add_u64 v[4:5], v[4:5], 0, s[16:17]
	v_cmp_gt_i32_e32 vcc, s18, v3
	s_sub_i32 s23, s18, 32
	v_mov_b32_e32 v10, 0
	v_cndmask_b32_e32 v5, v5, v7, vcc
	v_cndmask_b32_e32 v4, v4, v6, vcc
	v_cmp_gt_i32_e64 s[16:17], s23, v1
	v_mov_b32_e32 v11, v10
	s_and_saveexec_b64 s[30:31], s[16:17]
	s_cbranch_execz .LBB6_57
; %bb.56:
	global_load_dwordx2 v[10:11], v[4:5], off
.LBB6_57:
	s_or_b64 exec, exec, s[30:31]
	v_add_lshl_u32 v3, v18, v0, 3
	s_waitcnt vmcnt(0)
	ds_write_b64 v3, v[10:11]
	v_add_u32_e32 v10, 8, v1
	v_cmp_le_i32_e64 s[16:17], s23, v10
	s_and_saveexec_b64 s[30:31], s[16:17]
	s_xor_b64 s[16:17], exec, s[30:31]
	s_cbranch_execz .LBB6_59
; %bb.58:
	v_mul_u32_u24_e32 v10, 33, v10
	v_add_lshl_u32 v34, v10, v0, 3
	v_mov_b32_e32 v10, 0
	v_mov_b32_e32 v11, v10
	ds_write_b64 v34, v[10:11]
.LBB6_59:
	s_andn2_saveexec_b64 s[16:17], s[16:17]
	s_cbranch_execz .LBB6_61
; %bb.60:
	s_lshl_b32 s30, s22, 3
	s_ashr_i32 s31, s30, 31
	v_lshl_add_u64 v[10:11], s[30:31], 3, v[4:5]
	global_load_dwordx2 v[10:11], v[10:11], off
	s_waitcnt vmcnt(0)
	ds_write_b64 v3, v[10:11] offset:2112
.LBB6_61:
	s_or_b64 exec, exec, s[16:17]
	v_add_u32_e32 v10, 16, v1
	v_cmp_le_i32_e64 s[16:17], s23, v10
	s_and_saveexec_b64 s[30:31], s[16:17]
	s_xor_b64 s[16:17], exec, s[30:31]
	s_cbranch_execz .LBB6_63
; %bb.62:
	v_mul_u32_u24_e32 v10, 33, v10
	v_add_lshl_u32 v34, v10, v0, 3
	v_mov_b32_e32 v10, 0
	v_mov_b32_e32 v11, v10
	ds_write_b64 v34, v[10:11]
.LBB6_63:
	s_andn2_saveexec_b64 s[16:17], s[16:17]
	s_cbranch_execz .LBB6_65
; %bb.64:
	s_lshl_b32 s30, s22, 4
	s_ashr_i32 s31, s30, 31
	v_lshl_add_u64 v[10:11], s[30:31], 3, v[4:5]
	global_load_dwordx2 v[10:11], v[10:11], off
	s_waitcnt vmcnt(0)
	ds_write_b64 v3, v[10:11] offset:4224
.LBB6_65:
	s_or_b64 exec, exec, s[16:17]
	v_add_u32_e32 v10, 24, v1
	v_cmp_le_i32_e64 s[16:17], s23, v10
	s_and_saveexec_b64 s[30:31], s[16:17]
	s_xor_b64 s[16:17], exec, s[30:31]
	s_cbranch_execz .LBB6_67
; %bb.66:
	v_mov_b32_e32 v10, 0
	v_mov_b32_e32 v11, v10
	ds_write_b64 v3, v[10:11] offset:6336
                                        ; implicit-def: $vgpr3
.LBB6_67:
	s_andn2_saveexec_b64 s[16:17], s[16:17]
	s_cbranch_execz .LBB6_69
; %bb.68:
	s_mul_i32 s30, s22, 24
	s_ashr_i32 s31, s30, 31
	v_lshl_add_u64 v[10:11], s[30:31], 3, v[4:5]
	global_load_dwordx2 v[10:11], v[10:11], off
	s_waitcnt vmcnt(0)
	ds_write_b64 v3, v[10:11] offset:6336
.LBB6_69:
	s_or_b64 exec, exec, s[16:17]
	v_mov_b32_e32 v3, 0
	v_lshl_add_u64 v[4:5], v[4:5], 0, v[2:3]
	s_lshl_b64 s[16:17], s[18:19], 3
	v_mov_b32_e32 v3, s17
	v_subrev_co_u32_e64 v4, s[16:17], s16, v4
	s_nop 1
	v_subb_co_u32_e64 v5, s[16:17], v5, v3, s[16:17]
	s_mov_b64 s[16:17], 0x108
	s_nop 0
	v_lshl_add_u64 v[4:5], v[4:5], 0, s[16:17]
	v_cndmask_b32_e32 v5, v5, v7, vcc
	v_cndmask_b32_e32 v4, v4, v6, vcc
	s_branch .LBB6_72
.LBB6_70:
                                        ; implicit-def: $vgpr4_vgpr5
	s_cbranch_execz .LBB6_72
; %bb.71:
	s_lshl_b32 s16, s22, 3
	s_ashr_i32 s17, s16, 31
	s_ashr_i32 s23, s22, 31
	v_lshl_add_u64 v[4:5], s[16:17], 3, v[8:9]
	s_lshl_b64 s[16:17], s[22:23], 6
	v_lshl_add_u64 v[10:11], v[4:5], 0, s[16:17]
	v_lshl_add_u64 v[34:35], v[10:11], 0, s[16:17]
	global_load_dwordx2 v[36:37], v[8:9], off offset:256
	global_load_dwordx2 v[38:39], v[4:5], off offset:256
	global_load_dwordx2 v[40:41], v[10:11], off offset:256
	global_load_dwordx2 v[42:43], v[34:35], off offset:256
	v_add_lshl_u32 v3, v18, v0, 3
	v_mov_b64_e32 v[4:5], v[6:7]
	s_waitcnt vmcnt(3)
	ds_write_b64 v3, v[36:37]
	s_waitcnt vmcnt(2)
	ds_write_b64 v3, v[38:39] offset:2112
	s_waitcnt vmcnt(1)
	ds_write_b64 v3, v[40:41] offset:4224
	;; [unrolled: 2-line block ×3, first 2 shown]
.LBB6_72:
	s_waitcnt lgkmcnt(0)
	s_barrier
	s_and_saveexec_b64 s[16:17], s[6:7]
	s_xor_b64 s[6:7], exec, s[16:17]
	s_cbranch_execnz .LBB6_99
; %bb.73:
	s_andn2_saveexec_b64 s[6:7], s[6:7]
	s_cbranch_execnz .LBB6_102
.LBB6_74:
	s_or_b64 exec, exec, s[6:7]
	s_and_saveexec_b64 s[6:7], s[8:9]
	s_xor_b64 s[6:7], exec, s[6:7]
	s_cbranch_execnz .LBB6_103
.LBB6_75:
	s_andn2_saveexec_b64 s[6:7], s[6:7]
	s_cbranch_execnz .LBB6_104
.LBB6_76:
	s_or_b64 exec, exec, s[6:7]
	s_and_saveexec_b64 s[6:7], s[10:11]
	s_xor_b64 s[6:7], exec, s[6:7]
	s_cbranch_execnz .LBB6_107
.LBB6_77:
	s_andn2_saveexec_b64 s[6:7], s[6:7]
	s_cbranch_execnz .LBB6_110
.LBB6_78:
	s_or_b64 exec, exec, s[6:7]
	s_and_saveexec_b64 s[6:7], s[12:13]
	s_xor_b64 s[6:7], exec, s[6:7]
	s_cbranch_execnz .LBB6_111
.LBB6_79:
	s_or_saveexec_b64 s[6:7], s[6:7]
	v_add_u32_e32 v26, 0x2380, v31
	s_xor_b64 exec, exec, s[6:7]
	s_cbranch_execz .LBB6_81
.LBB6_80:
	ds_read_b64 v[6:7], v25 offset:528
	s_waitcnt lgkmcnt(0)
	v_xor_b32_e32 v7, 0x80000000, v7
	ds_write_b64 v16, v[6:7] offset:24
.LBB6_81:
	s_or_b64 exec, exec, s[6:7]
	s_waitcnt lgkmcnt(0)
	s_barrier
	ds_read_b64 v[10:11], v20
	ds_read_b128 v[6:9], v26 offset:256
	ds_read2_b64 v[34:37], v25 offset1:33
	ds_read_b64 v[16:17], v25 offset:528
	ds_read_b128 v[38:41], v26 offset:272
	v_cmp_eq_u32_e64 s[6:7], 1, v1
	s_waitcnt lgkmcnt(3)
	v_pk_mul_f32 v[42:43], v[6:7], v[10:11] op_sel:[0,1]
	s_waitcnt lgkmcnt(0)
	v_pk_fma_f32 v[44:45], v[6:7], v[10:11], v[42:43] op_sel:[0,0,1] op_sel_hi:[1,1,0] neg_lo:[0,0,1] neg_hi:[0,0,1]
	v_pk_fma_f32 v[6:7], v[6:7], v[10:11], v[42:43] op_sel:[0,0,1] op_sel_hi:[1,0,0]
	v_pk_mul_f32 v[10:11], v[8:9], v[34:35] op_sel:[0,1]
	v_mov_b32_e32 v45, v7
	v_pk_fma_f32 v[42:43], v[8:9], v[34:35], v[10:11] op_sel:[0,0,1] op_sel_hi:[1,1,0] neg_lo:[0,0,1] neg_hi:[0,0,1]
	v_pk_fma_f32 v[8:9], v[8:9], v[34:35], v[10:11] op_sel:[0,0,1] op_sel_hi:[1,0,0]
	v_pk_add_f32 v[6:7], v[44:45], 0 op_sel_hi:[1,0]
	v_mov_b32_e32 v43, v9
	v_pk_mul_f32 v[8:9], v[38:39], v[36:37] op_sel:[0,1]
	v_pk_add_f32 v[6:7], v[6:7], v[42:43]
	v_pk_fma_f32 v[10:11], v[38:39], v[36:37], v[8:9] op_sel:[0,0,1] op_sel_hi:[1,1,0] neg_lo:[0,0,1] neg_hi:[0,0,1]
	v_pk_fma_f32 v[8:9], v[38:39], v[36:37], v[8:9] op_sel:[0,0,1] op_sel_hi:[1,0,0]
	s_barrier
	v_mov_b32_e32 v11, v9
	v_pk_mul_f32 v[8:9], v[40:41], v[16:17] op_sel:[0,1]
	v_pk_add_f32 v[6:7], v[6:7], v[10:11]
	v_pk_fma_f32 v[10:11], v[40:41], v[16:17], v[8:9] op_sel:[0,0,1] op_sel_hi:[1,1,0] neg_lo:[0,0,1] neg_hi:[0,0,1]
	v_pk_fma_f32 v[8:9], v[40:41], v[16:17], v[8:9] op_sel:[0,0,1] op_sel_hi:[1,0,0]
	s_nop 0
	v_mov_b32_e32 v11, v9
	v_pk_add_f32 v[6:7], v[6:7], v[10:11]
	ds_write_b64 v23, v[6:7]
	s_waitcnt lgkmcnt(0)
	s_barrier
	s_and_saveexec_b64 s[8:9], s[6:7]
	s_cbranch_execz .LBB6_83
; %bb.82:
	ds_read2_b64 v[6:9], v24 offset1:7
	ds_read2_b64 v[32:35], v24 offset0:1 offset1:2
	ds_read2_b64 v[36:39], v24 offset0:3 offset1:4
	s_waitcnt lgkmcnt(1)
	v_add_f32_e32 v3, v32, v6
	v_add_f32_e32 v6, v33, v7
	;; [unrolled: 1-line block ×4, first 2 shown]
	ds_read2_b64 v[32:35], v24 offset0:5 offset1:6
	s_waitcnt lgkmcnt(1)
	v_add_f32_e32 v3, v3, v36
	v_add_f32_e32 v6, v6, v37
	;; [unrolled: 1-line block ×4, first 2 shown]
	s_waitcnt lgkmcnt(0)
	v_add_f32_e32 v6, v3, v32
	v_add_f32_e32 v7, v7, v33
	v_pk_add_f32 v[6:7], v[6:7], v[34:35]
	s_nop 0
	v_pk_add_f32 v[32:33], v[6:7], v[8:9]
.LBB6_83:
	s_or_b64 exec, exec, s[8:9]
	s_movk_i32 s8, 0xff00
	s_mov_b32 s9, -1
	v_lshl_add_u64 v[6:7], v[4:5], 0, s[8:9]
	s_and_b64 vcc, exec, s[28:29]
	s_barrier
	s_cbranch_vccz .LBB6_114
; %bb.84:
	v_sub_co_u32_e32 v8, vcc, v4, v2
	s_ashr_i32 s19, s18, 31
	s_nop 0
	v_subbrev_co_u32_e32 v9, vcc, 0, v5, vcc
	s_movk_i32 s8, 0xfef8
	v_lshl_add_u64 v[8:9], s[18:19], 3, v[8:9]
	s_mov_b32 s9, -1
	v_lshl_add_u64 v[8:9], v[8:9], 0, s[8:9]
	v_cmp_gt_i32_e32 vcc, s18, v0
	s_sub_i32 s12, s18, 32
	v_mov_b32_e32 v10, 0
	v_cndmask_b32_e32 v9, v9, v7, vcc
	v_cndmask_b32_e32 v8, v8, v6, vcc
	v_cmp_gt_i32_e64 s[8:9], s12, v1
	v_mov_b32_e32 v11, v10
	s_and_saveexec_b64 s[10:11], s[8:9]
	s_cbranch_execz .LBB6_86
; %bb.85:
	global_load_dwordx2 v[10:11], v[8:9], off
.LBB6_86:
	s_or_b64 exec, exec, s[10:11]
	v_add_lshl_u32 v3, v18, v0, 3
	s_waitcnt vmcnt(0)
	ds_write_b64 v3, v[10:11]
	v_add_u32_e32 v10, 8, v1
	v_cmp_le_i32_e64 s[8:9], s12, v10
	s_and_saveexec_b64 s[10:11], s[8:9]
	s_xor_b64 s[8:9], exec, s[10:11]
	s_cbranch_execz .LBB6_88
; %bb.87:
	v_mul_u32_u24_e32 v11, 33, v10
	v_mov_b32_e32 v16, 0
	v_add_lshl_u32 v11, v11, v0, 3
	v_mov_b32_e32 v17, v16
	ds_write_b64 v11, v[16:17]
.LBB6_88:
	s_andn2_saveexec_b64 s[8:9], s[8:9]
	s_cbranch_execz .LBB6_90
; %bb.89:
	s_lshl_b32 s10, s22, 3
	s_ashr_i32 s11, s10, 31
	v_lshl_add_u64 v[16:17], s[10:11], 3, v[8:9]
	global_load_dwordx2 v[16:17], v[16:17], off
	s_waitcnt vmcnt(0)
	ds_write_b64 v3, v[16:17] offset:2112
.LBB6_90:
	s_or_b64 exec, exec, s[8:9]
	v_add_u32_e32 v11, 16, v1
	v_cmp_le_i32_e64 s[8:9], s12, v11
	s_and_saveexec_b64 s[10:11], s[8:9]
	s_xor_b64 s[8:9], exec, s[10:11]
	s_cbranch_execz .LBB6_92
; %bb.91:
	v_mov_b32_e32 v16, 0
	v_mov_b32_e32 v17, v16
	ds_write_b64 v3, v[16:17] offset:4224
.LBB6_92:
	s_andn2_saveexec_b64 s[8:9], s[8:9]
	s_cbranch_execz .LBB6_94
; %bb.93:
	s_lshl_b32 s10, s22, 4
	s_ashr_i32 s11, s10, 31
	v_lshl_add_u64 v[16:17], s[10:11], 3, v[8:9]
	global_load_dwordx2 v[16:17], v[16:17], off
	s_waitcnt vmcnt(0)
	ds_write_b64 v3, v[16:17] offset:4224
.LBB6_94:
	s_or_b64 exec, exec, s[8:9]
	v_add_u32_e32 v21, 24, v1
	v_cmp_le_i32_e64 s[8:9], s12, v21
	s_and_saveexec_b64 s[10:11], s[8:9]
	s_xor_b64 s[8:9], exec, s[10:11]
	s_cbranch_execz .LBB6_96
; %bb.95:
	v_mov_b32_e32 v16, 0
	v_mov_b32_e32 v17, v16
	ds_write_b64 v3, v[16:17] offset:6336
                                        ; implicit-def: $vgpr3
.LBB6_96:
	s_andn2_saveexec_b64 s[8:9], s[8:9]
	s_cbranch_execz .LBB6_98
; %bb.97:
	s_mul_i32 s10, s22, 24
	s_ashr_i32 s11, s10, 31
	v_lshl_add_u64 v[16:17], s[10:11], 3, v[8:9]
	global_load_dwordx2 v[16:17], v[16:17], off
	s_waitcnt vmcnt(0)
	ds_write_b64 v3, v[16:17] offset:6336
.LBB6_98:
	s_or_b64 exec, exec, s[8:9]
	v_mov_b32_e32 v3, 0
	v_lshl_add_u64 v[2:3], v[8:9], 0, v[2:3]
	s_lshl_b64 s[8:9], s[18:19], 3
	v_mov_b32_e32 v8, s9
	v_subrev_co_u32_e64 v2, s[8:9], s8, v2
	s_nop 1
	v_subb_co_u32_e64 v3, s[8:9], v3, v8, s[8:9]
	v_lshl_add_u64 v[2:3], v[2:3], 0, 8
	v_cndmask_b32_e32 v17, v3, v7, vcc
	v_cndmask_b32_e32 v16, v2, v6, vcc
	s_branch .LBB6_116
.LBB6_99:
	v_cmp_eq_u32_e32 vcc, v21, v0
	s_and_saveexec_b64 s[16:17], vcc
	s_cbranch_execz .LBB6_101
; %bb.100:
	v_mul_u32_u24_e32 v3, 34, v0
	v_lshlrev_b32_e32 v3, 3, v3
	v_mov_b32_e32 v6, 0
	ds_write_b32 v3, v6 offset:4
.LBB6_101:
	s_or_b64 exec, exec, s[16:17]
	s_andn2_saveexec_b64 s[6:7], s[6:7]
	s_cbranch_execz .LBB6_74
.LBB6_102:
	ds_read_b64 v[6:7], v20
	s_waitcnt lgkmcnt(0)
	v_xor_b32_e32 v7, 0x80000000, v7
	ds_write_b64 v16, v[6:7]
	s_or_b64 exec, exec, s[6:7]
	s_and_saveexec_b64 s[6:7], s[8:9]
	s_xor_b64 s[6:7], exec, s[6:7]
	s_cbranch_execz .LBB6_75
.LBB6_103:
	ds_read_b64 v[6:7], v25
                                        ; implicit-def: $vgpr17
	s_waitcnt lgkmcnt(0)
	v_xor_b32_e32 v7, 0x80000000, v7
	ds_write_b64 v16, v[6:7] offset:8
	s_andn2_saveexec_b64 s[6:7], s[6:7]
	s_cbranch_execz .LBB6_76
.LBB6_104:
	v_cmp_eq_u32_e32 vcc, v17, v0
	s_and_saveexec_b64 s[8:9], vcc
	s_cbranch_execz .LBB6_106
; %bb.105:
	v_mul_u32_u24_e32 v3, 34, v0
	v_lshlrev_b32_e32 v3, 3, v3
	v_mov_b32_e32 v6, 0
	ds_write_b32 v3, v6 offset:4
.LBB6_106:
	s_or_b64 exec, exec, s[8:9]
	s_or_b64 exec, exec, s[6:7]
	s_and_saveexec_b64 s[6:7], s[10:11]
	s_xor_b64 s[6:7], exec, s[6:7]
	s_cbranch_execz .LBB6_77
.LBB6_107:
	v_cmp_eq_u32_e32 vcc, v26, v0
	s_and_saveexec_b64 s[8:9], vcc
	s_cbranch_execz .LBB6_109
; %bb.108:
	v_mul_u32_u24_e32 v3, 34, v0
	v_lshlrev_b32_e32 v3, 3, v3
	v_mov_b32_e32 v6, 0
	ds_write_b32 v3, v6 offset:4
.LBB6_109:
	s_or_b64 exec, exec, s[8:9]
	s_andn2_saveexec_b64 s[6:7], s[6:7]
	s_cbranch_execz .LBB6_78
.LBB6_110:
	ds_read_b64 v[6:7], v25 offset:264
	s_waitcnt lgkmcnt(0)
	v_xor_b32_e32 v7, 0x80000000, v7
	ds_write_b64 v16, v[6:7] offset:16
	s_or_b64 exec, exec, s[6:7]
	s_and_saveexec_b64 s[6:7], s[12:13]
	s_xor_b64 s[6:7], exec, s[6:7]
	s_cbranch_execz .LBB6_79
.LBB6_111:
	v_cmp_eq_u32_e32 vcc, v27, v0
	s_and_saveexec_b64 s[8:9], vcc
	s_cbranch_execz .LBB6_113
; %bb.112:
	v_mul_u32_u24_e32 v3, 34, v0
	v_lshlrev_b32_e32 v3, 3, v3
	v_mov_b32_e32 v6, 0
	ds_write_b32 v3, v6 offset:4
.LBB6_113:
	s_or_b64 exec, exec, s[8:9]
                                        ; implicit-def: $vgpr16
	s_or_saveexec_b64 s[6:7], s[6:7]
	v_add_u32_e32 v26, 0x2380, v31
	s_xor_b64 exec, exec, s[6:7]
	s_cbranch_execnz .LBB6_80
	s_branch .LBB6_81
.LBB6_114:
                                        ; implicit-def: $vgpr16_vgpr17
                                        ; implicit-def: $vgpr10
                                        ; implicit-def: $vgpr11
                                        ; implicit-def: $vgpr21
	s_cbranch_execz .LBB6_116
; %bb.115:
	s_lshl_b32 s8, s22, 3
	s_ashr_i32 s9, s8, 31
	s_ashr_i32 s23, s22, 31
	global_load_dwordx2 v[2:3], v[4:5], off offset:-256
	v_lshl_add_u64 v[4:5], s[8:9], 3, v[4:5]
	s_lshl_b64 s[8:9], s[22:23], 6
	v_lshl_add_u64 v[8:9], v[4:5], 0, s[8:9]
	global_load_dwordx2 v[16:17], v[4:5], off offset:-256
	global_load_dwordx2 v[34:35], v[8:9], off offset:-256
	v_lshl_add_u64 v[4:5], v[8:9], 0, s[8:9]
	global_load_dwordx2 v[4:5], v[4:5], off offset:-256
	v_add_lshl_u32 v0, v18, v0, 3
	v_add_u32_e32 v10, 8, v1
	v_add_u32_e32 v11, 16, v1
	;; [unrolled: 1-line block ×3, first 2 shown]
	s_waitcnt vmcnt(3)
	ds_write_b64 v0, v[2:3]
	s_waitcnt vmcnt(2)
	ds_write_b64 v0, v[16:17] offset:2112
	s_waitcnt vmcnt(1)
	ds_write_b64 v0, v[34:35] offset:4224
	;; [unrolled: 2-line block ×3, first 2 shown]
	v_mov_b64_e32 v[16:17], v[6:7]
.LBB6_116:
	s_waitcnt lgkmcnt(0)
	s_barrier
	ds_read_b64 v[34:35], v23
	v_add_lshl_u32 v0, v11, v19, 3
	ds_read_b64 v[36:37], v0
	v_lshlrev_b32_e32 v4, 3, v1
	v_add_lshl_u32 v5, v10, v19, 3
	v_lshlrev_b32_e32 v6, 3, v10
	v_lshlrev_b32_e32 v7, 3, v11
	v_add_lshl_u32 v18, v21, v19, 3
	v_lshlrev_b32_e32 v19, 3, v21
	ds_read2_b64 v[0:3], v25 offset1:33
	ds_read_b64 v[20:21], v20
	ds_read_b128 v[8:11], v26 offset:256
	ds_read_b64 v[38:39], v6 offset:9088
	ds_read_b64 v[40:41], v5
	ds_read_b64 v[42:43], v4 offset:9088
	ds_read_b64 v[44:45], v19 offset:9088
	ds_read_b64 v[46:47], v18
	ds_read_b64 v[48:49], v7 offset:9088
	ds_read_b64 v[18:19], v25 offset:528
	ds_read_b128 v[4:7], v26 offset:272
	s_waitcnt lgkmcnt(5)
	v_pk_mul_f32 v[26:27], v[34:35], v[42:43] op_sel:[1,0]
	v_pk_mul_f32 v[50:51], v[40:41], v[38:39] op_sel:[1,0]
	v_pk_fma_f32 v[56:57], v[34:35], v[42:43], v[26:27] op_sel:[0,0,1] op_sel_hi:[1,1,0]
	v_pk_fma_f32 v[26:27], v[34:35], v[42:43], v[26:27] op_sel:[0,0,1] op_sel_hi:[0,1,0] neg_lo:[0,0,1] neg_hi:[0,0,1]
	v_mov_b32_e32 v57, v27
	v_pk_fma_f32 v[34:35], v[40:41], v[38:39], v[50:51] op_sel:[0,0,1] op_sel_hi:[1,1,0]
	v_pk_fma_f32 v[38:39], v[40:41], v[38:39], v[50:51] op_sel:[0,0,1] op_sel_hi:[0,1,0] neg_lo:[0,0,1] neg_hi:[0,0,1]
	s_waitcnt lgkmcnt(2)
	v_pk_mul_f32 v[52:53], v[36:37], v[48:49] op_sel:[1,0]
	v_pk_add_f32 v[26:27], v[56:57], 0 op_sel_hi:[1,0]
	v_mov_b32_e32 v35, v39
	v_pk_add_f32 v[26:27], v[26:27], v[34:35]
	v_pk_fma_f32 v[34:35], v[36:37], v[48:49], v[52:53] op_sel:[0,0,1] op_sel_hi:[1,1,0]
	v_pk_fma_f32 v[36:37], v[36:37], v[48:49], v[52:53] op_sel:[0,0,1] op_sel_hi:[0,1,0] neg_lo:[0,0,1] neg_hi:[0,0,1]
	v_pk_mul_f32 v[54:55], v[46:47], v[44:45] op_sel:[1,0]
	v_mov_b32_e32 v35, v37
	v_pk_add_f32 v[26:27], v[26:27], v[34:35]
	v_pk_fma_f32 v[34:35], v[46:47], v[44:45], v[54:55] op_sel:[0,0,1] op_sel_hi:[1,1,0]
	v_pk_fma_f32 v[36:37], v[46:47], v[44:45], v[54:55] op_sel:[0,0,1] op_sel_hi:[0,1,0] neg_lo:[0,0,1] neg_hi:[0,0,1]
	v_mov_b32_e32 v35, v37
	v_pk_add_f32 v[26:27], v[26:27], v[34:35]
	s_waitcnt lgkmcnt(0)
	s_barrier
	ds_write_b64 v23, v[26:27]
	s_waitcnt lgkmcnt(0)
	s_barrier
	s_and_saveexec_b64 s[8:9], s[6:7]
	s_cbranch_execz .LBB6_118
; %bb.117:
	ds_read2_b64 v[34:37], v24 offset1:1
	ds_read2_b64 v[38:41], v24 offset0:2 offset1:3
	ds_read2_b64 v[42:45], v24 offset0:6 offset1:7
	s_waitcnt lgkmcnt(2)
	v_pk_add_f32 v[26:27], v[32:33], v[34:35]
	ds_read2_b64 v[32:35], v24 offset0:4 offset1:5
	v_pk_add_f32 v[26:27], v[26:27], v[36:37]
	s_waitcnt lgkmcnt(2)
	v_pk_add_f32 v[26:27], v[26:27], v[38:39]
	s_nop 0
	v_pk_add_f32 v[26:27], v[26:27], v[40:41]
	s_waitcnt lgkmcnt(0)
	v_pk_add_f32 v[26:27], v[26:27], v[32:33]
	s_nop 0
	v_pk_add_f32 v[26:27], v[26:27], v[34:35]
	s_nop 0
	;; [unrolled: 2-line block ×3, first 2 shown]
	v_pk_add_f32 v[32:33], v[26:27], v[44:45]
.LBB6_118:
	s_or_b64 exec, exec, s[8:9]
	v_pk_mul_f32 v[26:27], v[8:9], v[20:21] op_sel:[0,1]
	s_nop 0
	v_pk_fma_f32 v[34:35], v[8:9], v[20:21], v[26:27] op_sel:[0,0,1] op_sel_hi:[1,1,0] neg_lo:[0,0,1] neg_hi:[0,0,1]
	v_pk_fma_f32 v[8:9], v[8:9], v[20:21], v[26:27] op_sel:[0,0,1] op_sel_hi:[1,0,0]
	v_pk_mul_f32 v[20:21], v[10:11], v[0:1] op_sel:[0,1]
	v_mov_b32_e32 v35, v9
	v_pk_fma_f32 v[26:27], v[10:11], v[0:1], v[20:21] op_sel:[0,0,1] op_sel_hi:[1,1,0] neg_lo:[0,0,1] neg_hi:[0,0,1]
	v_pk_fma_f32 v[0:1], v[10:11], v[0:1], v[20:21] op_sel:[0,0,1] op_sel_hi:[1,0,0]
	v_pk_add_f32 v[8:9], v[34:35], 0 op_sel_hi:[1,0]
	v_mov_b32_e32 v27, v1
	v_pk_add_f32 v[0:1], v[8:9], v[26:27]
	v_pk_mul_f32 v[8:9], v[4:5], v[2:3] op_sel:[0,1]
	s_barrier
	v_pk_fma_f32 v[10:11], v[4:5], v[2:3], v[8:9] op_sel:[0,0,1] op_sel_hi:[1,1,0] neg_lo:[0,0,1] neg_hi:[0,0,1]
	v_pk_fma_f32 v[2:3], v[4:5], v[2:3], v[8:9] op_sel:[0,0,1] op_sel_hi:[1,0,0]
	s_nop 0
	v_mov_b32_e32 v11, v3
	v_pk_mul_f32 v[2:3], v[6:7], v[18:19] op_sel:[0,1]
	v_pk_add_f32 v[0:1], v[0:1], v[10:11]
	v_pk_fma_f32 v[4:5], v[6:7], v[18:19], v[2:3] op_sel:[0,0,1] op_sel_hi:[1,1,0] neg_lo:[0,0,1] neg_hi:[0,0,1]
	v_pk_fma_f32 v[2:3], v[6:7], v[18:19], v[2:3] op_sel:[0,0,1] op_sel_hi:[1,0,0]
	s_nop 0
	v_mov_b32_e32 v5, v3
	v_pk_add_f32 v[0:1], v[0:1], v[4:5]
	ds_write_b64 v23, v[0:1]
	s_waitcnt lgkmcnt(0)
	s_barrier
	s_and_saveexec_b64 s[6:7], s[4:5]
	s_cbranch_execz .LBB6_120
; %bb.119:
	ds_read2_b64 v[0:3], v24 offset1:1
	ds_read2_b64 v[4:7], v24 offset0:2 offset1:3
	ds_read2_b64 v[8:11], v24 offset0:4 offset1:5
	s_waitcnt lgkmcnt(2)
	v_pk_add_f32 v[0:1], v[32:33], v[0:1]
	s_nop 0
	v_pk_add_f32 v[18:19], v[0:1], v[2:3]
	ds_read2_b64 v[0:3], v24 offset0:6 offset1:7
	s_waitcnt lgkmcnt(2)
	v_pk_add_f32 v[4:5], v[18:19], v[4:5]
	s_nop 0
	v_pk_add_f32 v[4:5], v[4:5], v[6:7]
	s_waitcnt lgkmcnt(1)
	v_pk_add_f32 v[4:5], v[4:5], v[8:9]
	s_nop 0
	v_pk_add_f32 v[4:5], v[4:5], v[10:11]
	;; [unrolled: 4-line block ×3, first 2 shown]
.LBB6_120:
	s_or_b64 exec, exec, s[6:7]
	s_load_dwordx2 s[0:1], s[0:1], 0x68
	s_mul_hi_u32 s4, s36, s3
	s_mul_i32 s37, s37, s3
	s_add_i32 s4, s4, s37
	s_mul_i32 s3, s36, s3
	s_mul_i32 s4, s4, s33
	s_mul_hi_u32 s5, s3, s33
	s_add_i32 s5, s5, s4
	s_mul_i32 s4, s3, s33
	s_lshl_b64 s[4:5], s[4:5], 3
	s_waitcnt lgkmcnt(0)
	s_add_u32 s3, s0, s4
	s_addc_u32 s4, s1, s5
	s_mul_hi_i32 s1, s36, s2
	s_mul_i32 s0, s36, s2
	s_lshl_b64 s[0:1], s[0:1], 3
	s_add_u32 s6, s3, s0
	s_addc_u32 s7, s4, s1
	s_add_i32 s8, s2, 1
	s_cmp_ge_u32 s8, s33
	v_lshlrev_b32_e32 v31, 3, v30
	s_barrier
	s_cbranch_scc1 .LBB6_178
; %bb.121:
	s_mul_i32 s0, s24, s35
	v_and_b32_e32 v4, 48, v30
	s_ashr_i32 s1, s0, 31
	v_and_b32_e32 v2, 15, v30
	s_lshl_b32 s4, s22, 4
	v_lshlrev_b32_e32 v5, 3, v4
	s_movk_i32 s9, 0x218
	s_lshl_b64 s[0:1], s[0:1], 3
	v_lshrrev_b32_e32 v3, 4, v22
	s_lshl_b32 s19, s35, 6
	s_ashr_i32 s5, s4, 31
	v_mad_u32_u24 v139, v2, s9, v5
	v_or_b32_e32 v5, 0x78, v31
	s_ashr_i32 s23, s22, 31
	s_lshl_b32 s16, s22, 1
	s_mul_i32 s28, s22, 3
	s_mul_i32 s35, s35, s8
	v_lshlrev_b32_e32 v123, 2, v29
	v_mov_b32_e32 v0, s1
	v_subrev_co_u32_e32 v34, vcc, s0, v12
	s_add_i32 s3, s33, -2
	v_mad_u32_u24 v140, v2, s9, v5
	v_lshlrev_b32_e32 v5, 5, v3
	s_ashr_i32 s17, s16, 31
	v_mul_i32_i24_e32 v6, 0xffffffe8, v3
	s_ashr_i32 s29, s28, 31
	s_lshl_b64 s[12:13], s[22:23], 3
	s_lshl_b32 s8, s35, 6
	v_add_u32_e32 v3, s24, v4
	s_lshl_b64 s[24:25], s[26:27], 3
	s_lshl_b64 s[10:11], s[4:5], 5
	;; [unrolled: 1-line block ×3, first 2 shown]
	v_subb_co_u32_e32 v35, vcc, v13, v0, vcc
	v_mad_u64_u32 v[0:1], s[0:1], v123, s22, v[30:31]
	v_mad_u32_u24 v141, v2, s9, v5
	v_add3_u32 v36, v3, v2, 64
	v_lshlrev_b64 v[2:3], 3, v[14:15]
	s_add_u32 s36, s30, s24
	v_ashrrev_i32_e32 v1, 31, v0
	v_sub_co_u32_e32 v38, vcc, 0, v2
	s_addc_u32 s37, s31, s25
	v_mov_b32_e32 v5, 0x2180
	v_subb_co_u32_e32 v39, vcc, 0, v3, vcc
	v_lshlrev_b64 v[2:3], 3, v[0:1]
	s_add_u32 s38, s12, s24
	v_lshl_add_u32 v145, v29, 5, v5
	v_lshl_add_u64 v[4:5], s[24:25], 0, v[2:3]
	s_addc_u32 s39, s13, s25
	s_lshl_b64 s[16:17], s[16:17], 3
	v_lshl_add_u64 v[40:41], v[16:17], 0, v[4:5]
	v_lshl_add_u64 v[4:5], s[36:37], 0, v[2:3]
	s_add_u32 s40, s24, s16
	v_lshl_add_u64 v[42:43], v[16:17], 0, v[4:5]
	v_lshl_add_u64 v[4:5], s[38:39], 0, v[2:3]
	s_addc_u32 s41, s25, s17
	s_lshl_b64 s[28:29], s[28:29], 3
	v_lshl_add_u64 v[44:45], v[16:17], 0, v[4:5]
	v_lshl_add_u64 v[4:5], s[40:41], 0, v[2:3]
	s_add_u32 s40, s24, s28
	s_addc_u32 s41, s25, s29
	v_lshl_add_u64 v[46:47], v[16:17], 0, v[4:5]
	v_lshl_add_u64 v[4:5], s[40:41], 0, v[2:3]
	s_lshl_b64 s[40:41], s[4:5], 3
	s_add_u32 s42, s24, s40
	s_addc_u32 s43, s25, s41
	s_add_u32 s38, s38, s40
	v_lshl_add_u64 v[48:49], v[16:17], 0, v[4:5]
	v_lshl_add_u64 v[4:5], s[42:43], 0, v[2:3]
	s_addc_u32 s39, s39, s41
	v_lshl_add_u64 v[50:51], v[16:17], 0, v[4:5]
	v_lshl_add_u64 v[4:5], s[38:39], 0, v[2:3]
	s_add_u32 s38, s42, s16
	s_addc_u32 s39, s43, s17
	v_lshl_add_u64 v[52:53], v[16:17], 0, v[4:5]
	v_lshl_add_u64 v[4:5], s[38:39], 0, v[2:3]
	s_add_u32 s38, s36, s40
	;; [unrolled: 4-line block ×3, first 2 shown]
	s_addc_u32 s39, s43, s29
	v_lshl_add_u64 v[56:57], v[16:17], 0, v[4:5]
	v_lshl_add_u64 v[4:5], s[38:39], 0, v[2:3]
	s_lshl_b64 s[38:39], s[4:5], 4
	s_add_u32 s24, s38, s24
	s_addc_u32 s25, s39, s25
	s_add_u32 s40, s24, s12
	v_lshl_add_u64 v[58:59], v[16:17], 0, v[4:5]
	v_lshl_add_u64 v[4:5], s[24:25], 0, v[2:3]
	s_addc_u32 s41, s25, s13
	v_lshl_add_u64 v[60:61], v[16:17], 0, v[4:5]
	v_lshl_add_u64 v[4:5], s[40:41], 0, v[2:3]
	s_add_u32 s40, s24, s16
	s_addc_u32 s41, s25, s17
	s_add_u32 s36, s36, s38
	s_addc_u32 s37, s37, s39
	s_add_u32 s24, s24, s28
	v_lshl_add_u64 v[62:63], v[16:17], 0, v[4:5]
	v_lshl_add_u64 v[4:5], s[40:41], 0, v[2:3]
	s_addc_u32 s25, s25, s29
	v_lshl_add_u64 v[0:1], s[26:27], 0, v[0:1]
	s_movk_i32 s9, 0x860
	v_lshl_add_u64 v[64:65], v[16:17], 0, v[4:5]
	v_lshl_add_u64 v[4:5], s[36:37], 0, v[2:3]
	;; [unrolled: 1-line block ×3, first 2 shown]
	v_lshlrev_b64 v[0:1], 3, v[0:1]
	v_mad_u32_u24 v146, v29, s9, v31
	v_lshl_add_u64 v[68:69], v[16:17], 0, v[2:3]
	s_mul_i32 s9, s22, 0x180
	s_mul_hi_i32 s22, s4, 24
	v_mad_i64_i32 v[2:3], s[4:5], s4, 24, v[0:1]
	s_add_u32 s4, s9, s30
	s_addc_u32 s5, s22, s31
	v_lshl_add_u64 v[66:67], v[16:17], 0, v[4:5]
	v_lshl_add_u64 v[4:5], v[2:3], 0, s[12:13]
	;; [unrolled: 1-line block ×7, first 2 shown]
	v_add_u32_e32 v137, 0x2180, v31
	v_add_u32_e32 v138, 0x2380, v31
	v_cmp_gt_u32_e64 s[0:1], 64, v22
	v_or_b32_e32 v142, 1, v123
	v_or_b32_e32 v143, 2, v123
	;; [unrolled: 1-line block ×3, first 2 shown]
	v_add_u32_e32 v147, 16, v123
	v_add_u32_e32 v148, 17, v123
	;; [unrolled: 1-line block ×12, first 2 shown]
	v_lshl_add_u64 v[70:71], v[16:17], 0, v[2:3]
	v_lshl_add_u64 v[74:75], v[16:17], 0, v[4:5]
	;; [unrolled: 1-line block ×3, first 2 shown]
	s_mov_b32 s12, 0
	v_add_u32_e32 v159, v141, v6
	v_mov_b32_e32 v80, 0
	s_branch .LBB6_123
.LBB6_122:                              ;   in Loop: Header=BB6_123 Depth=1
	s_or_b64 exec, exec, s[4:5]
	v_mul_f32_e32 v0, v83, v91
	v_fma_f32 v0, v82, v90, -v0
	v_mul_f32_e32 v2, v85, v93
	v_add_f32_e32 v0, v32, v0
	v_fma_f32 v2, v84, v92, -v2
	v_add_f32_e32 v0, v0, v2
	v_mul_f32_e32 v2, v87, v95
	v_fma_f32 v2, v86, v94, -v2
	v_mul_f32_e32 v1, v82, v91
	v_add_f32_e32 v0, v0, v2
	v_mul_f32_e32 v2, v89, v97
	v_mul_f32_e32 v3, v84, v93
	v_fma_f32 v2, v88, v96, -v2
	v_fmac_f32_e32 v1, v83, v90
	v_mul_f32_e32 v4, v86, v95
	v_add_f32_e32 v0, v0, v2
	v_add_f32_e32 v1, v33, v1
	v_fmac_f32_e32 v3, v85, v92
	v_mul_f32_e32 v2, v99, v107
	v_mul_f32_e32 v5, v88, v97
	v_add_f32_e32 v1, v1, v3
	v_fmac_f32_e32 v4, v87, v94
	v_fma_f32 v2, v98, v106, -v2
	v_add_f32_e32 v1, v1, v4
	v_fmac_f32_e32 v5, v89, v96
	v_mul_f32_e32 v6, v98, v107
	v_add_f32_e32 v0, v0, v2
	v_mul_f32_e32 v2, v101, v109
	v_add_f32_e32 v1, v1, v5
	v_fma_f32 v2, v100, v108, -v2
	v_mul_f32_e32 v7, v100, v109
	v_fmac_f32_e32 v6, v99, v106
	v_add_f32_e32 v0, v0, v2
	v_mul_f32_e32 v2, v103, v111
	v_mul_f32_e32 v3, v102, v111
	v_add_f32_e32 v1, v1, v6
	v_fmac_f32_e32 v7, v101, v108
	v_fma_f32 v2, v102, v110, -v2
	v_mul_f32_e32 v4, v105, v113
	v_mul_f32_e32 v5, v104, v113
	v_add_f32_e32 v1, v1, v7
	v_fmac_f32_e32 v3, v103, v110
	v_fma_f32 v4, v104, v112, -v4
	v_pk_add_f32 v[0:1], v[0:1], v[2:3]
	v_fmac_f32_e32 v5, v105, v112
	v_pk_mul_f32 v[2:3], v[114:115], v[124:125] op_sel:[1,0]
	v_pk_add_f32 v[0:1], v[0:1], v[4:5]
	v_pk_fma_f32 v[4:5], v[114:115], v[124:125], v[2:3] op_sel:[0,0,1] op_sel_hi:[1,1,0] neg_lo:[0,0,1] neg_hi:[0,0,1]
	v_pk_fma_f32 v[2:3], v[114:115], v[124:125], v[2:3] op_sel:[0,0,1] op_sel_hi:[0,1,0]
	v_mov_b32_e32 v5, v3
	v_pk_mul_f32 v[2:3], v[116:117], v[8:9] op_sel:[1,0]
	v_pk_add_f32 v[0:1], v[0:1], v[4:5]
	v_pk_fma_f32 v[4:5], v[116:117], v[8:9], v[2:3] op_sel:[0,0,1] op_sel_hi:[1,1,0] neg_lo:[0,0,1] neg_hi:[0,0,1]
	v_pk_fma_f32 v[2:3], v[116:117], v[8:9], v[2:3] op_sel:[0,0,1] op_sel_hi:[0,1,0]
	v_mov_b32_e32 v5, v3
	;; [unrolled: 5-line block ×3, first 2 shown]
	v_pk_mul_f32 v[2:3], v[122:123], v[126:127] op_sel_hi:[0,1]
	v_pk_add_f32 v[0:1], v[0:1], v[4:5]
	v_pk_fma_f32 v[4:5], v[120:121], v[126:127], v[2:3] op_sel:[0,0,1] op_sel_hi:[1,1,0] neg_lo:[0,0,1] neg_hi:[0,0,1]
	v_pk_fma_f32 v[2:3], v[120:121], v[126:127], v[2:3] op_sel:[0,0,1] op_sel_hi:[0,1,0]
	v_mov_b32_e32 v5, v3
	v_pk_mul_f32 v[2:3], v[128:129], v[16:17] op_sel:[1,0]
	v_pk_add_f32 v[0:1], v[0:1], v[4:5]
	v_pk_fma_f32 v[4:5], v[128:129], v[16:17], v[2:3] op_sel:[0,0,1] op_sel_hi:[1,1,0] neg_lo:[0,0,1] neg_hi:[0,0,1]
	v_pk_fma_f32 v[2:3], v[128:129], v[16:17], v[2:3] op_sel:[0,0,1] op_sel_hi:[0,1,0]
	v_mov_b32_e32 v5, v3
	v_pk_mul_f32 v[2:3], v[130:131], v[18:19] op_sel:[1,0]
	;; [unrolled: 5-line block ×3, first 2 shown]
	v_pk_add_f32 v[0:1], v[0:1], v[6:7]
	v_pk_fma_f32 v[8:9], v[132:133], v[12:13], v[2:3] op_sel:[0,0,1] op_sel_hi:[1,1,0] neg_lo:[0,0,1] neg_hi:[0,0,1]
	v_pk_fma_f32 v[2:3], v[132:133], v[12:13], v[2:3] op_sel:[0,0,1] op_sel_hi:[0,1,0]
	v_mov_b32_e32 v9, v3
	v_pk_mul_f32 v[2:3], v[136:137], v[14:15] op_sel_hi:[0,1]
	v_pk_fma_f32 v[10:11], v[134:135], v[14:15], v[2:3] op_sel:[0,0,1] op_sel_hi:[1,1,0] neg_lo:[0,0,1] neg_hi:[0,0,1]
	v_pk_fma_f32 v[2:3], v[134:135], v[14:15], v[2:3] op_sel:[0,0,1] op_sel_hi:[0,1,0]
	v_mov_b32_e32 v11, v3
	v_pk_add_f32 v[0:1], v[0:1], v[8:9]
	s_add_i32 s4, s2, 1
	s_add_i32 s8, s8, s19
	;; [unrolled: 1-line block ×3, first 2 shown]
	v_pk_add_f32 v[32:33], v[0:1], v[10:11]
	v_add_u32_e32 v36, 64, v36
	v_lshl_add_u64 v[40:41], v[40:41], 0, s[10:11]
	v_lshl_add_u64 v[42:43], v[42:43], 0, s[10:11]
	;; [unrolled: 1-line block ×20, first 2 shown]
	s_cmp_ge_u32 s2, s33
	s_mov_b32 s2, s4
	s_barrier
	s_cbranch_scc1 .LBB6_178
.LBB6_123:                              ; =>This Inner Loop Header: Depth=1
	s_cmp_eq_u32 s3, s2
	s_cselect_b32 s26, s34, 0
	s_and_saveexec_b64 s[4:5], s[14:15]
	s_cbranch_execz .LBB6_128
; %bb.124:                              ;   in Loop: Header=BB6_123 Depth=1
	s_cmp_lg_u32 s26, 0
	s_cselect_b64 s[16:17], -1, 0
	v_cmp_le_i32_e32 vcc, s26, v30
	s_and_b64 s[16:17], s[16:17], vcc
	s_and_saveexec_b64 s[22:23], s[16:17]
	s_xor_b64 s[16:17], exec, s[22:23]
	s_cbranch_execz .LBB6_126
; %bb.125:                              ;   in Loop: Header=BB6_123 Depth=1
	v_mov_b32_e32 v81, v80
	ds_write_b64 v137, v[80:81]
.LBB6_126:                              ;   in Loop: Header=BB6_123 Depth=1
	s_andn2_saveexec_b64 s[16:17], s[16:17]
	s_cbranch_execz .LBB6_128
; %bb.127:                              ;   in Loop: Header=BB6_123 Depth=1
	s_ashr_i32 s9, s8, 31
	v_lshl_add_u64 v[0:1], s[8:9], 3, v[34:35]
	global_load_dwordx2 v[0:1], v[0:1], off
	s_waitcnt vmcnt(0)
	ds_write_b64 v137, v[0:1]
.LBB6_128:                              ;   in Loop: Header=BB6_123 Depth=1
	s_or_b64 exec, exec, s[4:5]
	s_cmp_eq_u32 s26, 0
	s_cselect_b64 s[16:17], -1, 0
	s_cmp_lg_u32 s26, 0
	s_cselect_b64 s[22:23], -1, 0
	v_lshl_add_u64 v[0:1], v[40:41], 0, v[38:39]
	s_and_b64 vcc, exec, s[22:23]
	s_waitcnt lgkmcnt(0)
	s_barrier
	s_cbranch_vccz .LBB6_136
; %bb.129:                              ;   in Loop: Header=BB6_123 Depth=1
	s_mov_b32 s13, s12
	v_cmp_gt_i32_e32 vcc, s26, v123
	v_mov_b64_e32 v[82:83], s[12:13]
	s_and_saveexec_b64 s[4:5], vcc
	s_cbranch_execz .LBB6_131
; %bb.130:                              ;   in Loop: Header=BB6_123 Depth=1
	global_load_dwordx2 v[82:83], v[0:1], off
.LBB6_131:                              ;   in Loop: Header=BB6_123 Depth=1
	s_or_b64 exec, exec, s[4:5]
	v_cmp_gt_i32_e32 vcc, s26, v142
	v_mov_b64_e32 v[84:85], s[12:13]
	s_and_saveexec_b64 s[4:5], vcc
	s_cbranch_execz .LBB6_133
; %bb.132:                              ;   in Loop: Header=BB6_123 Depth=1
	v_lshl_add_u64 v[2:3], v[44:45], 0, v[38:39]
	global_load_dwordx2 v[84:85], v[2:3], off
.LBB6_133:                              ;   in Loop: Header=BB6_123 Depth=1
	s_or_b64 exec, exec, s[4:5]
	s_mov_b32 s13, s12
	v_cmp_gt_i32_e32 vcc, s26, v143
	v_mov_b64_e32 v[86:87], s[12:13]
	s_and_saveexec_b64 s[4:5], vcc
	s_cbranch_execz .LBB6_135
; %bb.134:                              ;   in Loop: Header=BB6_123 Depth=1
	v_lshl_add_u64 v[2:3], v[46:47], 0, v[38:39]
	global_load_dwordx2 v[86:87], v[2:3], off
.LBB6_135:                              ;   in Loop: Header=BB6_123 Depth=1
	s_or_b64 exec, exec, s[4:5]
	v_cmp_gt_i32_e64 s[4:5], s26, v144
	s_mov_b32 s9, 0
	s_branch .LBB6_138
.LBB6_136:                              ;   in Loop: Header=BB6_123 Depth=1
	s_mov_b64 s[4:5], 0
                                        ; implicit-def: $sgpr9
                                        ; implicit-def: $vgpr86_vgpr87
                                        ; implicit-def: $vgpr84_vgpr85
                                        ; implicit-def: $vgpr82_vgpr83
	s_cbranch_execz .LBB6_138
; %bb.137:                              ;   in Loop: Header=BB6_123 Depth=1
	global_load_dwordx2 v[82:83], v[0:1], off
	v_lshl_add_u64 v[0:1], v[44:45], 0, v[38:39]
	global_load_dwordx2 v[84:85], v[0:1], off
	v_lshl_add_u64 v[0:1], v[42:43], 0, v[38:39]
	global_load_dwordx2 v[86:87], v[0:1], off
	s_or_b64 s[4:5], s[4:5], exec
                                        ; implicit-def: $sgpr9
.LBB6_138:                              ;   in Loop: Header=BB6_123 Depth=1
	v_mov_b32_e32 v88, s9
	v_mov_b32_e32 v89, s9
	s_and_saveexec_b64 s[24:25], s[4:5]
	s_cbranch_execz .LBB6_140
; %bb.139:                              ;   in Loop: Header=BB6_123 Depth=1
	v_lshl_add_u64 v[0:1], v[48:49], 0, v[38:39]
	global_load_dwordx2 v[88:89], v[0:1], off
.LBB6_140:                              ;   in Loop: Header=BB6_123 Depth=1
	s_or_b64 exec, exec, s[24:25]
	ds_read_b64 v[0:1], v138
	ds_read_b64 v[90:91], v145
	v_cndmask_b32_e64 v8, 0, 1, s[22:23]
	v_cmp_ne_u32_e64 s[4:5], 1, v8
	s_andn2_b64 vcc, exec, s[22:23]
	s_waitcnt vmcnt(0) lgkmcnt(1)
	v_mul_f32_e32 v2, v83, v1
	v_mul_f32_e32 v3, v83, v0
	v_fmac_f32_e32 v2, v82, v0
	v_fma_f32 v3, v82, v1, -v3
	v_mul_f32_e32 v4, v85, v1
	ds_write_b64 v146, v[2:3]
	v_mul_f32_e32 v2, v85, v0
	v_fmac_f32_e32 v4, v84, v0
	v_fma_f32 v5, v84, v1, -v2
	v_mul_f32_e32 v2, v87, v1
	v_mul_f32_e32 v3, v87, v0
	ds_read_b64 v[92:93], v145 offset:8
	ds_write_b64 v146, v[4:5] offset:536
	v_fmac_f32_e32 v2, v86, v0
	v_fma_f32 v3, v86, v1, -v3
	ds_read_b64 v[94:95], v145 offset:16
	ds_write_b64 v146, v[2:3] offset:1072
	v_mul_f32_e32 v2, v89, v1
	v_fmac_f32_e32 v2, v88, v0
	v_mul_f32_e32 v0, v89, v0
	v_fma_f32 v3, v88, v1, -v0
	ds_read_b64 v[96:97], v145 offset:24
	ds_write_b64 v146, v[2:3] offset:1608
	s_waitcnt lgkmcnt(0)
	s_barrier
	ds_read2_b64 v[4:7], v141 offset1:1
	ds_read2_b64 v[0:3], v141 offset0:2 offset1:3
	v_lshl_add_u64 v[8:9], v[50:51], 0, v[38:39]
	s_waitcnt lgkmcnt(0)
	s_barrier
	s_cbranch_vccnz .LBB6_148
; %bb.141:                              ;   in Loop: Header=BB6_123 Depth=1
	s_mov_b32 s13, s12
	v_cmp_gt_i32_e32 vcc, s26, v147
	v_mov_b64_e32 v[98:99], s[12:13]
	s_and_saveexec_b64 s[22:23], vcc
	s_cbranch_execz .LBB6_143
; %bb.142:                              ;   in Loop: Header=BB6_123 Depth=1
	global_load_dwordx2 v[98:99], v[8:9], off
.LBB6_143:                              ;   in Loop: Header=BB6_123 Depth=1
	s_or_b64 exec, exec, s[22:23]
	v_cmp_gt_i32_e32 vcc, s26, v148
	v_mov_b64_e32 v[100:101], s[12:13]
	s_and_saveexec_b64 s[22:23], vcc
	s_cbranch_execz .LBB6_145
; %bb.144:                              ;   in Loop: Header=BB6_123 Depth=1
	v_lshl_add_u64 v[10:11], v[52:53], 0, v[38:39]
	global_load_dwordx2 v[100:101], v[10:11], off
.LBB6_145:                              ;   in Loop: Header=BB6_123 Depth=1
	s_or_b64 exec, exec, s[22:23]
	s_mov_b32 s13, s12
	v_cmp_gt_i32_e32 vcc, s26, v149
	v_mov_b64_e32 v[102:103], s[12:13]
	s_and_saveexec_b64 s[22:23], vcc
	s_cbranch_execz .LBB6_147
; %bb.146:                              ;   in Loop: Header=BB6_123 Depth=1
	v_lshl_add_u64 v[10:11], v[54:55], 0, v[38:39]
	global_load_dwordx2 v[102:103], v[10:11], off
.LBB6_147:                              ;   in Loop: Header=BB6_123 Depth=1
	s_or_b64 exec, exec, s[22:23]
	v_cmp_gt_i32_e64 s[22:23], s26, v150
	s_mov_b32 s9, 0
	s_branch .LBB6_150
.LBB6_148:                              ;   in Loop: Header=BB6_123 Depth=1
	s_mov_b64 s[22:23], 0
                                        ; implicit-def: $sgpr9
                                        ; implicit-def: $vgpr102_vgpr103
                                        ; implicit-def: $vgpr100_vgpr101
                                        ; implicit-def: $vgpr98_vgpr99
	s_cbranch_execz .LBB6_150
; %bb.149:                              ;   in Loop: Header=BB6_123 Depth=1
	global_load_dwordx2 v[98:99], v[8:9], off
	v_lshl_add_u64 v[8:9], v[52:53], 0, v[38:39]
	global_load_dwordx2 v[100:101], v[8:9], off
	v_lshl_add_u64 v[8:9], v[56:57], 0, v[38:39]
	global_load_dwordx2 v[102:103], v[8:9], off
	s_or_b64 s[22:23], s[22:23], exec
                                        ; implicit-def: $sgpr9
.LBB6_150:                              ;   in Loop: Header=BB6_123 Depth=1
	v_mov_b32_e32 v104, s9
	v_mov_b32_e32 v105, s9
	s_and_saveexec_b64 s[24:25], s[22:23]
	s_cbranch_execz .LBB6_152
; %bb.151:                              ;   in Loop: Header=BB6_123 Depth=1
	v_lshl_add_u64 v[8:9], v[58:59], 0, v[38:39]
	global_load_dwordx2 v[104:105], v[8:9], off
.LBB6_152:                              ;   in Loop: Header=BB6_123 Depth=1
	s_or_b64 exec, exec, s[24:25]
	ds_read_b64 v[8:9], v138
	ds_read_b64 v[106:107], v145 offset:128
	s_and_b64 vcc, exec, s[4:5]
	s_waitcnt vmcnt(0) lgkmcnt(1)
	v_mul_f32_e32 v10, v99, v9
	v_mul_f32_e32 v11, v99, v8
	v_fmac_f32_e32 v10, v98, v8
	v_fma_f32 v11, v98, v9, -v11
	v_mul_f32_e32 v12, v101, v9
	ds_write_b64 v146, v[10:11]
	v_mul_f32_e32 v10, v101, v8
	v_fmac_f32_e32 v12, v100, v8
	v_fma_f32 v13, v100, v9, -v10
	v_mul_f32_e32 v10, v103, v9
	v_mul_f32_e32 v11, v103, v8
	ds_read_b64 v[108:109], v145 offset:136
	ds_write_b64 v146, v[12:13] offset:536
	v_fmac_f32_e32 v10, v102, v8
	v_fma_f32 v11, v102, v9, -v11
	ds_read_b64 v[110:111], v145 offset:144
	ds_write_b64 v146, v[10:11] offset:1072
	v_mul_f32_e32 v10, v105, v9
	v_fmac_f32_e32 v10, v104, v8
	v_mul_f32_e32 v8, v105, v8
	v_fma_f32 v11, v104, v9, -v8
	ds_read_b64 v[112:113], v145 offset:152
	ds_write_b64 v146, v[10:11] offset:1608
	s_waitcnt lgkmcnt(0)
	s_barrier
	ds_read2_b64 v[16:19], v141 offset1:1
	ds_read2_b64 v[12:15], v141 offset0:2 offset1:3
	v_lshl_add_u64 v[8:9], v[60:61], 0, v[38:39]
	s_waitcnt lgkmcnt(0)
	s_barrier
	s_cbranch_vccnz .LBB6_160
; %bb.153:                              ;   in Loop: Header=BB6_123 Depth=1
	s_mov_b32 s13, s12
	v_cmp_gt_i32_e32 vcc, s26, v151
	v_mov_b64_e32 v[114:115], s[12:13]
	s_and_saveexec_b64 s[22:23], vcc
	s_cbranch_execz .LBB6_155
; %bb.154:                              ;   in Loop: Header=BB6_123 Depth=1
	global_load_dwordx2 v[114:115], v[8:9], off
.LBB6_155:                              ;   in Loop: Header=BB6_123 Depth=1
	s_or_b64 exec, exec, s[22:23]
	v_cmp_gt_i32_e32 vcc, s26, v152
	v_mov_b64_e32 v[116:117], s[12:13]
	s_and_saveexec_b64 s[22:23], vcc
	s_cbranch_execz .LBB6_157
; %bb.156:                              ;   in Loop: Header=BB6_123 Depth=1
	v_lshl_add_u64 v[10:11], v[62:63], 0, v[38:39]
	global_load_dwordx2 v[116:117], v[10:11], off
.LBB6_157:                              ;   in Loop: Header=BB6_123 Depth=1
	s_or_b64 exec, exec, s[22:23]
	s_mov_b32 s13, s12
	v_cmp_gt_i32_e32 vcc, s26, v153
	v_mov_b64_e32 v[118:119], s[12:13]
	s_and_saveexec_b64 s[22:23], vcc
	s_cbranch_execz .LBB6_159
; %bb.158:                              ;   in Loop: Header=BB6_123 Depth=1
	v_lshl_add_u64 v[10:11], v[64:65], 0, v[38:39]
	global_load_dwordx2 v[118:119], v[10:11], off
.LBB6_159:                              ;   in Loop: Header=BB6_123 Depth=1
	s_or_b64 exec, exec, s[22:23]
	v_cmp_gt_i32_e64 s[22:23], s26, v154
	s_mov_b32 s9, 0
	s_branch .LBB6_162
.LBB6_160:                              ;   in Loop: Header=BB6_123 Depth=1
	s_mov_b64 s[22:23], 0
                                        ; implicit-def: $sgpr9
                                        ; implicit-def: $vgpr118_vgpr119
                                        ; implicit-def: $vgpr116_vgpr117
                                        ; implicit-def: $vgpr114_vgpr115
	s_cbranch_execz .LBB6_162
; %bb.161:                              ;   in Loop: Header=BB6_123 Depth=1
	global_load_dwordx2 v[114:115], v[8:9], off
	v_lshl_add_u64 v[8:9], v[62:63], 0, v[38:39]
	global_load_dwordx2 v[116:117], v[8:9], off
	v_lshl_add_u64 v[8:9], v[66:67], 0, v[38:39]
	global_load_dwordx2 v[118:119], v[8:9], off
	s_or_b64 s[22:23], s[22:23], exec
                                        ; implicit-def: $sgpr9
.LBB6_162:                              ;   in Loop: Header=BB6_123 Depth=1
	v_mov_b32_e32 v120, s9
	v_mov_b32_e32 v122, s9
	s_and_saveexec_b64 s[24:25], s[22:23]
	s_cbranch_execz .LBB6_164
; %bb.163:                              ;   in Loop: Header=BB6_123 Depth=1
	v_lshl_add_u64 v[8:9], v[68:69], 0, v[38:39]
	global_load_dwordx2 v[120:121], v[8:9], off
	s_waitcnt vmcnt(0)
	v_mov_b32_e32 v122, v121
.LBB6_164:                              ;   in Loop: Header=BB6_123 Depth=1
	s_or_b64 exec, exec, s[24:25]
	ds_read_b64 v[8:9], v138
	ds_read_b64 v[124:125], v145 offset:256
	s_and_b64 vcc, exec, s[4:5]
	v_lshl_add_u64 v[134:135], v[70:71], 0, v[38:39]
	s_waitcnt vmcnt(0) lgkmcnt(1)
	v_mul_f32_e32 v10, v115, v9
	v_mul_f32_e32 v11, v115, v8
	;; [unrolled: 1-line block ×4, first 2 shown]
	v_fmac_f32_e32 v10, v114, v8
	v_fma_f32 v11, v114, v9, -v11
	v_fmac_f32_e32 v20, v116, v8
	v_fma_f32 v21, v116, v9, -v21
	ds_write2_b64 v146, v[10:11], v[20:21] offset1:67
	v_mul_f32_e32 v10, v119, v9
	v_mul_f32_e32 v20, v122, v9
	v_fmac_f32_e32 v10, v118, v8
	v_mul_f32_e32 v11, v119, v8
	v_fmac_f32_e32 v20, v120, v8
	v_mul_f32_e32 v8, v122, v8
	v_fma_f32 v11, v118, v9, -v11
	v_fma_f32 v21, v120, v9, -v8
	ds_write2_b64 v146, v[10:11], v[20:21] offset0:134 offset1:201
	ds_read2_b64 v[8:11], v145 offset0:33 offset1:34
	ds_read_b64 v[126:127], v145 offset:280
	s_waitcnt lgkmcnt(0)
	s_barrier
	ds_read2_b64 v[24:27], v141 offset1:1
	ds_read2_b64 v[20:23], v141 offset0:2 offset1:3
	s_waitcnt lgkmcnt(0)
	s_barrier
	s_cbranch_vccnz .LBB6_172
; %bb.165:                              ;   in Loop: Header=BB6_123 Depth=1
	s_mov_b32 s13, s12
	v_cmp_gt_i32_e32 vcc, s26, v155
	v_mov_b64_e32 v[128:129], s[12:13]
	s_and_saveexec_b64 s[4:5], vcc
	s_cbranch_execz .LBB6_167
; %bb.166:                              ;   in Loop: Header=BB6_123 Depth=1
	global_load_dwordx2 v[128:129], v[134:135], off
.LBB6_167:                              ;   in Loop: Header=BB6_123 Depth=1
	s_or_b64 exec, exec, s[4:5]
	v_cmp_gt_i32_e32 vcc, s26, v156
	v_mov_b64_e32 v[130:131], s[12:13]
	s_and_saveexec_b64 s[4:5], vcc
	s_cbranch_execz .LBB6_169
; %bb.168:                              ;   in Loop: Header=BB6_123 Depth=1
	v_lshl_add_u64 v[130:131], v[72:73], 0, v[38:39]
	global_load_dwordx2 v[130:131], v[130:131], off
.LBB6_169:                              ;   in Loop: Header=BB6_123 Depth=1
	s_or_b64 exec, exec, s[4:5]
	s_mov_b32 s13, s12
	v_cmp_gt_i32_e32 vcc, s26, v157
	v_mov_b64_e32 v[132:133], s[12:13]
	s_and_saveexec_b64 s[4:5], vcc
	s_cbranch_execz .LBB6_171
; %bb.170:                              ;   in Loop: Header=BB6_123 Depth=1
	v_lshl_add_u64 v[132:133], v[74:75], 0, v[38:39]
	global_load_dwordx2 v[132:133], v[132:133], off
.LBB6_171:                              ;   in Loop: Header=BB6_123 Depth=1
	s_or_b64 exec, exec, s[4:5]
	v_cmp_gt_i32_e64 s[4:5], s26, v158
	s_mov_b32 s9, 0
	s_branch .LBB6_174
.LBB6_172:                              ;   in Loop: Header=BB6_123 Depth=1
	s_mov_b64 s[4:5], 0
                                        ; implicit-def: $sgpr9
                                        ; implicit-def: $vgpr132_vgpr133
                                        ; implicit-def: $vgpr130_vgpr131
                                        ; implicit-def: $vgpr128_vgpr129
	s_cbranch_execz .LBB6_174
; %bb.173:                              ;   in Loop: Header=BB6_123 Depth=1
	s_waitcnt vmcnt(0)
	v_lshl_add_u64 v[130:131], v[72:73], 0, v[38:39]
	v_lshl_add_u64 v[132:133], v[76:77], 0, v[38:39]
	global_load_dwordx2 v[128:129], v[134:135], off
	s_or_b64 s[4:5], s[4:5], exec
	global_load_dwordx2 v[130:131], v[130:131], off
                                        ; implicit-def: $sgpr9
	s_nop 0
	global_load_dwordx2 v[132:133], v[132:133], off
.LBB6_174:                              ;   in Loop: Header=BB6_123 Depth=1
	v_mov_b32_e32 v134, s9
	v_mov_b32_e32 v136, s9
	s_and_saveexec_b64 s[22:23], s[4:5]
	s_cbranch_execz .LBB6_176
; %bb.175:                              ;   in Loop: Header=BB6_123 Depth=1
	v_lshl_add_u64 v[134:135], v[78:79], 0, v[38:39]
	global_load_dwordx2 v[134:135], v[134:135], off
	s_waitcnt vmcnt(0)
	v_mov_b32_e32 v136, v135
.LBB6_176:                              ;   in Loop: Header=BB6_123 Depth=1
	s_or_b64 exec, exec, s[22:23]
	v_pk_add_f32 v[24:25], v[24:25], 0 op_sel_hi:[1,0]
	v_pk_add_f32 v[16:17], v[16:17], 0 op_sel_hi:[1,0]
	v_pk_add_f32 v[24:25], v[24:25], v[26:27]
	v_pk_add_f32 v[16:17], v[16:17], v[18:19]
	;; [unrolled: 1-line block ×5, first 2 shown]
	ds_read_b64 v[20:21], v138
	v_pk_add_f32 v[26:27], v[12:13], v[14:15]
	v_pk_add_f32 v[4:5], v[4:5], 0 op_sel_hi:[1,0]
	v_cmp_gt_i32_e32 vcc, s26, v30
	v_pk_add_f32 v[160:161], v[4:5], v[6:7]
	s_waitcnt vmcnt(0) lgkmcnt(0)
	v_mul_f32_e32 v12, v129, v21
	v_mul_f32_e32 v13, v129, v20
	;; [unrolled: 1-line block ×4, first 2 shown]
	v_fmac_f32_e32 v12, v128, v20
	v_fma_f32 v13, v128, v21, -v13
	v_fmac_f32_e32 v14, v130, v20
	v_fma_f32 v15, v130, v21, -v15
	ds_write2_b64 v146, v[12:13], v[14:15] offset1:67
	v_mul_f32_e32 v12, v133, v21
	v_mul_f32_e32 v13, v133, v20
	;; [unrolled: 1-line block ×4, first 2 shown]
	v_fmac_f32_e32 v12, v132, v20
	v_fma_f32 v13, v132, v21, -v13
	v_fmac_f32_e32 v14, v134, v20
	v_fma_f32 v15, v134, v21, -v15
	ds_write2_b64 v146, v[12:13], v[14:15] offset0:134 offset1:201
	ds_read_b128 v[16:19], v145 offset:384
	ds_read_b128 v[12:15], v145 offset:400
	s_waitcnt lgkmcnt(0)
	s_barrier
	ds_read2_b64 v[20:23], v141 offset1:1
	ds_read2_b64 v[4:7], v141 offset0:2 offset1:3
	v_pk_add_f32 v[0:1], v[160:161], v[0:1]
	s_or_b64 s[4:5], s[16:17], vcc
	v_pk_add_f32 v[0:1], v[0:1], v[2:3]
	s_waitcnt lgkmcnt(1)
	v_pk_add_f32 v[2:3], v[20:21], 0 op_sel_hi:[1,0]
	s_and_b64 s[16:17], s[0:1], s[4:5]
	v_pk_add_f32 v[2:3], v[2:3], v[22:23]
	s_waitcnt lgkmcnt(0)
	v_pk_add_f32 v[2:3], v[2:3], v[4:5]
	s_barrier
	v_pk_add_f32 v[2:3], v[2:3], v[6:7]
	ds_write2_b64 v159, v[0:1], v[26:27] offset1:16
	ds_write2_b64 v159, v[24:25], v[2:3] offset0:32 offset1:48
	s_waitcnt lgkmcnt(0)
	s_barrier
	s_and_saveexec_b64 s[4:5], s[16:17]
	s_cbranch_execz .LBB6_122
; %bb.177:                              ;   in Loop: Header=BB6_123 Depth=1
	ds_read_b64 v[20:21], v139
	ds_read2_b64 v[0:3], v139 offset0:1 offset1:2
	ds_read2_b64 v[4:7], v139 offset0:3 offset1:4
	v_ashrrev_i32_e32 v37, 31, v36
	v_lshl_add_u64 v[24:25], v[36:37], 3, s[6:7]
	s_waitcnt lgkmcnt(1)
	v_add_f32_e32 v0, v0, v20
	v_add_f32_e32 v1, v1, v21
	;; [unrolled: 1-line block ×4, first 2 shown]
	ds_read2_b64 v[0:3], v139 offset0:5 offset1:6
	s_waitcnt lgkmcnt(1)
	v_add_f32_e32 v4, v20, v4
	v_add_f32_e32 v5, v21, v5
	;; [unrolled: 1-line block ×4, first 2 shown]
	ds_read2_b64 v[4:7], v139 offset0:7 offset1:8
	s_waitcnt lgkmcnt(1)
	v_pk_add_f32 v[0:1], v[20:21], v[0:1]
	ds_read2_b64 v[20:23], v139 offset0:9 offset1:10
	v_pk_add_f32 v[0:1], v[0:1], v[2:3]
	s_waitcnt lgkmcnt(1)
	v_pk_add_f32 v[0:1], v[0:1], v[4:5]
	s_nop 0
	v_pk_add_f32 v[4:5], v[0:1], v[6:7]
	ds_read2_b64 v[0:3], v139 offset0:11 offset1:12
	s_waitcnt lgkmcnt(1)
	v_pk_add_f32 v[20:21], v[4:5], v[20:21]
	ds_read2_b64 v[4:7], v139 offset0:13 offset1:14
	v_pk_add_f32 v[20:21], v[20:21], v[22:23]
	ds_read_b64 v[22:23], v140
	s_waitcnt lgkmcnt(2)
	v_pk_add_f32 v[0:1], v[20:21], v[0:1]
	s_nop 0
	v_pk_add_f32 v[0:1], v[0:1], v[2:3]
	s_waitcnt lgkmcnt(1)
	v_pk_add_f32 v[0:1], v[0:1], v[4:5]
	s_nop 0
	v_pk_add_f32 v[0:1], v[0:1], v[6:7]
	s_waitcnt lgkmcnt(0)
	v_pk_add_f32 v[0:1], v[0:1], v[22:23]
	global_store_dwordx2 v[24:25], v[0:1], off
	s_branch .LBB6_122
.LBB6_178:
	s_movk_i32 s0, 0x218
	v_cmp_gt_i32_e32 vcc, s18, v30
	v_mad_u32_u24 v0, v29, s0, v31
	s_or_b64 s[0:1], s[20:21], vcc
	s_and_b64 s[0:1], s[14:15], s[0:1]
	ds_write_b64 v0, v[32:33]
	s_waitcnt lgkmcnt(0)
	s_barrier
	s_and_saveexec_b64 s[2:3], s[0:1]
	s_cbranch_execz .LBB6_180
; %bb.179:
	ds_read2_b64 v[0:3], v31 offset1:67
	ds_read2_b64 v[4:7], v31 offset0:134 offset1:201
	v_ashrrev_i32_e32 v29, 31, v28
	v_lshl_add_u64 v[8:9], v[28:29], 3, s[6:7]
	s_waitcnt lgkmcnt(1)
	v_pk_add_f32 v[0:1], v[2:3], v[0:1]
	s_waitcnt lgkmcnt(0)
	v_pk_add_f32 v[0:1], v[0:1], v[4:5]
	s_nop 0
	v_pk_add_f32 v[0:1], v[0:1], v[6:7]
	global_store_dwordx2 v[8:9], v[0:1], off
.LBB6_180:
	s_endpgm
	.section	.rodata,"a",@progbits
	.p2align	6, 0x0
	.amdhsa_kernel _ZL26rocblas_hemvn_kernel_upperILb1ELi64ELi4ELi33ELi32ELi16Ei19rocblas_complex_numIfEPKS1_PS1_EviT6_lT7_lT5_lS6_lS7_lS5_lT8_i
		.amdhsa_group_segment_fixed_size 9600
		.amdhsa_private_segment_fixed_size 0
		.amdhsa_kernarg_size 376
		.amdhsa_user_sgpr_count 2
		.amdhsa_user_sgpr_dispatch_ptr 0
		.amdhsa_user_sgpr_queue_ptr 0
		.amdhsa_user_sgpr_kernarg_segment_ptr 1
		.amdhsa_user_sgpr_dispatch_id 0
		.amdhsa_user_sgpr_kernarg_preload_length 0
		.amdhsa_user_sgpr_kernarg_preload_offset 0
		.amdhsa_user_sgpr_private_segment_size 0
		.amdhsa_uses_dynamic_stack 0
		.amdhsa_enable_private_segment 0
		.amdhsa_system_sgpr_workgroup_id_x 1
		.amdhsa_system_sgpr_workgroup_id_y 0
		.amdhsa_system_sgpr_workgroup_id_z 1
		.amdhsa_system_sgpr_workgroup_info 0
		.amdhsa_system_vgpr_workitem_id 1
		.amdhsa_next_free_vgpr 162
		.amdhsa_next_free_sgpr 44
		.amdhsa_accum_offset 164
		.amdhsa_reserve_vcc 1
		.amdhsa_float_round_mode_32 0
		.amdhsa_float_round_mode_16_64 0
		.amdhsa_float_denorm_mode_32 3
		.amdhsa_float_denorm_mode_16_64 3
		.amdhsa_dx10_clamp 1
		.amdhsa_ieee_mode 1
		.amdhsa_fp16_overflow 0
		.amdhsa_tg_split 0
		.amdhsa_exception_fp_ieee_invalid_op 0
		.amdhsa_exception_fp_denorm_src 0
		.amdhsa_exception_fp_ieee_div_zero 0
		.amdhsa_exception_fp_ieee_overflow 0
		.amdhsa_exception_fp_ieee_underflow 0
		.amdhsa_exception_fp_ieee_inexact 0
		.amdhsa_exception_int_div_zero 0
	.end_amdhsa_kernel
	.section	.text._ZL26rocblas_hemvn_kernel_upperILb1ELi64ELi4ELi33ELi32ELi16Ei19rocblas_complex_numIfEPKS1_PS1_EviT6_lT7_lT5_lS6_lS7_lS5_lT8_i,"axG",@progbits,_ZL26rocblas_hemvn_kernel_upperILb1ELi64ELi4ELi33ELi32ELi16Ei19rocblas_complex_numIfEPKS1_PS1_EviT6_lT7_lT5_lS6_lS7_lS5_lT8_i,comdat
.Lfunc_end6:
	.size	_ZL26rocblas_hemvn_kernel_upperILb1ELi64ELi4ELi33ELi32ELi16Ei19rocblas_complex_numIfEPKS1_PS1_EviT6_lT7_lT5_lS6_lS7_lS5_lT8_i, .Lfunc_end6-_ZL26rocblas_hemvn_kernel_upperILb1ELi64ELi4ELi33ELi32ELi16Ei19rocblas_complex_numIfEPKS1_PS1_EviT6_lT7_lT5_lS6_lS7_lS5_lT8_i
                                        ; -- End function
	.section	.AMDGPU.csdata,"",@progbits
; Kernel info:
; codeLenInByte = 8860
; NumSgprs: 50
; NumVgprs: 162
; NumAgprs: 0
; TotalNumVgprs: 162
; ScratchSize: 0
; MemoryBound: 1
; FloatMode: 240
; IeeeMode: 1
; LDSByteSize: 9600 bytes/workgroup (compile time only)
; SGPRBlocks: 6
; VGPRBlocks: 20
; NumSGPRsForWavesPerEU: 50
; NumVGPRsForWavesPerEU: 162
; AccumOffset: 164
; Occupancy: 3
; WaveLimiterHint : 1
; COMPUTE_PGM_RSRC2:SCRATCH_EN: 0
; COMPUTE_PGM_RSRC2:USER_SGPR: 2
; COMPUTE_PGM_RSRC2:TRAP_HANDLER: 0
; COMPUTE_PGM_RSRC2:TGID_X_EN: 1
; COMPUTE_PGM_RSRC2:TGID_Y_EN: 0
; COMPUTE_PGM_RSRC2:TGID_Z_EN: 1
; COMPUTE_PGM_RSRC2:TIDIG_COMP_CNT: 1
; COMPUTE_PGM_RSRC3_GFX90A:ACCUM_OFFSET: 40
; COMPUTE_PGM_RSRC3_GFX90A:TG_SPLIT: 0
	.section	.text._ZL36rocblas_hemvn_kernel_upper_block_sumILi64Ei19rocblas_complex_numIfEPS1_S1_EviT1_lS3_lT2_lT0_lPT3_i,"axG",@progbits,_ZL36rocblas_hemvn_kernel_upper_block_sumILi64Ei19rocblas_complex_numIfEPS1_S1_EviT1_lS3_lT2_lT0_lPT3_i,comdat
	.globl	_ZL36rocblas_hemvn_kernel_upper_block_sumILi64Ei19rocblas_complex_numIfEPS1_S1_EviT1_lS3_lT2_lT0_lPT3_i ; -- Begin function _ZL36rocblas_hemvn_kernel_upper_block_sumILi64Ei19rocblas_complex_numIfEPS1_S1_EviT1_lS3_lT2_lT0_lPT3_i
	.p2align	8
	.type	_ZL36rocblas_hemvn_kernel_upper_block_sumILi64Ei19rocblas_complex_numIfEPS1_S1_EviT1_lS3_lT2_lT0_lPT3_i,@function
_ZL36rocblas_hemvn_kernel_upper_block_sumILi64Ei19rocblas_complex_numIfEPS1_S1_EviT1_lS3_lT2_lT0_lPT3_i: ; @_ZL36rocblas_hemvn_kernel_upper_block_sumILi64Ei19rocblas_complex_numIfEPS1_S1_EviT1_lS3_lT2_lT0_lPT3_i
; %bb.0:
	s_load_dwordx4 s[8:11], s[0:1], 0x0
	s_load_dwordx2 s[12:13], s[0:1], 0x18
	s_waitcnt lgkmcnt(0)
	s_or_b32 s4, s9, s10
	s_bitset0_b32 s4, 31
	s_cmp_eq_u32 s4, 0
	v_cmp_eq_f32_e64 s[4:5], s12, 1.0
	v_cmp_eq_f32_e64 s[6:7], s13, 0
	s_cselect_b64 s[16:17], -1, 0
	s_and_b64 s[4:5], s[4:5], s[6:7]
	s_and_b64 s[4:5], s[16:17], s[4:5]
	s_and_b64 vcc, exec, s[4:5]
	s_cbranch_vccnz .LBB7_17
; %bb.1:
	s_load_dwordx4 s[4:7], s[0:1], 0x40
	s_load_dwordx4 s[24:27], s[0:1], 0x28
	s_load_dword s20, s[0:1], 0x38
	s_mov_b32 s14, s9
	s_mov_b32 s15, s10
	s_waitcnt lgkmcnt(0)
	s_mul_i32 s5, s3, s5
	s_mul_hi_u32 s9, s3, s4
	s_mul_i32 s4, s3, s4
	s_add_i32 s5, s9, s5
	s_lshl_b64 s[4:5], s[4:5], 3
	s_add_u32 s9, s24, s4
	s_addc_u32 s11, s25, s5
	s_lshl_b64 s[4:5], s[26:27], 3
	s_add_u32 s10, s9, s4
	v_lshl_or_b32 v0, s2, 6, v0
	s_addc_u32 s11, s11, s5
	s_mov_b64 s[18:19], -1
	s_andn2_b64 vcc, exec, s[16:17]
	v_cmp_gt_i32_e64 s[4:5], s8, v0
	s_cbranch_vccnz .LBB7_7
; %bb.2:
	s_and_saveexec_b64 s[16:17], s[4:5]
	s_cbranch_execz .LBB7_6
; %bb.3:
	v_cmp_neq_f32_e64 s[4:5], s12, 0
	v_cmp_neq_f32_e64 s[18:19], s13, 0
	v_mul_lo_u32 v2, v0, s20
	v_ashrrev_i32_e32 v3, 31, v2
	s_or_b64 s[4:5], s[4:5], s[18:19]
	s_andn2_b64 vcc, exec, s[4:5]
	v_mov_b32_e32 v4, 0
	v_lshl_add_u64 v[2:3], v[2:3], 3, s[10:11]
	v_mov_b32_e32 v5, 0
	s_cbranch_vccnz .LBB7_5
; %bb.4:
	global_load_dwordx2 v[6:7], v[2:3], off
	s_waitcnt vmcnt(0)
	v_pk_mul_f32 v[8:9], v[6:7], s[12:13] op_sel:[1,0]
	s_nop 0
	v_pk_fma_f32 v[4:5], v[6:7], s[12:13], v[8:9] op_sel:[0,0,1] op_sel_hi:[1,1,0] neg_lo:[0,0,1] neg_hi:[0,0,1]
	v_pk_fma_f32 v[6:7], v[6:7], s[12:13], v[8:9] op_sel:[0,0,1] op_sel_hi:[0,1,0]
	v_mov_b32_e32 v5, v7
.LBB7_5:
	global_store_dwordx2 v[2:3], v[4:5], off
.LBB7_6:
	s_or_b64 exec, exec, s[16:17]
	s_mov_b64 s[18:19], 0
.LBB7_7:
	s_andn2_b64 vcc, exec, s[18:19]
	s_cbranch_vccnz .LBB7_17
; %bb.8:
	v_cmp_gt_i32_e32 vcc, s8, v0
	s_and_saveexec_b64 s[4:5], vcc
	s_cbranch_execz .LBB7_17
; %bb.9:
	v_mov_b32_e32 v3, 0
	s_cmp_lt_i32 s2, 0
	v_mov_b32_e32 v2, v3
	s_cbranch_scc1 .LBB7_12
; %bb.10:
	s_load_dword s0, s[0:1], 0x58
	s_ashr_i32 s9, s8, 31
	s_mul_hi_u32 s1, s8, s3
	s_mul_i32 s4, s9, s3
	s_add_i32 s1, s1, s4
	s_mul_i32 s3, s8, s3
	s_waitcnt lgkmcnt(0)
	s_mul_i32 s1, s1, s0
	s_mul_hi_u32 s4, s3, s0
	s_add_i32 s1, s4, s1
	s_mul_i32 s0, s3, s0
	s_lshl_b64 s[0:1], s[0:1], 3
	s_add_u32 s0, s6, s0
	s_addc_u32 s1, s7, s1
	v_mov_b32_e32 v1, 0
	v_lshl_add_u64 v[4:5], v[0:1], 3, s[0:1]
	s_add_i32 s2, s2, 1
	s_lshl_b64 s[0:1], s[8:9], 3
	v_mov_b32_e32 v2, v1
	v_mov_b32_e32 v3, v1
.LBB7_11:                               ; =>This Inner Loop Header: Depth=1
	global_load_dwordx2 v[6:7], v[4:5], off
	s_add_i32 s2, s2, -1
	v_lshl_add_u64 v[4:5], v[4:5], 0, s[0:1]
	s_cmp_eq_u32 s2, 0
	s_waitcnt vmcnt(0)
	v_pk_add_f32 v[2:3], v[2:3], v[6:7]
	s_cbranch_scc0 .LBB7_11
.LBB7_12:
	v_cmp_neq_f32_e64 s[0:1], s12, 0
	v_cmp_neq_f32_e64 s[2:3], s13, 0
	s_or_b64 s[0:1], s[0:1], s[2:3]
	v_pk_mul_f32 v[6:7], v[2:3], s[14:15] op_sel:[1,0]
	v_mul_lo_u32 v4, v0, s20
	s_andn2_b64 vcc, exec, s[0:1]
	v_pk_fma_f32 v[0:1], v[2:3], s[14:15], v[6:7] op_sel:[0,0,1] op_sel_hi:[0,1,0]
	v_ashrrev_i32_e32 v5, 31, v4
	s_cbranch_vccz .LBB7_14
; %bb.13:
	v_pk_mul_f32 v[8:9], v[2:3], s[14:15] op_sel_hi:[0,1]
	v_sub_f32_e32 v0, v8, v7
	s_cbranch_execz .LBB7_15
	s_branch .LBB7_16
.LBB7_14:
.LBB7_15:
	v_lshl_add_u64 v[8:9], v[4:5], 3, s[10:11]
	global_load_dwordx2 v[8:9], v[8:9], off
	v_pk_fma_f32 v[2:3], v[2:3], s[14:15], v[6:7] op_sel:[0,0,1] op_sel_hi:[1,1,0] neg_lo:[0,0,1] neg_hi:[0,0,1]
	s_waitcnt vmcnt(0)
	v_pk_mul_f32 v[6:7], v[8:9], s[12:13] op_sel:[1,0]
	s_nop 0
	v_pk_fma_f32 v[10:11], v[8:9], s[12:13], v[6:7] op_sel:[0,0,1] op_sel_hi:[1,1,0] neg_lo:[0,0,1] neg_hi:[0,0,1]
	v_pk_fma_f32 v[6:7], v[8:9], s[12:13], v[6:7] op_sel:[0,0,1] op_sel_hi:[0,1,0]
	v_mov_b32_e32 v11, v7
	v_mov_b32_e32 v3, v1
	v_pk_add_f32 v[0:1], v[2:3], v[10:11]
.LBB7_16:
	v_lshl_add_u64 v[2:3], v[4:5], 3, s[10:11]
	global_store_dwordx2 v[2:3], v[0:1], off
.LBB7_17:
	s_endpgm
	.section	.rodata,"a",@progbits
	.p2align	6, 0x0
	.amdhsa_kernel _ZL36rocblas_hemvn_kernel_upper_block_sumILi64Ei19rocblas_complex_numIfEPS1_S1_EviT1_lS3_lT2_lT0_lPT3_i
		.amdhsa_group_segment_fixed_size 0
		.amdhsa_private_segment_fixed_size 0
		.amdhsa_kernarg_size 344
		.amdhsa_user_sgpr_count 2
		.amdhsa_user_sgpr_dispatch_ptr 0
		.amdhsa_user_sgpr_queue_ptr 0
		.amdhsa_user_sgpr_kernarg_segment_ptr 1
		.amdhsa_user_sgpr_dispatch_id 0
		.amdhsa_user_sgpr_kernarg_preload_length 0
		.amdhsa_user_sgpr_kernarg_preload_offset 0
		.amdhsa_user_sgpr_private_segment_size 0
		.amdhsa_uses_dynamic_stack 0
		.amdhsa_enable_private_segment 0
		.amdhsa_system_sgpr_workgroup_id_x 1
		.amdhsa_system_sgpr_workgroup_id_y 0
		.amdhsa_system_sgpr_workgroup_id_z 1
		.amdhsa_system_sgpr_workgroup_info 0
		.amdhsa_system_vgpr_workitem_id 0
		.amdhsa_next_free_vgpr 12
		.amdhsa_next_free_sgpr 28
		.amdhsa_accum_offset 12
		.amdhsa_reserve_vcc 1
		.amdhsa_float_round_mode_32 0
		.amdhsa_float_round_mode_16_64 0
		.amdhsa_float_denorm_mode_32 3
		.amdhsa_float_denorm_mode_16_64 3
		.amdhsa_dx10_clamp 1
		.amdhsa_ieee_mode 1
		.amdhsa_fp16_overflow 0
		.amdhsa_tg_split 0
		.amdhsa_exception_fp_ieee_invalid_op 0
		.amdhsa_exception_fp_denorm_src 0
		.amdhsa_exception_fp_ieee_div_zero 0
		.amdhsa_exception_fp_ieee_overflow 0
		.amdhsa_exception_fp_ieee_underflow 0
		.amdhsa_exception_fp_ieee_inexact 0
		.amdhsa_exception_int_div_zero 0
	.end_amdhsa_kernel
	.section	.text._ZL36rocblas_hemvn_kernel_upper_block_sumILi64Ei19rocblas_complex_numIfEPS1_S1_EviT1_lS3_lT2_lT0_lPT3_i,"axG",@progbits,_ZL36rocblas_hemvn_kernel_upper_block_sumILi64Ei19rocblas_complex_numIfEPS1_S1_EviT1_lS3_lT2_lT0_lPT3_i,comdat
.Lfunc_end7:
	.size	_ZL36rocblas_hemvn_kernel_upper_block_sumILi64Ei19rocblas_complex_numIfEPS1_S1_EviT1_lS3_lT2_lT0_lPT3_i, .Lfunc_end7-_ZL36rocblas_hemvn_kernel_upper_block_sumILi64Ei19rocblas_complex_numIfEPS1_S1_EviT1_lS3_lT2_lT0_lPT3_i
                                        ; -- End function
	.section	.AMDGPU.csdata,"",@progbits
; Kernel info:
; codeLenInByte = 628
; NumSgprs: 34
; NumVgprs: 12
; NumAgprs: 0
; TotalNumVgprs: 12
; ScratchSize: 0
; MemoryBound: 0
; FloatMode: 240
; IeeeMode: 1
; LDSByteSize: 0 bytes/workgroup (compile time only)
; SGPRBlocks: 4
; VGPRBlocks: 1
; NumSGPRsForWavesPerEU: 34
; NumVGPRsForWavesPerEU: 12
; AccumOffset: 12
; Occupancy: 8
; WaveLimiterHint : 0
; COMPUTE_PGM_RSRC2:SCRATCH_EN: 0
; COMPUTE_PGM_RSRC2:USER_SGPR: 2
; COMPUTE_PGM_RSRC2:TRAP_HANDLER: 0
; COMPUTE_PGM_RSRC2:TGID_X_EN: 1
; COMPUTE_PGM_RSRC2:TGID_Y_EN: 0
; COMPUTE_PGM_RSRC2:TGID_Z_EN: 1
; COMPUTE_PGM_RSRC2:TIDIG_COMP_CNT: 0
; COMPUTE_PGM_RSRC3_GFX90A:ACCUM_OFFSET: 2
; COMPUTE_PGM_RSRC3_GFX90A:TG_SPLIT: 0
	.section	.text._ZL26rocblas_hemvn_kernel_lowerILb1ELi64ELi4ELi33ELi32ELi16ElPK19rocblas_complex_numIfES3_PS1_EviT6_lT7_lT5_lS6_lS7_lS5_lT8_i,"axG",@progbits,_ZL26rocblas_hemvn_kernel_lowerILb1ELi64ELi4ELi33ELi32ELi16ElPK19rocblas_complex_numIfES3_PS1_EviT6_lT7_lT5_lS6_lS7_lS5_lT8_i,comdat
	.globl	_ZL26rocblas_hemvn_kernel_lowerILb1ELi64ELi4ELi33ELi32ELi16ElPK19rocblas_complex_numIfES3_PS1_EviT6_lT7_lT5_lS6_lS7_lS5_lT8_i ; -- Begin function _ZL26rocblas_hemvn_kernel_lowerILb1ELi64ELi4ELi33ELi32ELi16ElPK19rocblas_complex_numIfES3_PS1_EviT6_lT7_lT5_lS6_lS7_lS5_lT8_i
	.p2align	8
	.type	_ZL26rocblas_hemvn_kernel_lowerILb1ELi64ELi4ELi33ELi32ELi16ElPK19rocblas_complex_numIfES3_PS1_EviT6_lT7_lT5_lS6_lS7_lS5_lT8_i,@function
_ZL26rocblas_hemvn_kernel_lowerILb1ELi64ELi4ELi33ELi32ELi16ElPK19rocblas_complex_numIfES3_PS1_EviT6_lT7_lT5_lS6_lS7_lS5_lT8_i: ; @_ZL26rocblas_hemvn_kernel_lowerILb1ELi64ELi4ELi33ELi32ELi16ElPK19rocblas_complex_numIfES3_PS1_EviT6_lT7_lT5_lS6_lS7_lS5_lT8_i
; %bb.0:
	s_load_dwordx2 s[6:7], s[0:1], 0x84
	s_add_u32 s4, s0, 0x78
	s_addc_u32 s5, s1, 0
	s_waitcnt lgkmcnt(0)
	s_lshr_b32 s8, s6, 16
	s_and_b32 s6, s6, 0xffff
	s_and_b32 s7, s7, 0xffff
	s_mul_i32 s6, s8, s6
	s_mul_i32 s6, s6, s7
	s_cmpk_lg_i32 s6, 0x100
	s_cbranch_scc1 .LBB8_129
; %bb.1:
	s_load_dwordx16 s[16:31], s[0:1], 0x8
	s_waitcnt lgkmcnt(0)
	s_mul_i32 s7, s3, s19
	s_mul_hi_u32 s8, s3, s18
	s_mul_i32 s6, s3, s18
	s_add_i32 s7, s8, s7
	s_lshl_b64 s[6:7], s[6:7], 3
	s_add_u32 s6, s16, s6
	s_addc_u32 s7, s17, s7
	s_load_dwordx2 s[8:9], s[6:7], 0x0
	s_load_dwordx2 s[34:35], s[0:1], 0x68
	s_load_dwordx8 s[36:43], s[0:1], 0x48
	s_waitcnt lgkmcnt(0)
	s_or_b32 s6, s8, s9
	s_bitset0_b32 s6, 31
	s_cmp_lg_u32 s6, 0
	s_cselect_b64 s[6:7], -1, 0
	s_mov_b64 s[8:9], -1
	s_and_b64 vcc, exec, s[6:7]
	s_cbranch_vccnz .LBB8_3
; %bb.2:
	s_mul_i32 s8, s3, s43
	s_mul_hi_u32 s9, s3, s42
	s_add_i32 s9, s9, s8
	s_mul_i32 s8, s3, s42
	s_lshl_b64 s[8:9], s[8:9], 3
	s_add_u32 s8, s40, s8
	s_addc_u32 s9, s41, s9
	s_load_dwordx2 s[8:9], s[8:9], 0x0
	s_waitcnt lgkmcnt(0)
	v_cmp_neq_f32_e64 s[10:11], s8, 1.0
	v_cmp_neq_f32_e64 s[8:9], s9, 0
	s_or_b64 s[8:9], s[10:11], s[8:9]
.LBB8_3:
	s_andn2_b64 vcc, exec, s[8:9]
	s_cbranch_vccnz .LBB8_129
; %bb.4:
	s_andn2_b64 vcc, exec, s[6:7]
	s_cbranch_vccnz .LBB8_129
; %bb.5:
	s_load_dword s40, s[4:5], 0x0
	s_load_dword s33, s[0:1], 0x0
	s_mul_i32 s0, s3, s39
	s_mul_hi_u32 s1, s3, s38
	s_add_i32 s1, s1, s0
	s_mul_i32 s0, s3, s38
	s_lshl_b64 s[0:1], s[0:1], 3
	s_add_u32 s4, s28, s0
	s_addc_u32 s5, s29, s1
	s_lshl_b64 s[0:1], s[30:31], 3
	s_add_u32 s0, s4, s0
	s_addc_u32 s1, s5, s1
	s_waitcnt lgkmcnt(0)
	s_ashr_i32 s41, s33, 31
	s_lshr_b32 s5, s41, 26
	s_add_i32 s5, s33, s5
	v_and_b32_e32 v26, 0x3ff, v0
	s_lshl_b32 s30, s2, 6
	s_andn2_b32 s5, s5, 63
	s_add_i32 s4, s40, -1
	s_sub_i32 s5, s33, s5
	v_add_u32_e32 v16, s30, v26
	s_cmp_eq_u32 s2, s4
	v_ashrrev_i32_e32 v17, 31, v16
	v_bfe_u32 v76, v0, 10, 10
	s_cselect_b32 s28, s5, 0
	v_mul_lo_u32 v2, v17, s36
	v_mul_lo_u32 v3, v16, s37
	v_mad_u64_u32 v[0:1], s[4:5], v16, s36, 0
	v_add3_u32 v1, v1, v3, v2
	v_lshl_add_u64 v[20:21], v[0:1], 3, s[0:1]
	v_cmp_ne_u32_e64 s[0:1], 0, v76
	v_cmp_eq_u32_e64 s[16:17], 0, v76
	s_and_saveexec_b64 s[4:5], s[16:17]
	s_cbranch_execz .LBB8_10
; %bb.6:
	s_cmp_lg_u32 s28, 0
	s_cselect_b64 s[6:7], -1, 0
	v_cmp_le_i32_e32 vcc, s28, v26
	v_mov_b32_e32 v0, 0x2380
	s_and_b64 s[6:7], s[6:7], vcc
	v_lshl_add_u32 v0, v26, 3, v0
	s_and_saveexec_b64 s[8:9], s[6:7]
	s_xor_b64 s[6:7], exec, s[8:9]
	s_cbranch_execz .LBB8_8
; %bb.7:
	v_mov_b32_e32 v2, 0
	v_mov_b32_e32 v3, v2
	ds_write_b64 v0, v[2:3]
                                        ; implicit-def: $vgpr0
.LBB8_8:
	s_andn2_saveexec_b64 s[6:7], s[6:7]
	s_cbranch_execz .LBB8_10
; %bb.9:
	global_load_dwordx2 v[2:3], v[20:21], off
	s_waitcnt vmcnt(0)
	ds_write_b64 v0, v[2:3]
.LBB8_10:
	s_or_b64 exec, exec, s[4:5]
	s_mul_i32 s4, s3, s27
	s_mul_hi_u32 s5, s3, s26
	s_add_i32 s5, s5, s4
	s_mul_i32 s4, s3, s26
	s_lshl_b64 s[4:5], s[4:5], 3
	s_add_u32 s6, s20, s4
	s_addc_u32 s7, s21, s5
	s_lshl_b64 s[4:5], s[22:23], 3
	s_add_u32 s6, s6, s4
	s_addc_u32 s7, s7, s5
	s_ashr_i32 s31, s30, 31
	v_lshl_add_u32 v27, v76, 6, v26
	s_lshl_b64 s[4:5], s[30:31], 3
	v_and_b32_e32 v0, 31, v26
	v_lshrrev_b32_e32 v10, 5, v27
	s_add_u32 s6, s6, s4
	v_mov_b32_e32 v1, 0
	s_addc_u32 s7, s7, s5
	v_mad_u64_u32 v[22:23], s[4:5], v10, s24, v[0:1]
	v_mov_b32_e32 v2, v23
	v_mad_u64_u32 v[2:3], s[4:5], v10, s25, v[2:3]
	s_mul_i32 s4, s30, s25
	s_mul_hi_u32 s5, s30, s24
	s_add_i32 s4, s5, s4
	s_mul_i32 s5, s31, s24
	s_add_i32 s5, s4, s5
	s_mul_i32 s4, s30, s24
	s_lshl_b64 s[22:23], s[4:5], 3
	s_add_u32 s4, s22, s6
	s_addc_u32 s5, s23, s7
	s_cmp_lg_u32 s28, 0
	v_mov_b32_e32 v23, v2
	s_cselect_b64 s[26:27], -1, 0
	s_cmp_eq_u32 s28, 0
	v_lshl_add_u64 v[2:3], v[22:23], 3, s[4:5]
	s_cselect_b64 s[18:19], -1, 0
	s_and_b64 vcc, exec, s[26:27]
	s_cbranch_vccnz .LBB8_12
; %bb.11:
	s_lshl_b64 s[4:5], s[24:25], 6
	v_lshl_add_u64 v[4:5], v[2:3], 0, s[4:5]
	v_mov_b32_e32 v1, 0xc0
	global_load_dwordx2 v[6:7], v[4:5], off
	global_load_dwordx2 v[12:13], v[2:3], off
	v_lshl_add_u64 v[4:5], v[4:5], 0, s[4:5]
	v_mad_u64_u32 v[8:9], s[4:5], s24, v1, v[2:3]
	s_mul_i32 s4, s25, 0xc0
	global_load_dwordx2 v[4:5], v[4:5], off
	v_add_u32_e32 v9, s4, v9
	global_load_dwordx2 v[8:9], v[8:9], off
	v_mul_u32_u24_e32 v1, 33, v10
	v_add_lshl_u32 v1, v1, v0, 3
	s_waitcnt vmcnt(2)
	ds_write_b64 v1, v[12:13]
	ds_write_b64 v1, v[6:7] offset:2112
	s_waitcnt vmcnt(1)
	ds_write_b64 v1, v[4:5] offset:4224
	s_waitcnt vmcnt(0)
	ds_write_b64 v1, v[8:9] offset:6336
	s_cbranch_execz .LBB8_13
	s_branch .LBB8_28
.LBB8_12:
.LBB8_13:
	v_lshlrev_b32_e32 v4, 3, v0
	v_sub_co_u32_e32 v6, vcc, v2, v4
	s_ashr_i32 s29, s28, 31
	s_nop 0
	v_subbrev_co_u32_e32 v7, vcc, 0, v3, vcc
	v_lshl_add_u64 v[6:7], s[28:29], 3, v[6:7]
	v_lshl_add_u64 v[6:7], v[6:7], 0, -8
	v_cmp_gt_i32_e32 vcc, s28, v0
	v_mov_b32_e32 v8, 0
	v_cmp_gt_i32_e64 s[4:5], s28, v10
	v_cndmask_b32_e32 v7, v7, v3, vcc
	v_cndmask_b32_e32 v6, v6, v2, vcc
	v_mov_b32_e32 v9, v8
	s_and_saveexec_b64 s[6:7], s[4:5]
	s_cbranch_execz .LBB8_15
; %bb.14:
	global_load_dwordx2 v[8:9], v[6:7], off
.LBB8_15:
	s_or_b64 exec, exec, s[6:7]
	v_mul_u32_u24_e32 v1, 33, v10
	v_add_u32_e32 v5, 8, v10
	v_add_lshl_u32 v1, v1, v0, 3
	v_cmp_le_i32_e64 s[4:5], s28, v5
	s_waitcnt vmcnt(0)
	ds_write_b64 v1, v[8:9]
	s_and_saveexec_b64 s[6:7], s[4:5]
	s_xor_b64 s[4:5], exec, s[6:7]
	s_cbranch_execz .LBB8_17
; %bb.16:
	v_mul_u32_u24_e32 v5, 33, v5
	v_mov_b32_e32 v8, 0
	v_add_lshl_u32 v5, v5, v0, 3
	v_mov_b32_e32 v9, v8
	ds_write_b64 v5, v[8:9]
.LBB8_17:
	s_andn2_saveexec_b64 s[4:5], s[4:5]
	s_cbranch_execz .LBB8_19
; %bb.18:
	s_lshl_b64 s[6:7], s[24:25], 6
	v_lshl_add_u64 v[8:9], v[6:7], 0, s[6:7]
	global_load_dwordx2 v[8:9], v[8:9], off
	s_waitcnt vmcnt(0)
	ds_write_b64 v1, v[8:9] offset:2112
.LBB8_19:
	s_or_b64 exec, exec, s[4:5]
	v_add_u32_e32 v5, 16, v10
	v_cmp_le_i32_e64 s[4:5], s28, v5
	s_and_saveexec_b64 s[6:7], s[4:5]
	s_xor_b64 s[4:5], exec, s[6:7]
	s_cbranch_execz .LBB8_21
; %bb.20:
	v_mov_b32_e32 v8, 0
	v_mov_b32_e32 v9, v8
	ds_write_b64 v1, v[8:9] offset:4224
.LBB8_21:
	s_andn2_saveexec_b64 s[4:5], s[4:5]
	s_cbranch_execz .LBB8_23
; %bb.22:
	s_lshl_b64 s[6:7], s[24:25], 7
	v_lshl_add_u64 v[8:9], v[6:7], 0, s[6:7]
	global_load_dwordx2 v[8:9], v[8:9], off
	s_waitcnt vmcnt(0)
	ds_write_b64 v1, v[8:9] offset:4224
.LBB8_23:
	s_or_b64 exec, exec, s[4:5]
	v_add_u32_e32 v5, 24, v10
	v_cmp_le_i32_e64 s[4:5], s28, v5
	s_and_saveexec_b64 s[6:7], s[4:5]
	s_xor_b64 s[4:5], exec, s[6:7]
	s_cbranch_execz .LBB8_25
; %bb.24:
	v_mov_b32_e32 v8, 0
	v_mov_b32_e32 v9, v8
	ds_write_b64 v1, v[8:9] offset:6336
                                        ; implicit-def: $vgpr1
.LBB8_25:
	s_andn2_saveexec_b64 s[4:5], s[4:5]
	s_cbranch_execz .LBB8_27
; %bb.26:
	v_mov_b32_e32 v5, 0xc0
	v_mad_u64_u32 v[8:9], s[6:7], s24, v5, v[6:7]
	s_mul_i32 s6, s25, 0xc0
	s_nop 0
	v_add_u32_e32 v9, s6, v9
	global_load_dwordx2 v[8:9], v[8:9], off
	s_waitcnt vmcnt(0)
	ds_write_b64 v1, v[8:9] offset:6336
.LBB8_27:
	s_or_b64 exec, exec, s[4:5]
	v_mov_b32_e32 v5, 0
	v_lshl_add_u64 v[4:5], v[6:7], 0, v[4:5]
	s_lshl_b64 s[4:5], s[28:29], 3
	v_mov_b32_e32 v1, s5
	v_subrev_co_u32_e64 v4, s[4:5], s4, v4
	s_nop 1
	v_subb_co_u32_e64 v5, s[4:5], v5, v1, s[4:5]
	v_lshl_add_u64 v[4:5], v[4:5], 0, 8
	v_cndmask_b32_e32 v3, v5, v3, vcc
	v_cndmask_b32_e32 v2, v4, v2, vcc
.LBB8_28:
	v_lshlrev_b32_e32 v11, 2, v10
	v_cmp_ge_u32_e64 s[6:7], v11, v0
	s_waitcnt lgkmcnt(0)
	s_barrier
	s_and_saveexec_b64 s[4:5], s[6:7]
	s_xor_b64 s[4:5], exec, s[4:5]
	s_cbranch_execz .LBB8_32
; %bb.29:
	v_cmp_eq_u32_e32 vcc, v11, v0
	s_and_saveexec_b64 s[8:9], vcc
	s_cbranch_execz .LBB8_31
; %bb.30:
	v_mul_u32_u24_e32 v1, 34, v0
	v_lshlrev_b32_e32 v1, 3, v1
	v_mov_b32_e32 v4, 0
	ds_write_b32 v1, v4 offset:4
.LBB8_31:
	s_or_b64 exec, exec, s[8:9]
.LBB8_32:
	s_or_saveexec_b64 s[4:5], s[4:5]
	v_mul_u32_u24_e32 v28, 33, v0
	v_add_lshl_u32 v1, v11, v28, 3
	s_xor_b64 exec, exec, s[4:5]
	s_cbranch_execz .LBB8_34
; %bb.33:
	v_mul_u32_u24_e32 v4, 0x84, v10
	v_add_lshl_u32 v4, v4, v0, 3
	ds_read_b64 v[4:5], v4
	s_waitcnt lgkmcnt(0)
	v_xor_b32_e32 v5, 0x80000000, v5
	ds_write_b64 v1, v[4:5]
.LBB8_34:
	s_or_b64 exec, exec, s[4:5]
	v_or_b32_e32 v12, 1, v11
	v_cmp_ge_u32_e64 s[8:9], v12, v0
	s_and_saveexec_b64 s[4:5], s[8:9]
	s_xor_b64 s[4:5], exec, s[4:5]
	s_cbranch_execz .LBB8_38
; %bb.35:
	v_cmp_eq_u32_e32 vcc, v12, v0
	s_and_saveexec_b64 s[10:11], vcc
	s_cbranch_execz .LBB8_37
; %bb.36:
	v_mul_u32_u24_e32 v4, 34, v0
	v_lshlrev_b32_e32 v4, 3, v4
	v_mov_b32_e32 v5, 0
	ds_write_b32 v4, v5 offset:4
.LBB8_37:
	s_or_b64 exec, exec, s[10:11]
.LBB8_38:
	s_or_saveexec_b64 s[4:5], s[4:5]
	v_mul_u32_u24_e32 v4, 33, v12
	s_xor_b64 exec, exec, s[4:5]
	s_cbranch_execz .LBB8_40
; %bb.39:
	v_add_lshl_u32 v5, v4, v0, 3
	ds_read_b64 v[6:7], v5
	s_waitcnt lgkmcnt(0)
	v_xor_b32_e32 v7, 0x80000000, v7
	ds_write_b64 v1, v[6:7] offset:8
.LBB8_40:
	s_or_b64 exec, exec, s[4:5]
	v_or_b32_e32 v13, 2, v11
	v_cmp_ge_u32_e64 s[10:11], v13, v0
	s_and_saveexec_b64 s[4:5], s[10:11]
	s_xor_b64 s[4:5], exec, s[4:5]
	s_cbranch_execz .LBB8_44
; %bb.41:
	v_cmp_eq_u32_e32 vcc, v13, v0
	s_and_saveexec_b64 s[12:13], vcc
	s_cbranch_execz .LBB8_43
; %bb.42:
	v_mul_u32_u24_e32 v5, 34, v0
	v_lshlrev_b32_e32 v5, 3, v5
	v_mov_b32_e32 v6, 0
	ds_write_b32 v5, v6 offset:4
.LBB8_43:
	s_or_b64 exec, exec, s[12:13]
.LBB8_44:
	s_andn2_saveexec_b64 s[4:5], s[4:5]
	s_cbranch_execz .LBB8_46
; %bb.45:
	v_mul_u32_u24_e32 v5, 33, v13
	v_add_lshl_u32 v5, v5, v0, 3
	ds_read_b64 v[6:7], v5
	s_waitcnt lgkmcnt(0)
	v_xor_b32_e32 v7, 0x80000000, v7
	ds_write_b64 v1, v[6:7] offset:16
.LBB8_46:
	s_or_b64 exec, exec, s[4:5]
	v_or_b32_e32 v14, 3, v11
	v_cmp_ge_u32_e64 s[12:13], v14, v0
	s_and_saveexec_b64 s[4:5], s[12:13]
	s_xor_b64 s[4:5], exec, s[4:5]
	s_cbranch_execz .LBB8_50
; %bb.47:
	v_cmp_eq_u32_e32 vcc, v14, v0
	s_and_saveexec_b64 s[14:15], vcc
	s_cbranch_execz .LBB8_49
; %bb.48:
	v_mul_u32_u24_e32 v5, 34, v0
	v_lshlrev_b32_e32 v5, 3, v5
	v_mov_b32_e32 v6, 0
	ds_write_b32 v5, v6 offset:4
.LBB8_49:
	s_or_b64 exec, exec, s[14:15]
.LBB8_50:
	s_andn2_saveexec_b64 s[4:5], s[4:5]
	s_cbranch_execz .LBB8_52
; %bb.51:
	v_mul_u32_u24_e32 v5, 33, v14
	v_add_lshl_u32 v5, v5, v0, 3
	ds_read_b64 v[6:7], v5
	s_waitcnt lgkmcnt(0)
	v_xor_b32_e32 v7, 0x80000000, v7
	ds_write_b64 v1, v[6:7] offset:24
.LBB8_52:
	s_or_b64 exec, exec, s[4:5]
	v_mul_u32_u24_e32 v5, 0x84, v10
	v_lshlrev_b32_e32 v25, 3, v11
	s_waitcnt lgkmcnt(0)
	s_barrier
	v_add_lshl_u32 v24, v5, v0, 3
	v_add_lshl_u32 v15, v4, v0, 3
	ds_read_b128 v[4:7], v25 offset:9088
	ds_read_b64 v[8:9], v24
	ds_read2_b64 v[30:33], v15 offset1:33
	ds_read_b64 v[18:19], v15 offset:528
	ds_read_b128 v[34:37], v25 offset:9104
	s_mov_b32 s14, 0
	s_waitcnt lgkmcnt(3)
	v_pk_mul_f32 v[38:39], v[4:5], v[8:9] op_sel:[0,1]
	s_mov_b32 s15, s14
	v_pk_fma_f32 v[40:41], v[4:5], v[8:9], v[38:39] op_sel:[0,0,1] op_sel_hi:[1,1,0] neg_lo:[0,0,1] neg_hi:[0,0,1]
	v_pk_fma_f32 v[4:5], v[4:5], v[8:9], v[38:39] op_sel:[0,0,1] op_sel_hi:[1,0,0]
	s_waitcnt lgkmcnt(2)
	v_pk_mul_f32 v[8:9], v[6:7], v[30:31] op_sel:[0,1]
	v_mov_b32_e32 v41, v5
	v_pk_fma_f32 v[38:39], v[6:7], v[30:31], v[8:9] op_sel:[0,0,1] op_sel_hi:[1,1,0] neg_lo:[0,0,1] neg_hi:[0,0,1]
	v_pk_fma_f32 v[6:7], v[6:7], v[30:31], v[8:9] op_sel:[0,0,1] op_sel_hi:[1,0,0]
	v_pk_add_f32 v[4:5], v[40:41], 0 op_sel_hi:[1,0]
	v_mov_b32_e32 v39, v7
	s_waitcnt lgkmcnt(0)
	v_pk_mul_f32 v[6:7], v[34:35], v[32:33] op_sel:[0,1]
	v_pk_add_f32 v[4:5], v[4:5], v[38:39]
	v_pk_fma_f32 v[8:9], v[34:35], v[32:33], v[6:7] op_sel:[0,0,1] op_sel_hi:[1,1,0] neg_lo:[0,0,1] neg_hi:[0,0,1]
	v_pk_fma_f32 v[6:7], v[34:35], v[32:33], v[6:7] op_sel:[0,0,1] op_sel_hi:[1,0,0]
	v_add_lshl_u32 v29, v10, v28, 3
	v_mov_b32_e32 v9, v7
	v_pk_mul_f32 v[6:7], v[36:37], v[18:19] op_sel:[0,1]
	v_pk_add_f32 v[4:5], v[4:5], v[8:9]
	v_pk_fma_f32 v[8:9], v[36:37], v[18:19], v[6:7] op_sel:[0,0,1] op_sel_hi:[1,1,0] neg_lo:[0,0,1] neg_hi:[0,0,1]
	v_pk_fma_f32 v[6:7], v[36:37], v[18:19], v[6:7] op_sel:[0,0,1] op_sel_hi:[1,0,0]
	v_cmp_gt_u32_e64 s[4:5], 32, v27
	v_mov_b32_e32 v9, v7
	v_pk_add_f32 v[4:5], v[4:5], v[8:9]
	v_mov_b64_e32 v[18:19], s[14:15]
	s_barrier
	ds_write_b64 v29, v[4:5]
	s_waitcnt lgkmcnt(0)
	s_barrier
	s_and_saveexec_b64 s[14:15], s[4:5]
	s_cbranch_execz .LBB8_54
; %bb.53:
	v_lshlrev_b32_e32 v8, 3, v28
	ds_read2_b64 v[4:7], v8 offset1:7
	ds_read2_b64 v[30:33], v8 offset0:1 offset1:2
	ds_read2_b64 v[34:37], v8 offset0:3 offset1:4
	s_waitcnt lgkmcnt(1)
	v_add_f32_e32 v4, v30, v4
	v_add_f32_e32 v5, v31, v5
	;; [unrolled: 1-line block ×4, first 2 shown]
	ds_read2_b64 v[30:33], v8 offset0:5 offset1:6
	s_waitcnt lgkmcnt(1)
	v_add_f32_e32 v4, v4, v34
	v_add_f32_e32 v5, v5, v35
	;; [unrolled: 1-line block ×4, first 2 shown]
	s_waitcnt lgkmcnt(0)
	v_add_f32_e32 v4, v4, v30
	v_add_f32_e32 v5, v5, v31
	v_add_f32_e32 v4, v4, v32
	v_add_f32_e32 v5, v5, v33
	v_pk_add_f32 v[18:19], v[4:5], v[6:7]
.LBB8_54:
	s_or_b64 exec, exec, s[14:15]
	s_lshl_b64 s[20:21], s[24:25], 8
	v_lshl_add_u64 v[4:5], v[2:3], 0, s[20:21]
	s_mov_b64 s[38:39], 0x100
	v_cndmask_b32_e64 v2, 0, 1, s[18:19]
	v_cmp_ne_u32_e64 s[14:15], 1, v2
	s_andn2_b64 vcc, exec, s[18:19]
	v_lshl_add_u64 v[2:3], v[4:5], 0, s[38:39]
	s_barrier
	s_cbranch_vccnz .LBB8_56
; %bb.55:
	s_lshl_b64 s[18:19], s[24:25], 6
	v_lshl_add_u64 v[6:7], v[4:5], 0, s[18:19]
	v_mov_b32_e32 v30, 0xc0
	v_lshl_add_u64 v[8:9], v[6:7], 0, s[18:19]
	v_mad_u64_u32 v[30:31], s[18:19], s24, v30, v[4:5]
	s_mul_i32 s18, s25, 0xc0
	s_nop 0
	v_add_u32_e32 v31, s18, v31
	global_load_dwordx2 v[32:33], v[4:5], off offset:256
	global_load_dwordx2 v[34:35], v[6:7], off offset:256
	;; [unrolled: 1-line block ×4, first 2 shown]
	v_mul_u32_u24_e32 v4, 33, v10
	v_add_lshl_u32 v4, v4, v0, 3
	s_waitcnt vmcnt(3)
	ds_write_b64 v4, v[32:33]
	s_waitcnt vmcnt(2)
	ds_write_b64 v4, v[34:35] offset:2112
	s_waitcnt vmcnt(1)
	ds_write_b64 v4, v[36:37] offset:4224
	;; [unrolled: 2-line block ×3, first 2 shown]
	s_cbranch_execz .LBB8_57
	s_branch .LBB8_72
.LBB8_56:
.LBB8_57:
	v_lshlrev_b32_e32 v4, 3, v0
	v_sub_co_u32_e32 v6, vcc, v2, v4
	s_ashr_i32 s29, s28, 31
	s_nop 0
	v_subbrev_co_u32_e32 v7, vcc, 0, v3, vcc
	s_movk_i32 s18, 0xfef8
	v_or_b32_e32 v5, 32, v0
	v_lshl_add_u64 v[6:7], s[28:29], 3, v[6:7]
	s_mov_b32 s19, -1
	v_lshl_add_u64 v[6:7], v[6:7], 0, s[18:19]
	v_cmp_gt_i32_e32 vcc, s28, v5
	s_sub_i32 s42, s28, 32
	v_mov_b32_e32 v8, 0
	v_cndmask_b32_e32 v7, v7, v3, vcc
	v_cndmask_b32_e32 v6, v6, v2, vcc
	v_cmp_gt_i32_e64 s[18:19], s42, v10
	v_mov_b32_e32 v9, v8
	s_and_saveexec_b64 s[38:39], s[18:19]
	s_cbranch_execz .LBB8_59
; %bb.58:
	global_load_dwordx2 v[8:9], v[6:7], off
.LBB8_59:
	s_or_b64 exec, exec, s[38:39]
	v_mul_u32_u24_e32 v5, 33, v10
	v_add_lshl_u32 v5, v5, v0, 3
	s_waitcnt vmcnt(0)
	ds_write_b64 v5, v[8:9]
	v_add_u32_e32 v8, 8, v10
	v_cmp_le_i32_e64 s[18:19], s42, v8
	s_and_saveexec_b64 s[38:39], s[18:19]
	s_xor_b64 s[18:19], exec, s[38:39]
	s_cbranch_execz .LBB8_61
; %bb.60:
	v_mul_u32_u24_e32 v8, 33, v8
	v_add_lshl_u32 v30, v8, v0, 3
	v_mov_b32_e32 v8, 0
	v_mov_b32_e32 v9, v8
	ds_write_b64 v30, v[8:9]
.LBB8_61:
	s_andn2_saveexec_b64 s[18:19], s[18:19]
	s_cbranch_execz .LBB8_63
; %bb.62:
	s_lshl_b64 s[38:39], s[24:25], 6
	v_lshl_add_u64 v[8:9], v[6:7], 0, s[38:39]
	global_load_dwordx2 v[8:9], v[8:9], off
	s_waitcnt vmcnt(0)
	ds_write_b64 v5, v[8:9] offset:2112
.LBB8_63:
	s_or_b64 exec, exec, s[18:19]
	v_add_u32_e32 v8, 16, v10
	v_cmp_le_i32_e64 s[18:19], s42, v8
	s_and_saveexec_b64 s[38:39], s[18:19]
	s_xor_b64 s[18:19], exec, s[38:39]
	s_cbranch_execz .LBB8_65
; %bb.64:
	v_mov_b32_e32 v8, 0
	v_mov_b32_e32 v9, v8
	ds_write_b64 v5, v[8:9] offset:4224
.LBB8_65:
	s_andn2_saveexec_b64 s[18:19], s[18:19]
	s_cbranch_execz .LBB8_67
; %bb.66:
	s_lshl_b64 s[38:39], s[24:25], 7
	v_lshl_add_u64 v[8:9], v[6:7], 0, s[38:39]
	global_load_dwordx2 v[8:9], v[8:9], off
	s_waitcnt vmcnt(0)
	ds_write_b64 v5, v[8:9] offset:4224
.LBB8_67:
	s_or_b64 exec, exec, s[18:19]
	v_add_u32_e32 v8, 24, v10
	v_cmp_le_i32_e64 s[18:19], s42, v8
	s_and_saveexec_b64 s[38:39], s[18:19]
	s_xor_b64 s[18:19], exec, s[38:39]
	s_cbranch_execz .LBB8_69
; %bb.68:
	v_mov_b32_e32 v8, 0
	v_mov_b32_e32 v9, v8
	ds_write_b64 v5, v[8:9] offset:6336
                                        ; implicit-def: $vgpr5
.LBB8_69:
	s_andn2_saveexec_b64 s[18:19], s[18:19]
	s_cbranch_execz .LBB8_71
; %bb.70:
	v_mov_b32_e32 v8, 0xc0
	v_mad_u64_u32 v[8:9], s[38:39], s24, v8, v[6:7]
	s_mul_i32 s38, s25, 0xc0
	s_nop 0
	v_add_u32_e32 v9, s38, v9
	global_load_dwordx2 v[8:9], v[8:9], off
	s_waitcnt vmcnt(0)
	ds_write_b64 v5, v[8:9] offset:6336
.LBB8_71:
	s_or_b64 exec, exec, s[18:19]
	v_mov_b32_e32 v5, 0
	v_lshl_add_u64 v[4:5], v[6:7], 0, v[4:5]
	s_lshl_b64 s[18:19], s[28:29], 3
	v_mov_b32_e32 v6, s19
	v_subrev_co_u32_e64 v4, s[18:19], s18, v4
	s_nop 1
	v_subb_co_u32_e64 v5, s[18:19], v5, v6, s[18:19]
	s_mov_b64 s[18:19], 0x108
	s_nop 0
	v_lshl_add_u64 v[4:5], v[4:5], 0, s[18:19]
	v_cndmask_b32_e32 v3, v5, v3, vcc
	v_cndmask_b32_e32 v2, v4, v2, vcc
.LBB8_72:
	v_add_u32_e32 v30, 0x2380, v25
	s_lshl_b64 s[18:19], s[24:25], 5
	s_waitcnt lgkmcnt(0)
	s_barrier
	s_and_saveexec_b64 s[38:39], s[6:7]
	s_xor_b64 s[6:7], exec, s[38:39]
	s_cbranch_execnz .LBB8_85
; %bb.73:
	s_andn2_saveexec_b64 s[6:7], s[6:7]
	s_cbranch_execnz .LBB8_88
.LBB8_74:
	s_or_b64 exec, exec, s[6:7]
	s_and_saveexec_b64 s[6:7], s[8:9]
	s_xor_b64 s[6:7], exec, s[6:7]
	s_cbranch_execnz .LBB8_89
.LBB8_75:
	s_andn2_saveexec_b64 s[6:7], s[6:7]
	s_cbranch_execnz .LBB8_92
.LBB8_76:
	s_or_b64 exec, exec, s[6:7]
	s_and_saveexec_b64 s[6:7], s[10:11]
	s_xor_b64 s[6:7], exec, s[6:7]
	s_cbranch_execnz .LBB8_93
.LBB8_77:
	s_andn2_saveexec_b64 s[6:7], s[6:7]
	s_cbranch_execnz .LBB8_96
.LBB8_78:
	s_or_b64 exec, exec, s[6:7]
	s_and_saveexec_b64 s[6:7], s[12:13]
	s_xor_b64 s[6:7], exec, s[6:7]
	s_cbranch_execnz .LBB8_97
.LBB8_79:
	s_andn2_saveexec_b64 s[6:7], s[6:7]
	s_cbranch_execz .LBB8_81
.LBB8_80:
	ds_read_b64 v[4:5], v15 offset:528
	s_waitcnt lgkmcnt(0)
	v_xor_b32_e32 v5, 0x80000000, v5
	ds_write_b64 v1, v[4:5] offset:24
.LBB8_81:
	s_or_b64 exec, exec, s[6:7]
	s_waitcnt lgkmcnt(0)
	s_barrier
	ds_read_b64 v[8:9], v24
	ds_read_b128 v[4:7], v30 offset:256
	ds_read2_b64 v[32:35], v15 offset1:33
	ds_read_b64 v[24:25], v15 offset:528
	ds_read_b128 v[12:15], v30 offset:272
	v_cmp_eq_u32_e64 s[6:7], 1, v10
	s_waitcnt lgkmcnt(3)
	v_pk_mul_f32 v[36:37], v[4:5], v[8:9] op_sel:[0,1]
	s_waitcnt lgkmcnt(0)
	v_pk_fma_f32 v[38:39], v[4:5], v[8:9], v[36:37] op_sel:[0,0,1] op_sel_hi:[1,1,0] neg_lo:[0,0,1] neg_hi:[0,0,1]
	v_pk_fma_f32 v[4:5], v[4:5], v[8:9], v[36:37] op_sel:[0,0,1] op_sel_hi:[1,0,0]
	v_pk_mul_f32 v[8:9], v[6:7], v[32:33] op_sel:[0,1]
	v_mov_b32_e32 v39, v5
	v_pk_fma_f32 v[36:37], v[6:7], v[32:33], v[8:9] op_sel:[0,0,1] op_sel_hi:[1,1,0] neg_lo:[0,0,1] neg_hi:[0,0,1]
	v_pk_fma_f32 v[6:7], v[6:7], v[32:33], v[8:9] op_sel:[0,0,1] op_sel_hi:[1,0,0]
	v_pk_add_f32 v[4:5], v[38:39], 0 op_sel_hi:[1,0]
	v_mov_b32_e32 v37, v7
	v_pk_mul_f32 v[6:7], v[12:13], v[34:35] op_sel:[0,1]
	v_pk_add_f32 v[4:5], v[4:5], v[36:37]
	v_pk_fma_f32 v[8:9], v[12:13], v[34:35], v[6:7] op_sel:[0,0,1] op_sel_hi:[1,1,0] neg_lo:[0,0,1] neg_hi:[0,0,1]
	v_pk_fma_f32 v[6:7], v[12:13], v[34:35], v[6:7] op_sel:[0,0,1] op_sel_hi:[1,0,0]
	s_barrier
	v_mov_b32_e32 v9, v7
	v_pk_mul_f32 v[6:7], v[14:15], v[24:25] op_sel:[0,1]
	v_pk_add_f32 v[4:5], v[4:5], v[8:9]
	v_pk_fma_f32 v[8:9], v[14:15], v[24:25], v[6:7] op_sel:[0,0,1] op_sel_hi:[1,1,0] neg_lo:[0,0,1] neg_hi:[0,0,1]
	v_pk_fma_f32 v[6:7], v[14:15], v[24:25], v[6:7] op_sel:[0,0,1] op_sel_hi:[1,0,0]
	s_nop 0
	v_mov_b32_e32 v9, v7
	v_pk_add_f32 v[4:5], v[4:5], v[8:9]
	ds_write_b64 v29, v[4:5]
	s_waitcnt lgkmcnt(0)
	s_barrier
	s_and_saveexec_b64 s[8:9], s[6:7]
	s_cbranch_execz .LBB8_83
; %bb.82:
	v_lshlrev_b32_e32 v8, 3, v28
	ds_read2_b64 v[4:7], v8 offset1:7
	ds_read2_b64 v[12:15], v8 offset0:1 offset1:2
	ds_read2_b64 v[32:35], v8 offset0:3 offset1:4
	s_waitcnt lgkmcnt(1)
	v_add_f32_e32 v4, v12, v4
	v_add_f32_e32 v5, v13, v5
	;; [unrolled: 1-line block ×4, first 2 shown]
	ds_read2_b64 v[12:15], v8 offset0:5 offset1:6
	s_waitcnt lgkmcnt(1)
	v_add_f32_e32 v4, v4, v32
	v_add_f32_e32 v5, v5, v33
	;; [unrolled: 1-line block ×4, first 2 shown]
	s_waitcnt lgkmcnt(0)
	v_add_f32_e32 v4, v4, v12
	v_add_f32_e32 v5, v5, v13
	v_pk_add_f32 v[4:5], v[4:5], v[14:15]
	s_nop 0
	v_pk_add_f32 v[18:19], v[4:5], v[6:7]
.LBB8_83:
	s_or_b64 exec, exec, s[8:9]
	s_lshl_b64 s[8:9], s[18:19], 3
	v_mov_b32_e32 v4, s9
	v_subrev_co_u32_e64 v24, s[8:9], s8, v2
	s_and_b64 vcc, exec, s[14:15]
	s_nop 0
	v_subb_co_u32_e64 v25, s[8:9], v3, v4, s[8:9]
	s_barrier
	s_cbranch_vccnz .LBB8_100
; %bb.84:
	s_lshl_b64 s[8:9], s[24:25], 6
	v_lshl_add_u64 v[2:3], v[24:25], 0, s[8:9]
	v_mov_b32_e32 v6, 0xc0
	v_lshl_add_u64 v[4:5], v[2:3], 0, s[8:9]
	v_mad_u64_u32 v[6:7], s[8:9], s24, v6, v[24:25]
	s_mul_i32 s8, s25, 0xc0
	s_nop 0
	v_add_u32_e32 v7, s8, v7
	global_load_dwordx2 v[12:13], v[24:25], off
	global_load_dwordx2 v[14:15], v[2:3], off
	;; [unrolled: 1-line block ×4, first 2 shown]
	v_mad_u32_u24 v8, v10, 33, v0
	v_add_u32_e32 v6, 8, v10
	v_add_u32_e32 v7, 16, v10
	;; [unrolled: 1-line block ×3, first 2 shown]
	v_lshlrev_b32_e32 v4, 3, v8
	v_add_u32_e32 v2, 0x108, v8
	v_add_u32_e32 v3, 0x210, v8
	;; [unrolled: 1-line block ×3, first 2 shown]
	s_waitcnt vmcnt(3)
	ds_write_b64 v4, v[12:13]
	s_waitcnt vmcnt(2)
	ds_write_b64 v4, v[14:15] offset:2112
	s_waitcnt vmcnt(1)
	ds_write_b64 v4, v[32:33] offset:4224
	;; [unrolled: 2-line block ×3, first 2 shown]
	s_cbranch_execz .LBB8_101
	s_branch .LBB8_116
.LBB8_85:
	v_cmp_eq_u32_e32 vcc, v11, v0
	s_and_saveexec_b64 s[38:39], vcc
	s_cbranch_execz .LBB8_87
; %bb.86:
	v_mul_u32_u24_e32 v4, 34, v0
	v_lshlrev_b32_e32 v4, 3, v4
	v_mov_b32_e32 v5, 0
	ds_write_b32 v4, v5 offset:4
.LBB8_87:
	s_or_b64 exec, exec, s[38:39]
	s_andn2_saveexec_b64 s[6:7], s[6:7]
	s_cbranch_execz .LBB8_74
.LBB8_88:
	ds_read_b64 v[4:5], v24
	s_waitcnt lgkmcnt(0)
	v_xor_b32_e32 v5, 0x80000000, v5
	ds_write_b64 v1, v[4:5]
	s_or_b64 exec, exec, s[6:7]
	s_and_saveexec_b64 s[6:7], s[8:9]
	s_xor_b64 s[6:7], exec, s[6:7]
	s_cbranch_execz .LBB8_75
.LBB8_89:
	v_cmp_eq_u32_e32 vcc, v12, v0
	s_and_saveexec_b64 s[8:9], vcc
	s_cbranch_execz .LBB8_91
; %bb.90:
	v_mul_u32_u24_e32 v4, 34, v0
	v_lshlrev_b32_e32 v4, 3, v4
	v_mov_b32_e32 v5, 0
	ds_write_b32 v4, v5 offset:4
.LBB8_91:
	s_or_b64 exec, exec, s[8:9]
	s_andn2_saveexec_b64 s[6:7], s[6:7]
	s_cbranch_execz .LBB8_76
.LBB8_92:
	ds_read_b64 v[4:5], v15
	s_waitcnt lgkmcnt(0)
	v_xor_b32_e32 v5, 0x80000000, v5
	ds_write_b64 v1, v[4:5] offset:8
	s_or_b64 exec, exec, s[6:7]
	s_and_saveexec_b64 s[6:7], s[10:11]
	s_xor_b64 s[6:7], exec, s[6:7]
	s_cbranch_execz .LBB8_77
.LBB8_93:
	v_cmp_eq_u32_e32 vcc, v13, v0
	s_and_saveexec_b64 s[8:9], vcc
	s_cbranch_execz .LBB8_95
; %bb.94:
	v_mul_u32_u24_e32 v4, 34, v0
	v_lshlrev_b32_e32 v4, 3, v4
	v_mov_b32_e32 v5, 0
	ds_write_b32 v4, v5 offset:4
.LBB8_95:
	s_or_b64 exec, exec, s[8:9]
	s_andn2_saveexec_b64 s[6:7], s[6:7]
	s_cbranch_execz .LBB8_78
.LBB8_96:
	ds_read_b64 v[4:5], v15 offset:264
	s_waitcnt lgkmcnt(0)
	v_xor_b32_e32 v5, 0x80000000, v5
	ds_write_b64 v1, v[4:5] offset:16
	s_or_b64 exec, exec, s[6:7]
	s_and_saveexec_b64 s[6:7], s[12:13]
	s_xor_b64 s[6:7], exec, s[6:7]
	s_cbranch_execz .LBB8_79
.LBB8_97:
	v_cmp_eq_u32_e32 vcc, v14, v0
	s_and_saveexec_b64 s[8:9], vcc
	s_cbranch_execz .LBB8_99
; %bb.98:
	v_mul_u32_u24_e32 v4, 34, v0
	v_lshlrev_b32_e32 v4, 3, v4
	v_mov_b32_e32 v5, 0
	ds_write_b32 v4, v5 offset:4
.LBB8_99:
	s_or_b64 exec, exec, s[8:9]
	s_andn2_saveexec_b64 s[6:7], s[6:7]
	s_cbranch_execnz .LBB8_80
	s_branch .LBB8_81
.LBB8_100:
                                        ; implicit-def: $vgpr8
                                        ; implicit-def: $vgpr6
                                        ; implicit-def: $vgpr2
                                        ; implicit-def: $vgpr7
                                        ; implicit-def: $vgpr3
                                        ; implicit-def: $vgpr9
                                        ; implicit-def: $vgpr11
.LBB8_101:
	v_lshlrev_b32_e32 v2, 3, v0
	v_sub_co_u32_e32 v4, vcc, v24, v2
	s_ashr_i32 s29, s28, 31
	s_nop 0
	v_subbrev_co_u32_e32 v5, vcc, 0, v25, vcc
	s_movk_i32 s8, 0xfef8
	v_or_b32_e32 v3, 32, v0
	v_lshl_add_u64 v[4:5], s[28:29], 3, v[4:5]
	s_mov_b32 s9, -1
	v_lshl_add_u64 v[4:5], v[4:5], 0, s[8:9]
	v_cmp_gt_i32_e32 vcc, s28, v3
	v_mov_b32_e32 v6, 0
	v_cmp_gt_i32_e64 s[8:9], s28, v10
	v_cndmask_b32_e32 v5, v5, v25, vcc
	v_cndmask_b32_e32 v4, v4, v24, vcc
	v_mov_b32_e32 v7, v6
	s_and_saveexec_b64 s[10:11], s[8:9]
	s_cbranch_execz .LBB8_103
; %bb.102:
	global_load_dwordx2 v[6:7], v[4:5], off
.LBB8_103:
	s_or_b64 exec, exec, s[10:11]
	v_mad_u32_u24 v8, v10, 33, v0
	v_lshlrev_b32_e32 v3, 3, v8
	s_waitcnt vmcnt(0)
	ds_write_b64 v3, v[6:7]
	v_add_u32_e32 v6, 8, v10
	v_cmp_le_i32_e64 s[8:9], s28, v6
	s_and_saveexec_b64 s[10:11], s[8:9]
	s_xor_b64 s[8:9], exec, s[10:11]
	s_cbranch_execz .LBB8_105
; %bb.104:
	v_mul_u32_u24_e32 v7, 33, v6
	v_mov_b32_e32 v12, 0
	v_add_lshl_u32 v7, v7, v0, 3
	v_mov_b32_e32 v13, v12
	ds_write_b64 v7, v[12:13]
.LBB8_105:
	s_andn2_saveexec_b64 s[8:9], s[8:9]
	s_cbranch_execz .LBB8_107
; %bb.106:
	s_lshl_b64 s[10:11], s[24:25], 6
	v_lshl_add_u64 v[12:13], v[4:5], 0, s[10:11]
	global_load_dwordx2 v[12:13], v[12:13], off
	s_waitcnt vmcnt(0)
	ds_write_b64 v3, v[12:13] offset:2112
.LBB8_107:
	s_or_b64 exec, exec, s[8:9]
	v_add_u32_e32 v7, 16, v10
	v_cmp_le_i32_e64 s[8:9], s28, v7
	s_and_saveexec_b64 s[10:11], s[8:9]
	s_xor_b64 s[8:9], exec, s[10:11]
	s_cbranch_execz .LBB8_109
; %bb.108:
	v_mul_u32_u24_e32 v9, 33, v7
	v_mov_b32_e32 v12, 0
	v_add_lshl_u32 v0, v9, v0, 3
	v_mov_b32_e32 v13, v12
	ds_write_b64 v0, v[12:13]
.LBB8_109:
	s_andn2_saveexec_b64 s[8:9], s[8:9]
	s_cbranch_execz .LBB8_111
; %bb.110:
	s_lshl_b64 s[10:11], s[24:25], 7
	v_lshl_add_u64 v[12:13], v[4:5], 0, s[10:11]
	global_load_dwordx2 v[12:13], v[12:13], off
	s_waitcnt vmcnt(0)
	ds_write_b64 v3, v[12:13] offset:4224
.LBB8_111:
	s_or_b64 exec, exec, s[8:9]
	v_add_u32_e32 v9, 24, v10
	v_cmp_le_i32_e64 s[8:9], s28, v9
                                        ; implicit-def: $vgpr11
	s_and_saveexec_b64 s[10:11], s[8:9]
	s_xor_b64 s[8:9], exec, s[10:11]
	s_cbranch_execz .LBB8_113
; %bb.112:
	v_mov_b32_e32 v12, 0
	v_add_u32_e32 v11, 0x318, v8
	v_mov_b32_e32 v13, v12
	ds_write_b64 v3, v[12:13] offset:6336
                                        ; implicit-def: $vgpr3
.LBB8_113:
	s_andn2_saveexec_b64 s[8:9], s[8:9]
	s_cbranch_execz .LBB8_115
; %bb.114:
	v_mov_b32_e32 v0, 0xc0
	v_mad_u64_u32 v[12:13], s[10:11], s24, v0, v[4:5]
	s_mul_i32 s10, s25, 0xc0
	s_nop 0
	v_add_u32_e32 v13, s10, v13
	global_load_dwordx2 v[12:13], v[12:13], off
	v_add_u32_e32 v11, 0x318, v8
	s_waitcnt vmcnt(0)
	ds_write_b64 v3, v[12:13] offset:6336
.LBB8_115:
	s_or_b64 exec, exec, s[8:9]
	v_mov_b32_e32 v3, 0
	v_lshl_add_u64 v[2:3], v[4:5], 0, v[2:3]
	s_lshl_b64 s[8:9], s[28:29], 3
	v_mov_b32_e32 v0, s9
	v_subrev_co_u32_e64 v2, s[8:9], s8, v2
	s_nop 1
	v_subb_co_u32_e64 v3, s[8:9], v3, v0, s[8:9]
	s_mov_b64 s[8:9], 0x108
	s_nop 0
	v_lshl_add_u64 v[2:3], v[2:3], 0, s[8:9]
	v_cndmask_b32_e32 v25, v3, v25, vcc
	v_cndmask_b32_e32 v24, v2, v24, vcc
	v_add_u32_e32 v2, 0x108, v8
	v_add_u32_e32 v3, 0x210, v8
.LBB8_116:
	v_lshlrev_b32_e32 v0, 3, v8
	s_waitcnt lgkmcnt(0)
	s_barrier
	ds_read_b64 v[32:33], v0
	v_lshlrev_b32_e32 v4, 3, v10
	v_lshlrev_b32_e32 v5, 3, v2
	;; [unrolled: 1-line block ×7, first 2 shown]
	ds_read_b64 v[34:35], v0
	ds_read2_b64 v[8:11], v1 offset1:1
	ds_read2_b64 v[0:3], v1 offset0:2 offset1:3
	ds_read_b64 v[36:37], v6 offset:9088
	ds_read_b64 v[38:39], v5
	ds_read_b64 v[40:41], v4 offset:9088
	ds_read_b128 v[12:15], v30 offset:256
	ds_read_b128 v[4:7], v30 offset:272
	ds_read_b64 v[30:31], v31 offset:9088
	ds_read_b64 v[42:43], v42
	ds_read_b64 v[44:45], v44 offset:9088
	s_waitcnt lgkmcnt(5)
	v_pk_mul_f32 v[46:47], v[40:41], v[32:33] op_sel:[0,1]
	s_waitcnt lgkmcnt(0)
	v_pk_fma_f32 v[48:49], v[40:41], v[32:33], v[46:47] op_sel:[0,0,1] op_sel_hi:[1,1,0] neg_lo:[0,0,1] neg_hi:[0,0,1]
	v_pk_fma_f32 v[32:33], v[40:41], v[32:33], v[46:47] op_sel:[0,0,1] op_sel_hi:[1,0,0]
	v_pk_mul_f32 v[40:41], v[36:37], v[38:39] op_sel:[0,1]
	v_mov_b32_e32 v49, v33
	v_pk_fma_f32 v[46:47], v[36:37], v[38:39], v[40:41] op_sel:[0,0,1] op_sel_hi:[1,1,0] neg_lo:[0,0,1] neg_hi:[0,0,1]
	v_pk_fma_f32 v[36:37], v[36:37], v[38:39], v[40:41] op_sel:[0,0,1] op_sel_hi:[1,0,0]
	v_pk_add_f32 v[32:33], v[48:49], 0 op_sel_hi:[1,0]
	v_mov_b32_e32 v47, v37
	v_pk_mul_f32 v[36:37], v[44:45], v[34:35] op_sel:[0,1]
	v_pk_add_f32 v[32:33], v[32:33], v[46:47]
	v_pk_fma_f32 v[38:39], v[44:45], v[34:35], v[36:37] op_sel:[0,0,1] op_sel_hi:[1,1,0] neg_lo:[0,0,1] neg_hi:[0,0,1]
	v_pk_fma_f32 v[34:35], v[44:45], v[34:35], v[36:37] op_sel:[0,0,1] op_sel_hi:[1,0,0]
	s_barrier
	v_mov_b32_e32 v39, v35
	v_pk_mul_f32 v[34:35], v[30:31], v[42:43] op_sel:[0,1]
	v_pk_add_f32 v[32:33], v[32:33], v[38:39]
	v_pk_fma_f32 v[36:37], v[30:31], v[42:43], v[34:35] op_sel:[0,0,1] op_sel_hi:[1,1,0] neg_lo:[0,0,1] neg_hi:[0,0,1]
	v_pk_fma_f32 v[30:31], v[30:31], v[42:43], v[34:35] op_sel:[0,0,1] op_sel_hi:[1,0,0]
	s_nop 0
	v_mov_b32_e32 v37, v31
	v_pk_add_f32 v[30:31], v[32:33], v[36:37]
	ds_write_b64 v29, v[30:31]
	s_waitcnt lgkmcnt(0)
	s_barrier
	s_and_saveexec_b64 s[8:9], s[6:7]
	s_cbranch_execz .LBB8_118
; %bb.117:
	v_lshlrev_b32_e32 v42, 3, v28
	ds_read2_b64 v[30:33], v42 offset1:1
	ds_read2_b64 v[34:37], v42 offset0:2 offset1:3
	ds_read2_b64 v[38:41], v42 offset0:4 offset1:5
	s_waitcnt lgkmcnt(2)
	v_pk_add_f32 v[18:19], v[18:19], v[30:31]
	s_nop 0
	v_pk_add_f32 v[18:19], v[18:19], v[32:33]
	ds_read2_b64 v[30:33], v42 offset0:6 offset1:7
	s_waitcnt lgkmcnt(2)
	v_pk_add_f32 v[18:19], v[18:19], v[34:35]
	s_nop 0
	v_pk_add_f32 v[18:19], v[18:19], v[36:37]
	s_waitcnt lgkmcnt(1)
	v_pk_add_f32 v[18:19], v[18:19], v[38:39]
	s_nop 0
	v_pk_add_f32 v[18:19], v[18:19], v[40:41]
	;; [unrolled: 4-line block ×3, first 2 shown]
.LBB8_118:
	s_or_b64 exec, exec, s[8:9]
	v_pk_mul_f32 v[30:31], v[8:9], v[12:13] op_sel:[1,0]
	s_nop 0
	v_pk_fma_f32 v[32:33], v[8:9], v[12:13], v[30:31] op_sel:[0,0,1] op_sel_hi:[1,1,0]
	v_pk_fma_f32 v[8:9], v[8:9], v[12:13], v[30:31] op_sel:[0,0,1] op_sel_hi:[0,1,0] neg_lo:[0,0,1] neg_hi:[0,0,1]
	v_mov_b32_e32 v12, v11
	v_pk_mul_f32 v[12:13], v[12:13], v[14:15] op_sel_hi:[0,1]
	v_pk_fma_f32 v[30:31], v[10:11], v[14:15], v[12:13] op_sel:[0,0,1] op_sel_hi:[1,1,0]
	v_pk_fma_f32 v[10:11], v[10:11], v[14:15], v[12:13] op_sel:[0,0,1] op_sel_hi:[0,1,0] neg_lo:[0,0,1] neg_hi:[0,0,1]
	v_mov_b32_e32 v33, v9
	v_mov_b32_e32 v31, v11
	v_pk_mul_f32 v[10:11], v[0:1], v[4:5] op_sel:[1,0]
	v_pk_add_f32 v[8:9], v[32:33], 0 op_sel_hi:[1,0]
	v_pk_fma_f32 v[12:13], v[0:1], v[4:5], v[10:11] op_sel:[0,0,1] op_sel_hi:[1,1,0]
	v_pk_fma_f32 v[0:1], v[0:1], v[4:5], v[10:11] op_sel:[0,0,1] op_sel_hi:[0,1,0] neg_lo:[0,0,1] neg_hi:[0,0,1]
	v_mov_b32_e32 v4, v3
	v_pk_add_f32 v[8:9], v[8:9], v[30:31]
	v_mov_b32_e32 v13, v1
	v_pk_mul_f32 v[4:5], v[4:5], v[6:7] op_sel_hi:[0,1]
	v_pk_add_f32 v[0:1], v[8:9], v[12:13]
	v_pk_fma_f32 v[8:9], v[2:3], v[6:7], v[4:5] op_sel:[0,0,1] op_sel_hi:[1,1,0]
	v_pk_fma_f32 v[2:3], v[2:3], v[6:7], v[4:5] op_sel:[0,0,1] op_sel_hi:[0,1,0] neg_lo:[0,0,1] neg_hi:[0,0,1]
	v_mov_b32_e32 v9, v3
	v_pk_add_f32 v[0:1], v[0:1], v[8:9]
	s_barrier
	ds_write_b64 v29, v[0:1]
	s_waitcnt lgkmcnt(0)
	s_barrier
	s_and_saveexec_b64 s[6:7], s[4:5]
	s_cbranch_execz .LBB8_120
; %bb.119:
	v_lshlrev_b32_e32 v14, 3, v28
	ds_read2_b64 v[0:3], v14 offset1:1
	ds_read2_b64 v[4:7], v14 offset0:2 offset1:3
	ds_read2_b64 v[8:11], v14 offset0:4 offset1:5
	s_waitcnt lgkmcnt(2)
	v_pk_add_f32 v[0:1], v[18:19], v[0:1]
	s_nop 0
	v_pk_add_f32 v[12:13], v[0:1], v[2:3]
	ds_read2_b64 v[0:3], v14 offset0:6 offset1:7
	s_waitcnt lgkmcnt(2)
	v_pk_add_f32 v[4:5], v[12:13], v[4:5]
	s_nop 0
	v_pk_add_f32 v[4:5], v[4:5], v[6:7]
	s_waitcnt lgkmcnt(1)
	v_pk_add_f32 v[4:5], v[4:5], v[8:9]
	s_nop 0
	v_pk_add_f32 v[4:5], v[4:5], v[10:11]
	;; [unrolled: 4-line block ×3, first 2 shown]
.LBB8_120:
	s_or_b64 exec, exec, s[6:7]
	s_mul_hi_u32 s4, s33, s3
	s_mul_i32 s41, s41, s3
	s_add_i32 s4, s4, s41
	s_mul_i32 s3, s33, s3
	s_mul_i32 s4, s4, s40
	s_mul_hi_u32 s5, s3, s40
	s_add_i32 s5, s5, s4
	s_mul_i32 s4, s3, s40
	s_lshl_b64 s[4:5], s[4:5], 3
	s_add_u32 s3, s34, s4
	s_mul_i32 s4, s2, s33
	s_addc_u32 s7, s35, s5
	s_ashr_i32 s5, s4, 31
	s_lshl_b64 s[4:5], s[4:5], 3
	s_add_u32 s6, s3, s4
	v_cmp_le_i32_e32 vcc, s28, v26
	s_addc_u32 s7, s7, s5
	s_and_b64 vcc, s[26:27], vcc
	s_cmp_lt_i32 s2, 1
	v_lshlrev_b32_e32 v4, 3, v26
	s_barrier
	s_cbranch_scc1 .LBB8_127
; %bb.121:
	s_mul_i32 s3, s30, s37
	s_mul_hi_u32 s4, s30, s36
	s_add_i32 s3, s4, s3
	s_mul_i32 s4, s31, s36
	s_add_i32 s5, s3, s4
	s_mul_i32 s4, s30, s36
	s_lshl_b64 s[4:5], s[4:5], 3
	v_mov_b32_e32 v0, s5
	v_subrev_co_u32_e64 v6, s[4:5], s4, v20
	v_lshlrev_b32_e32 v5, 2, v76
	s_nop 0
	v_subb_co_u32_e64 v7, s[4:5], v21, v0, s[4:5]
	v_mov_b32_e32 v0, s23
	v_subrev_co_u32_e64 v2, s[4:5], s22, v24
	s_ashr_i32 s29, s28, 31
	s_nop 0
	v_subb_co_u32_e64 v3, s[4:5], v25, v0, s[4:5]
	v_lshlrev_b64 v[0:1], 3, v[22:23]
	v_sub_co_u32_e64 v0, s[4:5], v2, v0
	v_and_b32_e32 v12, 15, v26
	s_nop 0
	v_subb_co_u32_e64 v1, s[4:5], v3, v1, s[4:5]
	v_mad_u64_u32 v[2:3], s[4:5], v5, s24, 0
	v_mov_b32_e32 v8, v3
	v_mad_u64_u32 v[8:9], s[4:5], v5, s25, v[8:9]
	v_mov_b32_e32 v3, v8
	v_lshl_add_u64 v[0:1], v[2:3], 3, v[0:1]
	s_movk_i32 s4, 0xfef8
	v_lshl_add_u64 v[2:3], s[28:29], 3, v[0:1]
	s_mov_b32 s5, -1
	v_mov_b32_e32 v9, 0
	v_lshl_add_u64 v[2:3], v[2:3], 0, s[4:5]
	v_mov_b32_e32 v5, v9
	s_movk_i32 s4, 0xff00
	v_lshl_add_u64 v[0:1], v[0:1], 0, v[4:5]
	s_mov_b32 s5, -1
	v_lshl_add_u64 v[0:1], v[0:1], 0, s[4:5]
	v_cndmask_b32_e32 v10, v0, v2, vcc
	v_and_b32_e32 v0, 48, v26
	v_cndmask_b32_e32 v11, v1, v3, vcc
	v_lshlrev_b32_e32 v1, 3, v0
	s_movk_i32 s3, 0x218
	v_lshrrev_b32_e32 v13, 4, v27
	v_mad_u32_u24 v78, v12, s3, v1
	v_or_b32_e32 v1, 0x78, v4
	v_mad_u32_u24 v79, v12, s3, v1
	v_lshlrev_b32_e32 v1, 5, v13
	v_mad_u32_u24 v80, v12, s3, v1
	v_mov_b32_e32 v1, 0x2180
	v_lshl_add_u32 v81, v76, 5, v1
	v_lshlrev_b32_e32 v1, 3, v13
	v_mad_u32_u24 v83, v12, s3, v1
	s_mul_i32 s3, s25, 24
	s_mul_hi_u32 s14, s24, 24
	s_add_i32 s15, s14, s3
	s_mul_i32 s3, s25, 0x90
	s_mul_hi_u32 s18, s24, 0x90
	s_add_i32 s19, s18, s3
	;; [unrolled: 3-line block ×9, first 2 shown]
	s_mul_i32 s3, s25, 0x108
	s_mul_hi_u32 s33, s24, 0x108
	s_movk_i32 s8, 0x860
	s_add_i32 s43, s33, s3
	s_mul_i32 s3, s25, 0x88
	s_mul_hi_u32 s33, s24, 0x88
	v_add_u32_e32 v5, 0x2180, v4
	v_add_u32_e32 v77, 0x2380, v4
	v_cmp_gt_u32_e64 s[4:5], 64, v27
	v_mad_u32_u24 v82, v76, s8, v4
	s_lshl_b64 s[8:9], s[24:25], 3
	s_lshl_b64 s[10:11], s[24:25], 9
	;; [unrolled: 1-line block ×3, first 2 shown]
	s_mul_i32 s14, s24, 24
	s_mul_i32 s18, s24, 0x90
	;; [unrolled: 1-line block ×10, first 2 shown]
	s_add_i32 s45, s33, s3
	s_mul_i32 s44, s24, 0x88
	s_lshl_b64 s[24:25], s[24:25], 7
	v_or_b32_e32 v84, v0, v12
	s_mov_b32 s3, 0
	s_branch .LBB8_123
.LBB8_122:                              ;   in Loop: Header=BB8_123 Depth=1
	s_or_b64 exec, exec, s[46:47]
	v_mul_f32_e32 v8, v12, v24
	v_fma_f32 v8, -v13, v25, v8
	v_pk_mul_f32 v[12:13], v[12:13], v[24:25] op_sel:[1,0] op_sel_hi:[0,1]
	v_add_f32_e32 v12, v12, v13
	v_add_f32_e32 v8, v18, v8
	;; [unrolled: 1-line block ×3, first 2 shown]
	v_mul_f32_e32 v12, v14, v30
	v_fma_f32 v12, -v15, v31, v12
	v_add_f32_e32 v8, v8, v12
	v_pk_mul_f32 v[12:13], v[14:15], v[30:31] op_sel:[1,0] op_sel_hi:[0,1]
	v_add_f32_e32 v12, v12, v13
	v_add_f32_e32 v14, v18, v12
	v_mul_f32_e32 v12, v20, v28
	v_fma_f32 v12, -v21, v29, v12
	v_add_f32_e32 v8, v8, v12
	v_pk_mul_f32 v[12:13], v[20:21], v[28:29] op_sel:[1,0] op_sel_hi:[0,1]
	v_add_f32_e32 v12, v12, v13
	v_add_f32_e32 v14, v14, v12
	;; [unrolled: 6-line block ×4, first 2 shown]
	v_mul_f32_e32 v12, v34, v52
	v_fma_f32 v12, -v35, v53, v12
	v_pk_mul_f32 v[14:15], v[34:35], v[52:53] op_sel:[1,0] op_sel_hi:[0,1]
	v_add_f32_e32 v12, v8, v12
	v_add_f32_e32 v8, v14, v15
	;; [unrolled: 1-line block ×3, first 2 shown]
	v_mov_b32_e32 v8, v45
	v_pk_mul_f32 v[14:15], v[36:37], v[8:9] op_sel:[1,0] op_sel_hi:[0,1]
	v_pk_fma_f32 v[14:15], v[36:37], v[44:45], v[14:15] neg_lo:[0,0,1] neg_hi:[0,0,1]
	v_pk_mul_f32 v[18:19], v[36:37], v[44:45] op_sel:[1,0] op_sel_hi:[0,1]
	v_mov_b32_e32 v15, v18
	v_pk_mul_f32 v[22:23], v[38:39], v[42:43] op_sel:[1,0] op_sel_hi:[0,1]
	v_pk_fma_f32 v[18:19], v[36:37], v[44:45], v[14:15] op_sel:[1,0,0] op_sel_hi:[0,1,1]
	v_mov_b32_e32 v8, v43
	v_mov_b32_e32 v15, v22
	v_pk_mul_f32 v[20:21], v[38:39], v[8:9] op_sel:[1,0] op_sel_hi:[0,1]
	v_pk_fma_f32 v[22:23], v[38:39], v[42:43], v[14:15] op_sel:[1,0,0] op_sel_hi:[0,1,1]
	v_mov_b32_e32 v15, v19
	v_pk_fma_f32 v[20:21], v[38:39], v[42:43], v[20:21] neg_lo:[0,0,1] neg_hi:[0,0,1]
	v_pk_add_f32 v[12:13], v[12:13], v[14:15]
	v_pk_mul_f32 v[14:15], v[46:47], v[56:57] op_sel:[1,1] op_sel_hi:[0,1]
	v_mov_b32_e32 v21, v23
	v_pk_mul_f32 v[18:19], v[54:55], v[0:1] op_sel:[0,1]
	v_pk_fma_f32 v[24:25], v[46:47], v[56:57], v[14:15] neg_lo:[0,0,1] neg_hi:[0,0,1]
	v_pk_fma_f32 v[14:15], v[46:47], v[56:57], v[14:15] op_sel_hi:[1,0,1]
	v_pk_add_f32 v[12:13], v[12:13], v[20:21]
	v_mov_b32_e32 v8, v3
	v_mov_b32_e32 v25, v15
	v_pk_fma_f32 v[14:15], v[54:55], v[0:1], v[18:19] op_sel:[0,0,1] op_sel_hi:[1,1,0] neg_lo:[0,0,1] neg_hi:[0,0,1]
	v_pk_fma_f32 v[0:1], v[54:55], v[0:1], v[18:19] op_sel:[0,0,1] op_sel_hi:[1,0,0]
	v_pk_mul_f32 v[20:21], v[50:51], v[8:9] op_sel_hi:[1,0]
	v_pk_add_f32 v[12:13], v[12:13], v[24:25]
	v_mov_b32_e32 v15, v1
	v_pk_add_f32 v[0:1], v[12:13], v[14:15]
	v_pk_fma_f32 v[12:13], v[50:51], v[2:3], v[20:21] op_sel:[0,0,1] op_sel_hi:[1,1,0] neg_lo:[0,0,1] neg_hi:[0,0,1]
	v_pk_fma_f32 v[2:3], v[50:51], v[2:3], v[20:21] op_sel:[0,0,1] op_sel_hi:[1,0,0]
	v_pk_mul_f32 v[22:23], v[48:49], v[58:59] op_sel:[0,1]
	v_mov_b32_e32 v13, v3
	v_pk_add_f32 v[0:1], v[0:1], v[12:13]
	v_pk_fma_f32 v[2:3], v[48:49], v[58:59], v[22:23] op_sel:[0,0,1] op_sel_hi:[1,1,0] neg_lo:[0,0,1] neg_hi:[0,0,1]
	v_pk_fma_f32 v[12:13], v[48:49], v[58:59], v[22:23] op_sel:[0,0,1] op_sel_hi:[1,0,0]
	v_pk_mul_f32 v[14:15], v[64:65], v[72:73] op_sel:[0,1]
	v_mov_b32_e32 v3, v13
	v_pk_add_f32 v[0:1], v[0:1], v[2:3]
	v_pk_mul_f32 v[2:3], v[62:63], v[68:69] op_sel:[0,1]
	v_pk_mul_f32 v[12:13], v[66:67], v[74:75] op_sel:[0,1]
	v_pk_fma_f32 v[20:21], v[62:63], v[68:69], v[2:3] op_sel:[0,0,1] op_sel_hi:[1,1,0] neg_lo:[0,0,1] neg_hi:[0,0,1]
	v_pk_fma_f32 v[2:3], v[62:63], v[68:69], v[2:3] op_sel:[0,0,1] op_sel_hi:[1,0,0]
	v_pk_mul_f32 v[18:19], v[60:61], v[70:71] op_sel:[0,1]
	v_mov_b32_e32 v21, v3
	v_pk_fma_f32 v[2:3], v[66:67], v[74:75], v[12:13] op_sel:[0,0,1] op_sel_hi:[1,1,0] neg_lo:[0,0,1] neg_hi:[0,0,1]
	v_pk_fma_f32 v[12:13], v[66:67], v[74:75], v[12:13] op_sel:[0,0,1] op_sel_hi:[1,0,0]
	v_pk_add_f32 v[0:1], v[0:1], v[20:21]
	v_mov_b32_e32 v3, v13
	v_pk_fma_f32 v[12:13], v[64:65], v[72:73], v[14:15] op_sel:[0,0,1] op_sel_hi:[1,1,0] neg_lo:[0,0,1] neg_hi:[0,0,1]
	v_pk_fma_f32 v[14:15], v[64:65], v[72:73], v[14:15] op_sel:[0,0,1] op_sel_hi:[1,0,0]
	v_pk_add_f32 v[0:1], v[0:1], v[2:3]
	;; [unrolled: 4-line block ×3, first 2 shown]
	v_mov_b32_e32 v15, v19
	s_add_i32 s3, s3, 64
	s_add_i32 s2, s2, -1
	v_pk_add_f32 v[18:19], v[0:1], v[14:15]
	s_cmp_eq_u32 s2, 0
	v_lshl_add_u64 v[10:11], v[10:11], 0, s[10:11]
	s_barrier
	s_cbranch_scc1 .LBB8_127
.LBB8_123:                              ; =>This Inner Loop Header: Depth=1
	s_and_saveexec_b64 s[46:47], s[16:17]
	s_cbranch_execz .LBB8_125
; %bb.124:                              ;   in Loop: Header=BB8_123 Depth=1
	s_mul_i32 s33, s3, s37
	s_mul_hi_u32 s48, s3, s36
	s_add_i32 s49, s48, s33
	s_mul_i32 s48, s3, s36
	v_lshl_add_u64 v[0:1], s[48:49], 3, v[6:7]
	global_load_dwordx2 v[0:1], v[0:1], off
	s_waitcnt vmcnt(0)
	ds_write_b64 v5, v[0:1]
.LBB8_125:                              ;   in Loop: Header=BB8_123 Depth=1
	s_or_b64 exec, exec, s[46:47]
	v_lshl_add_u64 v[0:1], v[10:11], 0, s[8:9]
	s_waitcnt lgkmcnt(0)
	s_barrier
	global_load_dwordx2 v[12:13], v[10:11], off
	global_load_dwordx2 v[14:15], v[0:1], off
	v_lshl_add_u64 v[0:1], v[10:11], 0, s[12:13]
	global_load_dwordx2 v[20:21], v[0:1], off
	v_lshl_add_u64 v[0:1], v[10:11], 0, s[14:15]
	global_load_dwordx2 v[22:23], v[0:1], off
	ds_read_b64 v[0:1], v77
	ds_read_b64 v[24:25], v81
	v_lshl_add_u64 v[2:3], v[10:11], 0, s[24:25]
	v_lshl_add_u64 v[60:61], v[10:11], 0, s[40:41]
	s_waitcnt vmcnt(3) lgkmcnt(1)
	v_mul_f32_e32 v26, v13, v1
	v_mul_f32_e32 v8, v13, v0
	v_fmac_f32_e32 v26, v12, v0
	v_fma_f32 v27, v12, v1, -v8
	s_waitcnt vmcnt(2)
	v_mul_f32_e32 v28, v15, v1
	v_mul_f32_e32 v8, v15, v0
	s_waitcnt vmcnt(1)
	v_mul_f32_e32 v32, v21, v1
	v_mul_f32_e32 v30, v21, v0
	s_waitcnt vmcnt(0)
	v_mul_f32_e32 v31, v23, v0
	ds_write_b64 v82, v[26:27]
	v_fmac_f32_e32 v28, v14, v0
	v_fma_f32 v29, v14, v1, -v8
	v_mul_f32_e32 v34, v23, v1
	v_fmac_f32_e32 v32, v20, v0
	v_fma_f32 v33, v20, v1, -v30
	v_fma_f32 v35, v22, v1, -v31
	ds_read_b64 v[30:31], v81 offset:8
	ds_write_b64 v82, v[28:29] offset:536
	v_fmac_f32_e32 v34, v22, v0
	ds_read_b64 v[28:29], v81 offset:16
	ds_write_b64 v82, v[32:33] offset:1072
	ds_read_b64 v[26:27], v81 offset:24
	ds_write_b64 v82, v[34:35] offset:1608
	s_waitcnt lgkmcnt(0)
	s_barrier
	ds_read2_b64 v[68:71], v80 offset1:1
	ds_read2_b64 v[72:75], v80 offset0:2 offset1:3
	s_waitcnt lgkmcnt(0)
	s_barrier
	global_load_dwordx2 v[32:33], v[2:3], off
	v_lshl_add_u64 v[0:1], v[10:11], 0, s[44:45]
	global_load_dwordx2 v[34:35], v[0:1], off
	v_lshl_add_u64 v[0:1], v[10:11], 0, s[18:19]
	;; [unrolled: 2-line block ×3, first 2 shown]
	global_load_dwordx2 v[38:39], v[0:1], off
	ds_read_b64 v[0:1], v77
	ds_read_b64 v[40:41], v81 offset:128
	v_lshl_add_u64 v[2:3], v[10:11], 0, s[20:21]
	v_pk_add_f32 v[68:69], v[68:69], 0 op_sel_hi:[1,0]
	s_waitcnt vmcnt(3) lgkmcnt(1)
	v_mul_f32_e32 v42, v33, v1
	v_mul_f32_e32 v8, v33, v0
	s_waitcnt vmcnt(2)
	v_mul_f32_e32 v44, v35, v1
	v_mul_f32_e32 v45, v35, v0
	v_fmac_f32_e32 v42, v32, v0
	v_fma_f32 v43, v32, v1, -v8
	s_waitcnt vmcnt(1)
	v_mul_f32_e32 v46, v37, v1
	v_mul_f32_e32 v47, v37, v0
	v_fmac_f32_e32 v44, v34, v0
	v_fma_f32 v45, v34, v1, -v45
	ds_write_b64 v82, v[42:43]
	s_waitcnt vmcnt(0)
	v_mul_f32_e32 v48, v39, v1
	v_mul_f32_e32 v49, v39, v0
	v_fmac_f32_e32 v46, v36, v0
	v_fma_f32 v47, v36, v1, -v47
	ds_read_b64 v[52:53], v81 offset:136
	ds_write_b64 v82, v[44:45] offset:536
	v_fmac_f32_e32 v48, v38, v0
	v_fma_f32 v49, v38, v1, -v49
	ds_read_b64 v[44:45], v81 offset:144
	ds_write_b64 v82, v[46:47] offset:1072
	v_lshl_add_u64 v[0:1], v[10:11], 0, s[42:43]
	ds_read_b64 v[42:43], v81 offset:152
	ds_write_b64 v82, v[48:49] offset:1608
	s_waitcnt lgkmcnt(0)
	s_barrier
	ds_read2_b64 v[86:89], v80 offset1:1
	ds_read2_b64 v[90:93], v80 offset0:2 offset1:3
	s_waitcnt lgkmcnt(0)
	s_barrier
	global_load_dwordx2 v[46:47], v[2:3], off
	global_load_dwordx2 v[54:55], v[0:1], off
	v_lshl_add_u64 v[0:1], v[10:11], 0, s[26:27]
	global_load_dwordx2 v[50:51], v[0:1], off
	v_lshl_add_u64 v[0:1], v[10:11], 0, s[28:29]
	global_load_dwordx2 v[48:49], v[0:1], off
	ds_read_b64 v[0:1], v77
	ds_read_b64 v[56:57], v81 offset:256
	v_pk_add_f32 v[68:69], v[68:69], v[70:71]
	s_waitcnt vmcnt(3) lgkmcnt(1)
	v_mul_f32_e32 v2, v47, v1
	v_mul_f32_e32 v3, v47, v0
	s_waitcnt vmcnt(2)
	v_mul_f32_e32 v62, v55, v1
	v_mul_f32_e32 v8, v55, v0
	s_waitcnt vmcnt(1)
	v_mul_f32_e32 v64, v51, v1
	v_mul_f32_e32 v58, v51, v0
	v_fmac_f32_e32 v2, v46, v0
	v_fma_f32 v3, v46, v1, -v3
	s_waitcnt vmcnt(0)
	v_mul_f32_e32 v66, v49, v1
	v_mul_f32_e32 v59, v49, v0
	v_fmac_f32_e32 v62, v54, v0
	v_fma_f32 v63, v54, v1, -v8
	v_fmac_f32_e32 v64, v50, v0
	v_fma_f32 v65, v50, v1, -v58
	ds_write_b64 v82, v[2:3]
	v_fmac_f32_e32 v66, v48, v0
	v_fma_f32 v67, v48, v1, -v59
	ds_read2_b64 v[0:3], v81 offset0:33 offset1:34
	ds_read_b64 v[58:59], v81 offset:280
	ds_write2_b64 v82, v[62:63], v[64:65] offset0:67 offset1:134
	ds_write_b64 v82, v[66:67] offset:1608
	s_waitcnt lgkmcnt(0)
	s_barrier
	ds_read2_b64 v[94:97], v80 offset1:1
	ds_read2_b64 v[98:101], v80 offset0:2 offset1:3
	s_waitcnt lgkmcnt(0)
	s_barrier
	global_load_dwordx2 v[62:63], v[60:61], off
	v_lshl_add_u64 v[60:61], v[10:11], 0, s[38:39]
	global_load_dwordx2 v[66:67], v[60:61], off
	v_lshl_add_u64 v[60:61], v[10:11], 0, s[30:31]
	;; [unrolled: 2-line block ×3, first 2 shown]
	global_load_dwordx2 v[60:61], v[60:61], off
	v_pk_add_f32 v[68:69], v[68:69], v[72:73]
	v_pk_add_f32 v[72:73], v[94:95], 0 op_sel_hi:[1,0]
	v_pk_add_f32 v[102:103], v[68:69], v[74:75]
	v_pk_add_f32 v[68:69], v[86:87], 0 op_sel_hi:[1,0]
	v_pk_add_f32 v[72:73], v[72:73], v[96:97]
	v_pk_add_f32 v[68:69], v[68:69], v[88:89]
	v_pk_add_f32 v[72:73], v[72:73], v[98:99]
	v_pk_add_f32 v[68:69], v[68:69], v[90:91]
	v_pk_add_f32 v[94:95], v[72:73], v[100:101]
	v_pk_add_f32 v[104:105], v[68:69], v[92:93]
	ds_read_b64 v[70:71], v77
	ds_read_b64 v[68:69], v81 offset:384
	s_waitcnt vmcnt(3) lgkmcnt(1)
	v_mul_f32_e32 v72, v63, v71
	v_mul_f32_e32 v8, v63, v70
	s_waitcnt vmcnt(2)
	v_mul_f32_e32 v74, v67, v70
	v_mul_f32_e32 v86, v67, v71
	v_fma_f32 v73, v62, v71, -v8
	v_fmac_f32_e32 v72, v62, v70
	s_waitcnt vmcnt(1)
	v_mul_f32_e32 v75, v65, v70
	v_mul_f32_e32 v88, v65, v71
	v_fma_f32 v87, v66, v71, -v74
	v_fmac_f32_e32 v86, v66, v70
	ds_write_b64 v82, v[72:73]
	s_waitcnt vmcnt(0)
	v_mul_f32_e32 v85, v61, v70
	v_mul_f32_e32 v90, v61, v71
	v_fma_f32 v89, v64, v71, -v75
	v_fmac_f32_e32 v88, v64, v70
	ds_read_b64 v[74:75], v81 offset:392
	ds_write_b64 v82, v[86:87] offset:536
	v_fma_f32 v91, v60, v71, -v85
	v_fmac_f32_e32 v90, v60, v70
	ds_read_b64 v[72:73], v81 offset:400
	ds_write_b64 v82, v[88:89] offset:1072
	ds_read_b64 v[70:71], v81 offset:408
	ds_write_b64 v82, v[90:91] offset:1608
	s_waitcnt lgkmcnt(0)
	s_barrier
	ds_read2_b64 v[86:89], v80 offset1:1
	ds_read2_b64 v[90:93], v80 offset0:2 offset1:3
	s_waitcnt lgkmcnt(0)
	s_barrier
	v_pk_add_f32 v[86:87], v[86:87], 0 op_sel_hi:[1,0]
	ds_write2_b64 v83, v[102:103], v[104:105] offset1:16
	v_pk_add_f32 v[86:87], v[86:87], v[88:89]
	s_nop 0
	v_pk_add_f32 v[86:87], v[86:87], v[90:91]
	s_nop 0
	v_pk_add_f32 v[86:87], v[86:87], v[92:93]
	ds_write2_b64 v83, v[94:95], v[86:87] offset0:32 offset1:48
	s_waitcnt lgkmcnt(0)
	s_barrier
	s_and_saveexec_b64 s[46:47], s[4:5]
	s_cbranch_execz .LBB8_122
; %bb.126:                              ;   in Loop: Header=BB8_123 Depth=1
	ds_read_b64 v[94:95], v78
	ds_read2_b64 v[86:89], v78 offset0:1 offset1:2
	ds_read2_b64 v[90:93], v78 offset0:3 offset1:4
	s_waitcnt lgkmcnt(1)
	v_add_f32_e32 v8, v86, v94
	v_add_f32_e32 v85, v87, v95
	;; [unrolled: 1-line block ×4, first 2 shown]
	ds_read2_b64 v[86:89], v78 offset0:5 offset1:6
	s_waitcnt lgkmcnt(1)
	v_add_f32_e32 v8, v8, v90
	v_add_f32_e32 v85, v85, v91
	;; [unrolled: 1-line block ×4, first 2 shown]
	ds_read2_b64 v[90:93], v78 offset0:7 offset1:8
	s_waitcnt lgkmcnt(1)
	v_pk_add_f32 v[86:87], v[94:95], v[86:87]
	ds_read2_b64 v[94:97], v78 offset0:9 offset1:10
	v_pk_add_f32 v[86:87], v[86:87], v[88:89]
	v_add_u32_e32 v8, s3, v84
	s_waitcnt lgkmcnt(1)
	v_pk_add_f32 v[86:87], v[86:87], v[90:91]
	v_lshl_add_u64 v[98:99], v[8:9], 3, s[6:7]
	v_pk_add_f32 v[90:91], v[86:87], v[92:93]
	ds_read2_b64 v[86:89], v78 offset0:11 offset1:12
	s_waitcnt lgkmcnt(1)
	v_pk_add_f32 v[94:95], v[90:91], v[94:95]
	ds_read2_b64 v[90:93], v78 offset0:13 offset1:14
	v_pk_add_f32 v[94:95], v[94:95], v[96:97]
	ds_read_b64 v[96:97], v79
	s_waitcnt lgkmcnt(2)
	v_pk_add_f32 v[86:87], v[94:95], v[86:87]
	s_nop 0
	v_pk_add_f32 v[86:87], v[86:87], v[88:89]
	s_waitcnt lgkmcnt(1)
	v_pk_add_f32 v[86:87], v[86:87], v[90:91]
	s_nop 0
	v_pk_add_f32 v[86:87], v[86:87], v[92:93]
	s_waitcnt lgkmcnt(0)
	v_pk_add_f32 v[86:87], v[86:87], v[96:97]
	global_store_dwordx2 v[98:99], v[86:87], off
	s_branch .LBB8_122
.LBB8_127:
	s_movk_i32 s2, 0x218
	s_or_b64 s[0:1], s[0:1], vcc
	v_mad_u32_u24 v0, v76, s2, v4
	s_xor_b64 s[0:1], s[0:1], -1
	ds_write_b64 v0, v[18:19]
	s_waitcnt lgkmcnt(0)
	s_barrier
	s_and_saveexec_b64 s[2:3], s[0:1]
	s_cbranch_execz .LBB8_129
; %bb.128:
	ds_read2_b64 v[0:3], v4 offset1:67
	ds_read2_b64 v[4:7], v4 offset0:134 offset1:201
	v_lshl_add_u64 v[8:9], v[16:17], 3, s[6:7]
	s_waitcnt lgkmcnt(1)
	v_pk_add_f32 v[0:1], v[2:3], v[0:1]
	s_waitcnt lgkmcnt(0)
	v_pk_add_f32 v[0:1], v[0:1], v[4:5]
	s_nop 0
	v_pk_add_f32 v[0:1], v[0:1], v[6:7]
	global_store_dwordx2 v[8:9], v[0:1], off
.LBB8_129:
	s_endpgm
	.section	.rodata,"a",@progbits
	.p2align	6, 0x0
	.amdhsa_kernel _ZL26rocblas_hemvn_kernel_lowerILb1ELi64ELi4ELi33ELi32ELi16ElPK19rocblas_complex_numIfES3_PS1_EviT6_lT7_lT5_lS6_lS7_lS5_lT8_i
		.amdhsa_group_segment_fixed_size 9600
		.amdhsa_private_segment_fixed_size 0
		.amdhsa_kernarg_size 376
		.amdhsa_user_sgpr_count 2
		.amdhsa_user_sgpr_dispatch_ptr 0
		.amdhsa_user_sgpr_queue_ptr 0
		.amdhsa_user_sgpr_kernarg_segment_ptr 1
		.amdhsa_user_sgpr_dispatch_id 0
		.amdhsa_user_sgpr_kernarg_preload_length 0
		.amdhsa_user_sgpr_kernarg_preload_offset 0
		.amdhsa_user_sgpr_private_segment_size 0
		.amdhsa_uses_dynamic_stack 0
		.amdhsa_enable_private_segment 0
		.amdhsa_system_sgpr_workgroup_id_x 1
		.amdhsa_system_sgpr_workgroup_id_y 0
		.amdhsa_system_sgpr_workgroup_id_z 1
		.amdhsa_system_sgpr_workgroup_info 0
		.amdhsa_system_vgpr_workitem_id 1
		.amdhsa_next_free_vgpr 106
		.amdhsa_next_free_sgpr 50
		.amdhsa_accum_offset 108
		.amdhsa_reserve_vcc 1
		.amdhsa_float_round_mode_32 0
		.amdhsa_float_round_mode_16_64 0
		.amdhsa_float_denorm_mode_32 3
		.amdhsa_float_denorm_mode_16_64 3
		.amdhsa_dx10_clamp 1
		.amdhsa_ieee_mode 1
		.amdhsa_fp16_overflow 0
		.amdhsa_tg_split 0
		.amdhsa_exception_fp_ieee_invalid_op 0
		.amdhsa_exception_fp_denorm_src 0
		.amdhsa_exception_fp_ieee_div_zero 0
		.amdhsa_exception_fp_ieee_overflow 0
		.amdhsa_exception_fp_ieee_underflow 0
		.amdhsa_exception_fp_ieee_inexact 0
		.amdhsa_exception_int_div_zero 0
	.end_amdhsa_kernel
	.section	.text._ZL26rocblas_hemvn_kernel_lowerILb1ELi64ELi4ELi33ELi32ELi16ElPK19rocblas_complex_numIfES3_PS1_EviT6_lT7_lT5_lS6_lS7_lS5_lT8_i,"axG",@progbits,_ZL26rocblas_hemvn_kernel_lowerILb1ELi64ELi4ELi33ELi32ELi16ElPK19rocblas_complex_numIfES3_PS1_EviT6_lT7_lT5_lS6_lS7_lS5_lT8_i,comdat
.Lfunc_end8:
	.size	_ZL26rocblas_hemvn_kernel_lowerILb1ELi64ELi4ELi33ELi32ELi16ElPK19rocblas_complex_numIfES3_PS1_EviT6_lT7_lT5_lS6_lS7_lS5_lT8_i, .Lfunc_end8-_ZL26rocblas_hemvn_kernel_lowerILb1ELi64ELi4ELi33ELi32ELi16ElPK19rocblas_complex_numIfES3_PS1_EviT6_lT7_lT5_lS6_lS7_lS5_lT8_i
                                        ; -- End function
	.section	.AMDGPU.csdata,"",@progbits
; Kernel info:
; codeLenInByte = 8152
; NumSgprs: 56
; NumVgprs: 106
; NumAgprs: 0
; TotalNumVgprs: 106
; ScratchSize: 0
; MemoryBound: 1
; FloatMode: 240
; IeeeMode: 1
; LDSByteSize: 9600 bytes/workgroup (compile time only)
; SGPRBlocks: 6
; VGPRBlocks: 13
; NumSGPRsForWavesPerEU: 56
; NumVGPRsForWavesPerEU: 106
; AccumOffset: 108
; Occupancy: 4
; WaveLimiterHint : 0
; COMPUTE_PGM_RSRC2:SCRATCH_EN: 0
; COMPUTE_PGM_RSRC2:USER_SGPR: 2
; COMPUTE_PGM_RSRC2:TRAP_HANDLER: 0
; COMPUTE_PGM_RSRC2:TGID_X_EN: 1
; COMPUTE_PGM_RSRC2:TGID_Y_EN: 0
; COMPUTE_PGM_RSRC2:TGID_Z_EN: 1
; COMPUTE_PGM_RSRC2:TIDIG_COMP_CNT: 1
; COMPUTE_PGM_RSRC3_GFX90A:ACCUM_OFFSET: 26
; COMPUTE_PGM_RSRC3_GFX90A:TG_SPLIT: 0
	.section	.text._ZL36rocblas_hemvn_kernel_lower_block_sumILi64ElPK19rocblas_complex_numIfEPS1_S1_EviT1_lS5_lT2_lT0_lPT3_i,"axG",@progbits,_ZL36rocblas_hemvn_kernel_lower_block_sumILi64ElPK19rocblas_complex_numIfEPS1_S1_EviT1_lS5_lT2_lT0_lPT3_i,comdat
	.globl	_ZL36rocblas_hemvn_kernel_lower_block_sumILi64ElPK19rocblas_complex_numIfEPS1_S1_EviT1_lS5_lT2_lT0_lPT3_i ; -- Begin function _ZL36rocblas_hemvn_kernel_lower_block_sumILi64ElPK19rocblas_complex_numIfEPS1_S1_EviT1_lS5_lT2_lT0_lPT3_i
	.p2align	8
	.type	_ZL36rocblas_hemvn_kernel_lower_block_sumILi64ElPK19rocblas_complex_numIfEPS1_S1_EviT1_lS5_lT2_lT0_lPT3_i,@function
_ZL36rocblas_hemvn_kernel_lower_block_sumILi64ElPK19rocblas_complex_numIfEPS1_S1_EviT1_lS5_lT2_lT0_lPT3_i: ; @_ZL36rocblas_hemvn_kernel_lower_block_sumILi64ElPK19rocblas_complex_numIfEPS1_S1_EviT1_lS5_lT2_lT0_lPT3_i
; %bb.0:
	s_load_dwordx8 s[8:15], s[0:1], 0x8
	s_waitcnt lgkmcnt(0)
	s_mul_i32 s4, s3, s11
	s_mul_hi_u32 s5, s3, s10
	s_add_i32 s5, s5, s4
	s_mul_i32 s4, s3, s10
	s_lshl_b64 s[4:5], s[4:5], 3
	s_add_u32 s4, s8, s4
	s_mul_i32 s6, s3, s15
	s_mul_hi_u32 s7, s3, s14
	s_addc_u32 s5, s9, s5
	s_add_i32 s7, s7, s6
	s_mul_i32 s6, s3, s14
	s_load_dwordx2 s[8:9], s[4:5], 0x0
	s_lshl_b64 s[4:5], s[6:7], 3
	s_add_u32 s4, s12, s4
	s_addc_u32 s5, s13, s5
	s_load_dwordx2 s[10:11], s[4:5], 0x0
	s_waitcnt lgkmcnt(0)
	s_or_b32 s4, s8, s9
	s_bitset0_b32 s4, 31
	s_cmp_eq_u32 s4, 0
	s_cselect_b64 s[16:17], -1, 0
	v_cmp_eq_f32_e64 s[4:5], s10, 1.0
	v_cmp_eq_f32_e64 s[6:7], s11, 0
	s_and_b64 s[4:5], s[4:5], s[6:7]
	s_and_b64 s[4:5], s[16:17], s[4:5]
	s_and_b64 vcc, exec, s[4:5]
	s_cbranch_vccnz .LBB9_17
; %bb.1:
	s_load_dwordx2 s[12:13], s[0:1], 0x40
	s_load_dwordx4 s[4:7], s[0:1], 0x30
	s_load_dwordx2 s[18:19], s[0:1], 0x28
	s_load_dword s14, s[0:1], 0x0
	v_lshl_or_b32 v8, s2, 6, v0
	s_waitcnt lgkmcnt(0)
	s_mul_i32 s13, s3, s13
	s_mul_hi_u32 s15, s3, s12
	s_add_i32 s13, s15, s13
	s_mul_i32 s12, s3, s12
	s_lshl_b64 s[12:13], s[12:13], 3
	s_add_u32 s12, s18, s12
	s_addc_u32 s13, s19, s13
	s_lshl_b64 s[4:5], s[4:5], 3
	s_add_u32 s12, s12, s4
	s_addc_u32 s13, s13, s5
	s_mov_b64 s[18:19], -1
	s_andn2_b64 vcc, exec, s[16:17]
	v_cmp_gt_i32_e64 s[4:5], s14, v8
	s_cbranch_vccnz .LBB9_7
; %bb.2:
	s_and_saveexec_b64 s[16:17], s[4:5]
	s_cbranch_execz .LBB9_6
; %bb.3:
	v_ashrrev_i32_e32 v0, 31, v8
	v_cmp_neq_f32_e64 s[4:5], s10, 0
	v_cmp_neq_f32_e64 s[18:19], s11, 0
	v_mul_lo_u32 v2, v8, s7
	v_mul_lo_u32 v3, v0, s6
	v_mad_u64_u32 v[0:1], s[20:21], v8, s6, 0
	v_add3_u32 v1, v1, v2, v3
	s_or_b64 s[4:5], s[4:5], s[18:19]
	s_andn2_b64 vcc, exec, s[4:5]
	v_mov_b32_e32 v2, 0
	v_lshl_add_u64 v[0:1], v[0:1], 3, s[12:13]
	v_mov_b32_e32 v3, 0
	s_cbranch_vccnz .LBB9_5
; %bb.4:
	global_load_dwordx2 v[4:5], v[0:1], off
	s_waitcnt vmcnt(0)
	v_pk_mul_f32 v[6:7], v[4:5], s[10:11] op_sel:[1,0]
	s_nop 0
	v_pk_fma_f32 v[2:3], v[4:5], s[10:11], v[6:7] op_sel:[0,0,1] op_sel_hi:[1,1,0] neg_lo:[0,0,1] neg_hi:[0,0,1]
	v_pk_fma_f32 v[4:5], v[4:5], s[10:11], v[6:7] op_sel:[0,0,1] op_sel_hi:[0,1,0]
	v_mov_b32_e32 v3, v5
.LBB9_5:
	global_store_dwordx2 v[0:1], v[2:3], off
.LBB9_6:
	s_or_b64 exec, exec, s[16:17]
	s_mov_b64 s[18:19], 0
.LBB9_7:
	s_andn2_b64 vcc, exec, s[18:19]
	s_cbranch_vccnz .LBB9_17
; %bb.8:
	v_cmp_gt_i32_e32 vcc, s14, v8
	s_and_saveexec_b64 s[4:5], vcc
	s_cbranch_execz .LBB9_17
; %bb.9:
	s_load_dword s4, s[0:1], 0x58
	v_mov_b32_e32 v1, 0
	v_mov_b32_e32 v0, v1
	s_waitcnt lgkmcnt(0)
	s_cmp_ge_i32 s2, s4
	s_cbranch_scc1 .LBB9_12
; %bb.10:
	s_ashr_i32 s15, s14, 31
	s_mul_i32 s5, s2, s14
	s_load_dwordx2 s[0:1], s[0:1], 0x48
	v_add_u32_e32 v0, s5, v8
	s_mul_hi_u32 s5, s14, s3
	s_mul_i32 s16, s15, s3
	s_add_i32 s5, s5, s16
	s_mul_i32 s3, s14, s3
	s_mul_i32 s5, s5, s4
	s_mul_hi_u32 s16, s3, s4
	s_add_i32 s17, s16, s5
	s_mul_i32 s16, s3, s4
	s_lshl_b64 s[16:17], s[16:17], 3
	s_waitcnt lgkmcnt(0)
	s_add_u32 s0, s0, s16
	v_ashrrev_i32_e32 v1, 31, v0
	s_addc_u32 s1, s1, s17
	v_lshl_add_u64 v[2:3], v[0:1], 3, s[0:1]
	v_mov_b32_e32 v0, 0
	s_lshl_b64 s[0:1], s[14:15], 3
	v_mov_b32_e32 v1, v0
.LBB9_11:                               ; =>This Inner Loop Header: Depth=1
	global_load_dwordx2 v[4:5], v[2:3], off
	s_add_i32 s2, s2, 1
	v_lshl_add_u64 v[2:3], v[2:3], 0, s[0:1]
	s_cmp_ge_i32 s2, s4
	s_waitcnt vmcnt(0)
	v_pk_add_f32 v[0:1], v[0:1], v[4:5]
	s_cbranch_scc0 .LBB9_11
.LBB9_12:
	v_cmp_neq_f32_e64 s[0:1], s10, 0
	v_cmp_neq_f32_e64 s[2:3], s11, 0
	s_or_b64 s[0:1], s[0:1], s[2:3]
	v_pk_mul_f32 v[6:7], v[0:1], s[8:9] op_sel:[1,0]
	v_ashrrev_i32_e32 v4, 31, v8
	s_andn2_b64 vcc, exec, s[0:1]
	v_pk_fma_f32 v[2:3], v[0:1], s[8:9], v[6:7] op_sel:[0,0,1] op_sel_hi:[0,1,0]
	v_mul_lo_u32 v9, v8, s7
	v_mul_lo_u32 v10, v4, s6
	s_cbranch_vccz .LBB9_14
; %bb.13:
	v_pk_mul_f32 v[12:13], v[0:1], s[8:9] op_sel_hi:[0,1]
	v_mad_u64_u32 v[4:5], s[0:1], v8, s6, 0
	v_add3_u32 v5, v5, v9, v10
	v_sub_f32_e32 v2, v12, v7
	s_cbranch_execz .LBB9_15
	s_branch .LBB9_16
.LBB9_14:
                                        ; implicit-def: $vgpr4_vgpr5
.LBB9_15:
	v_mad_u64_u32 v[4:5], s[0:1], v8, s6, 0
	v_add3_u32 v5, v5, v9, v10
	v_lshl_add_u64 v[8:9], v[4:5], 3, s[12:13]
	global_load_dwordx2 v[8:9], v[8:9], off
	v_pk_fma_f32 v[0:1], v[0:1], s[8:9], v[6:7] op_sel:[0,0,1] op_sel_hi:[1,1,0] neg_lo:[0,0,1] neg_hi:[0,0,1]
	s_waitcnt vmcnt(0)
	v_pk_mul_f32 v[6:7], v[8:9], s[10:11] op_sel:[1,0]
	s_nop 0
	v_pk_fma_f32 v[10:11], v[8:9], s[10:11], v[6:7] op_sel:[0,0,1] op_sel_hi:[1,1,0] neg_lo:[0,0,1] neg_hi:[0,0,1]
	v_pk_fma_f32 v[6:7], v[8:9], s[10:11], v[6:7] op_sel:[0,0,1] op_sel_hi:[0,1,0]
	v_mov_b32_e32 v11, v7
	v_mov_b32_e32 v1, v3
	v_pk_add_f32 v[2:3], v[0:1], v[10:11]
.LBB9_16:
	v_lshl_add_u64 v[0:1], v[4:5], 3, s[12:13]
	global_store_dwordx2 v[0:1], v[2:3], off
.LBB9_17:
	s_endpgm
	.section	.rodata,"a",@progbits
	.p2align	6, 0x0
	.amdhsa_kernel _ZL36rocblas_hemvn_kernel_lower_block_sumILi64ElPK19rocblas_complex_numIfEPS1_S1_EviT1_lS5_lT2_lT0_lPT3_i
		.amdhsa_group_segment_fixed_size 0
		.amdhsa_private_segment_fixed_size 0
		.amdhsa_kernarg_size 344
		.amdhsa_user_sgpr_count 2
		.amdhsa_user_sgpr_dispatch_ptr 0
		.amdhsa_user_sgpr_queue_ptr 0
		.amdhsa_user_sgpr_kernarg_segment_ptr 1
		.amdhsa_user_sgpr_dispatch_id 0
		.amdhsa_user_sgpr_kernarg_preload_length 0
		.amdhsa_user_sgpr_kernarg_preload_offset 0
		.amdhsa_user_sgpr_private_segment_size 0
		.amdhsa_uses_dynamic_stack 0
		.amdhsa_enable_private_segment 0
		.amdhsa_system_sgpr_workgroup_id_x 1
		.amdhsa_system_sgpr_workgroup_id_y 0
		.amdhsa_system_sgpr_workgroup_id_z 1
		.amdhsa_system_sgpr_workgroup_info 0
		.amdhsa_system_vgpr_workitem_id 0
		.amdhsa_next_free_vgpr 14
		.amdhsa_next_free_sgpr 22
		.amdhsa_accum_offset 16
		.amdhsa_reserve_vcc 1
		.amdhsa_float_round_mode_32 0
		.amdhsa_float_round_mode_16_64 0
		.amdhsa_float_denorm_mode_32 3
		.amdhsa_float_denorm_mode_16_64 3
		.amdhsa_dx10_clamp 1
		.amdhsa_ieee_mode 1
		.amdhsa_fp16_overflow 0
		.amdhsa_tg_split 0
		.amdhsa_exception_fp_ieee_invalid_op 0
		.amdhsa_exception_fp_denorm_src 0
		.amdhsa_exception_fp_ieee_div_zero 0
		.amdhsa_exception_fp_ieee_overflow 0
		.amdhsa_exception_fp_ieee_underflow 0
		.amdhsa_exception_fp_ieee_inexact 0
		.amdhsa_exception_int_div_zero 0
	.end_amdhsa_kernel
	.section	.text._ZL36rocblas_hemvn_kernel_lower_block_sumILi64ElPK19rocblas_complex_numIfEPS1_S1_EviT1_lS5_lT2_lT0_lPT3_i,"axG",@progbits,_ZL36rocblas_hemvn_kernel_lower_block_sumILi64ElPK19rocblas_complex_numIfEPS1_S1_EviT1_lS5_lT2_lT0_lPT3_i,comdat
.Lfunc_end9:
	.size	_ZL36rocblas_hemvn_kernel_lower_block_sumILi64ElPK19rocblas_complex_numIfEPS1_S1_EviT1_lS5_lT2_lT0_lPT3_i, .Lfunc_end9-_ZL36rocblas_hemvn_kernel_lower_block_sumILi64ElPK19rocblas_complex_numIfEPS1_S1_EviT1_lS5_lT2_lT0_lPT3_i
                                        ; -- End function
	.section	.AMDGPU.csdata,"",@progbits
; Kernel info:
; codeLenInByte = 776
; NumSgprs: 28
; NumVgprs: 14
; NumAgprs: 0
; TotalNumVgprs: 14
; ScratchSize: 0
; MemoryBound: 0
; FloatMode: 240
; IeeeMode: 1
; LDSByteSize: 0 bytes/workgroup (compile time only)
; SGPRBlocks: 3
; VGPRBlocks: 1
; NumSGPRsForWavesPerEU: 28
; NumVGPRsForWavesPerEU: 14
; AccumOffset: 16
; Occupancy: 8
; WaveLimiterHint : 0
; COMPUTE_PGM_RSRC2:SCRATCH_EN: 0
; COMPUTE_PGM_RSRC2:USER_SGPR: 2
; COMPUTE_PGM_RSRC2:TRAP_HANDLER: 0
; COMPUTE_PGM_RSRC2:TGID_X_EN: 1
; COMPUTE_PGM_RSRC2:TGID_Y_EN: 0
; COMPUTE_PGM_RSRC2:TGID_Z_EN: 1
; COMPUTE_PGM_RSRC2:TIDIG_COMP_CNT: 0
; COMPUTE_PGM_RSRC3_GFX90A:ACCUM_OFFSET: 3
; COMPUTE_PGM_RSRC3_GFX90A:TG_SPLIT: 0
	.section	.text._ZL26rocblas_hemvn_kernel_lowerILb1ELi64ELi4ELi33ELi32ELi16EiPK19rocblas_complex_numIfES3_PS1_EviT6_lT7_lT5_lS6_lS7_lS5_lT8_i,"axG",@progbits,_ZL26rocblas_hemvn_kernel_lowerILb1ELi64ELi4ELi33ELi32ELi16EiPK19rocblas_complex_numIfES3_PS1_EviT6_lT7_lT5_lS6_lS7_lS5_lT8_i,comdat
	.globl	_ZL26rocblas_hemvn_kernel_lowerILb1ELi64ELi4ELi33ELi32ELi16EiPK19rocblas_complex_numIfES3_PS1_EviT6_lT7_lT5_lS6_lS7_lS5_lT8_i ; -- Begin function _ZL26rocblas_hemvn_kernel_lowerILb1ELi64ELi4ELi33ELi32ELi16EiPK19rocblas_complex_numIfES3_PS1_EviT6_lT7_lT5_lS6_lS7_lS5_lT8_i
	.p2align	8
	.type	_ZL26rocblas_hemvn_kernel_lowerILb1ELi64ELi4ELi33ELi32ELi16EiPK19rocblas_complex_numIfES3_PS1_EviT6_lT7_lT5_lS6_lS7_lS5_lT8_i,@function
_ZL26rocblas_hemvn_kernel_lowerILb1ELi64ELi4ELi33ELi32ELi16EiPK19rocblas_complex_numIfES3_PS1_EviT6_lT7_lT5_lS6_lS7_lS5_lT8_i: ; @_ZL26rocblas_hemvn_kernel_lowerILb1ELi64ELi4ELi33ELi32ELi16EiPK19rocblas_complex_numIfES3_PS1_EviT6_lT7_lT5_lS6_lS7_lS5_lT8_i
; %bb.0:
	s_load_dwordx2 s[4:5], s[0:1], 0x84
	s_add_u32 s12, s0, 0x78
	s_addc_u32 s13, s1, 0
	s_waitcnt lgkmcnt(0)
	s_lshr_b32 s6, s4, 16
	s_and_b32 s4, s4, 0xffff
	s_and_b32 s5, s5, 0xffff
	s_mul_i32 s4, s6, s4
	s_mul_i32 s4, s4, s5
	s_cmpk_lg_i32 s4, 0x100
	s_cbranch_scc1 .LBB10_129
; %bb.1:
	s_load_dwordx8 s[4:11], s[0:1], 0x8
	s_waitcnt lgkmcnt(0)
	s_mul_i32 s7, s3, s7
	s_mul_hi_u32 s14, s3, s6
	s_mul_i32 s6, s3, s6
	s_add_i32 s7, s14, s7
	s_lshl_b64 s[6:7], s[6:7], 3
	s_add_u32 s4, s4, s6
	s_addc_u32 s5, s5, s7
	s_load_dwordx2 s[6:7], s[4:5], 0x0
	s_load_dwordx8 s[16:23], s[0:1], 0x50
	s_waitcnt lgkmcnt(0)
	s_or_b32 s4, s6, s7
	s_bitset0_b32 s4, 31
	s_cmp_lg_u32 s4, 0
	s_cselect_b64 s[4:5], -1, 0
	s_mov_b64 s[6:7], -1
	s_and_b64 vcc, exec, s[4:5]
	s_cbranch_vccnz .LBB10_3
; %bb.2:
	s_mul_i32 s6, s3, s21
	s_mul_hi_u32 s7, s3, s20
	s_add_i32 s7, s7, s6
	s_mul_i32 s6, s3, s20
	s_lshl_b64 s[6:7], s[6:7], 3
	s_add_u32 s6, s18, s6
	s_addc_u32 s7, s19, s7
	s_load_dwordx2 s[6:7], s[6:7], 0x0
	s_waitcnt lgkmcnt(0)
	v_cmp_neq_f32_e64 s[14:15], s6, 1.0
	v_cmp_neq_f32_e64 s[6:7], s7, 0
	s_or_b64 s[6:7], s[14:15], s[6:7]
.LBB10_3:
	s_andn2_b64 vcc, exec, s[6:7]
	s_cbranch_vccnz .LBB10_129
; %bb.4:
	s_andn2_b64 vcc, exec, s[4:5]
	s_cbranch_vccnz .LBB10_129
; %bb.5:
	s_load_dword s39, s[12:13], 0x0
	s_load_dword s38, s[0:1], 0x0
	s_load_dwordx4 s[4:7], s[0:1], 0x30
	s_load_dwordx2 s[14:15], s[0:1], 0x40
	s_load_dword s33, s[0:1], 0x48
	s_mul_i32 s12, s3, s17
	s_mul_hi_u32 s13, s3, s16
	s_add_i32 s13, s13, s12
	s_mul_i32 s12, s3, s16
	s_lshl_b64 s[12:13], s[12:13], 3
	s_waitcnt lgkmcnt(0)
	s_add_u32 s12, s6, s12
	s_addc_u32 s13, s7, s13
	s_lshl_b64 s[6:7], s[14:15], 3
	s_add_u32 s6, s12, s6
	s_addc_u32 s7, s13, s7
	s_ashr_i32 s40, s38, 31
	s_lshr_b32 s13, s40, 26
	v_and_b32_e32 v26, 0x3ff, v0
	s_lshl_b32 s26, s2, 6
	s_add_i32 s13, s38, s13
	s_andn2_b32 s13, s13, 63
	v_add_u32_e32 v16, s26, v26
	v_bfe_u32 v17, v0, 10, 10
	s_add_i32 s12, s39, -1
	s_sub_i32 s13, s38, s13
	v_mul_lo_u32 v0, v16, s33
	s_cmp_eq_u32 s2, s12
	v_ashrrev_i32_e32 v1, 31, v0
	s_cselect_b32 s24, s13, 0
	v_lshl_add_u64 v[20:21], v[0:1], 3, s[6:7]
	v_cmp_ne_u32_e64 s[16:17], 0, v17
	v_cmp_eq_u32_e64 s[18:19], 0, v17
	s_and_saveexec_b64 s[6:7], s[18:19]
	s_cbranch_execz .LBB10_10
; %bb.6:
	s_cmp_lg_u32 s24, 0
	s_cselect_b64 s[12:13], -1, 0
	v_cmp_le_i32_e32 vcc, s24, v26
	v_mov_b32_e32 v0, 0x2380
	s_and_b64 s[12:13], s[12:13], vcc
	v_lshl_add_u32 v0, v26, 3, v0
	s_and_saveexec_b64 s[14:15], s[12:13]
	s_xor_b64 s[12:13], exec, s[14:15]
	s_cbranch_execz .LBB10_8
; %bb.7:
	v_mov_b32_e32 v2, 0
	v_mov_b32_e32 v3, v2
	ds_write_b64 v0, v[2:3]
                                        ; implicit-def: $vgpr0
.LBB10_8:
	s_andn2_saveexec_b64 s[12:13], s[12:13]
	s_cbranch_execz .LBB10_10
; %bb.9:
	global_load_dwordx2 v[2:3], v[20:21], off
	s_waitcnt vmcnt(0)
	ds_write_b64 v0, v[2:3]
.LBB10_10:
	s_or_b64 exec, exec, s[6:7]
	s_mul_i32 s5, s3, s5
	s_mul_hi_u32 s6, s3, s4
	s_add_i32 s5, s6, s5
	s_mul_i32 s4, s3, s4
	s_lshl_b64 s[4:5], s[4:5], 3
	s_add_u32 s6, s8, s4
	s_addc_u32 s7, s9, s5
	s_lshl_b64 s[4:5], s[10:11], 3
	s_load_dword s20, s[0:1], 0x28
	s_add_u32 s4, s6, s4
	s_addc_u32 s5, s7, s5
	s_ashr_i32 s27, s26, 31
	v_lshl_add_u32 v27, v17, 6, v26
	s_lshl_b64 s[0:1], s[26:27], 3
	v_and_b32_e32 v0, 31, v26
	v_lshrrev_b32_e32 v1, 5, v27
	s_add_u32 s4, s4, s0
	s_addc_u32 s5, s5, s1
	s_waitcnt lgkmcnt(0)
	v_mad_u64_u32 v[22:23], s[0:1], v1, s20, v[0:1]
	s_mul_i32 s0, s26, s20
	s_ashr_i32 s1, s0, 31
	s_lshl_b64 s[28:29], s[0:1], 3
	s_add_u32 s0, s28, s4
	s_addc_u32 s1, s29, s5
	s_cmp_lg_u32 s24, 0
	v_ashrrev_i32_e32 v23, 31, v22
	s_cselect_b64 s[30:31], -1, 0
	s_cmp_eq_u32 s24, 0
	v_lshl_add_u64 v[2:3], v[22:23], 3, s[0:1]
	s_cselect_b64 s[34:35], -1, 0
	s_and_b64 vcc, exec, s[30:31]
	s_cbranch_vccnz .LBB10_12
; %bb.11:
	s_lshl_b32 s0, s20, 3
	s_ashr_i32 s1, s0, 31
	s_ashr_i32 s21, s20, 31
	global_load_dwordx2 v[4:5], v[2:3], off
	v_lshl_add_u64 v[6:7], s[0:1], 3, v[2:3]
	global_load_dwordx2 v[8:9], v[6:7], off
	s_lshl_b64 s[0:1], s[20:21], 6
	v_lshl_add_u64 v[6:7], v[6:7], 0, s[0:1]
	global_load_dwordx2 v[10:11], v[6:7], off
	v_lshl_add_u64 v[6:7], v[6:7], 0, s[0:1]
	global_load_dwordx2 v[6:7], v[6:7], off
	v_mul_u32_u24_e32 v12, 33, v1
	v_add_lshl_u32 v12, v12, v0, 3
	s_waitcnt vmcnt(3)
	ds_write_b64 v12, v[4:5]
	s_waitcnt vmcnt(2)
	ds_write_b64 v12, v[8:9] offset:2112
	s_waitcnt vmcnt(1)
	ds_write_b64 v12, v[10:11] offset:4224
	;; [unrolled: 2-line block ×3, first 2 shown]
	s_cbranch_execz .LBB10_13
	s_branch .LBB10_28
.LBB10_12:
.LBB10_13:
	v_lshlrev_b32_e32 v4, 3, v0
	v_sub_co_u32_e32 v6, vcc, v2, v4
	s_ashr_i32 s25, s24, 31
	s_nop 0
	v_subbrev_co_u32_e32 v7, vcc, 0, v3, vcc
	v_lshl_add_u64 v[6:7], s[24:25], 3, v[6:7]
	v_lshl_add_u64 v[6:7], v[6:7], 0, -8
	v_cmp_gt_i32_e32 vcc, s24, v0
	v_mov_b32_e32 v8, 0
	v_cmp_gt_i32_e64 s[0:1], s24, v1
	v_cndmask_b32_e32 v7, v7, v3, vcc
	v_cndmask_b32_e32 v6, v6, v2, vcc
	v_mov_b32_e32 v9, v8
	s_and_saveexec_b64 s[4:5], s[0:1]
	s_cbranch_execz .LBB10_15
; %bb.14:
	global_load_dwordx2 v[8:9], v[6:7], off
.LBB10_15:
	s_or_b64 exec, exec, s[4:5]
	v_mul_u32_u24_e32 v5, 33, v1
	v_add_lshl_u32 v5, v5, v0, 3
	s_waitcnt vmcnt(0)
	ds_write_b64 v5, v[8:9]
	v_add_u32_e32 v8, 8, v1
	v_cmp_le_i32_e64 s[0:1], s24, v8
	s_and_saveexec_b64 s[4:5], s[0:1]
	s_xor_b64 s[0:1], exec, s[4:5]
	s_cbranch_execz .LBB10_17
; %bb.16:
	v_mul_u32_u24_e32 v8, 33, v8
	v_add_lshl_u32 v10, v8, v0, 3
	v_mov_b32_e32 v8, 0
	v_mov_b32_e32 v9, v8
	ds_write_b64 v10, v[8:9]
.LBB10_17:
	s_andn2_saveexec_b64 s[0:1], s[0:1]
	s_cbranch_execz .LBB10_19
; %bb.18:
	s_lshl_b32 s4, s20, 3
	s_ashr_i32 s5, s4, 31
	v_lshl_add_u64 v[8:9], s[4:5], 3, v[6:7]
	global_load_dwordx2 v[8:9], v[8:9], off
	s_waitcnt vmcnt(0)
	ds_write_b64 v5, v[8:9] offset:2112
.LBB10_19:
	s_or_b64 exec, exec, s[0:1]
	v_add_u32_e32 v8, 16, v1
	v_cmp_le_i32_e64 s[0:1], s24, v8
	s_and_saveexec_b64 s[4:5], s[0:1]
	s_xor_b64 s[0:1], exec, s[4:5]
	s_cbranch_execz .LBB10_21
; %bb.20:
	v_mov_b32_e32 v8, 0
	v_mov_b32_e32 v9, v8
	ds_write_b64 v5, v[8:9] offset:4224
.LBB10_21:
	s_andn2_saveexec_b64 s[0:1], s[0:1]
	s_cbranch_execz .LBB10_23
; %bb.22:
	s_lshl_b32 s4, s20, 4
	s_ashr_i32 s5, s4, 31
	v_lshl_add_u64 v[8:9], s[4:5], 3, v[6:7]
	global_load_dwordx2 v[8:9], v[8:9], off
	s_waitcnt vmcnt(0)
	ds_write_b64 v5, v[8:9] offset:4224
.LBB10_23:
	s_or_b64 exec, exec, s[0:1]
	v_add_u32_e32 v8, 24, v1
	v_cmp_le_i32_e64 s[0:1], s24, v8
	s_and_saveexec_b64 s[4:5], s[0:1]
	s_xor_b64 s[0:1], exec, s[4:5]
	s_cbranch_execz .LBB10_25
; %bb.24:
	v_mov_b32_e32 v8, 0
	v_mov_b32_e32 v9, v8
	ds_write_b64 v5, v[8:9] offset:6336
                                        ; implicit-def: $vgpr5
.LBB10_25:
	s_andn2_saveexec_b64 s[0:1], s[0:1]
	s_cbranch_execz .LBB10_27
; %bb.26:
	s_mul_i32 s4, s20, 24
	s_ashr_i32 s5, s4, 31
	v_lshl_add_u64 v[8:9], s[4:5], 3, v[6:7]
	global_load_dwordx2 v[8:9], v[8:9], off
	s_waitcnt vmcnt(0)
	ds_write_b64 v5, v[8:9] offset:6336
.LBB10_27:
	s_or_b64 exec, exec, s[0:1]
	v_mov_b32_e32 v5, 0
	v_lshl_add_u64 v[4:5], v[6:7], 0, v[4:5]
	s_lshl_b64 s[0:1], s[24:25], 3
	v_mov_b32_e32 v6, s1
	v_subrev_co_u32_e64 v4, s[0:1], s0, v4
	s_nop 1
	v_subb_co_u32_e64 v5, s[0:1], v5, v6, s[0:1]
	v_lshl_add_u64 v[4:5], v[4:5], 0, 8
	v_cndmask_b32_e32 v3, v5, v3, vcc
	v_cndmask_b32_e32 v2, v4, v2, vcc
.LBB10_28:
	v_lshlrev_b32_e32 v10, 2, v1
	v_cmp_ge_u32_e64 s[6:7], v10, v0
	s_waitcnt lgkmcnt(0)
	s_barrier
	s_and_saveexec_b64 s[0:1], s[6:7]
	s_xor_b64 s[0:1], exec, s[0:1]
	s_cbranch_execz .LBB10_32
; %bb.29:
	v_cmp_eq_u32_e32 vcc, v10, v0
	s_and_saveexec_b64 s[4:5], vcc
	s_cbranch_execz .LBB10_31
; %bb.30:
	v_mul_u32_u24_e32 v4, 34, v0
	v_lshlrev_b32_e32 v4, 3, v4
	v_mov_b32_e32 v5, 0
	ds_write_b32 v4, v5 offset:4
.LBB10_31:
	s_or_b64 exec, exec, s[4:5]
.LBB10_32:
	s_or_saveexec_b64 s[0:1], s[0:1]
	v_mul_u32_u24_e32 v28, 33, v0
	v_add_lshl_u32 v12, v10, v28, 3
	s_xor_b64 exec, exec, s[0:1]
	s_cbranch_execz .LBB10_34
; %bb.33:
	v_mul_u32_u24_e32 v4, 0x84, v1
	v_add_lshl_u32 v4, v4, v0, 3
	ds_read_b64 v[4:5], v4
	s_waitcnt lgkmcnt(0)
	v_xor_b32_e32 v5, 0x80000000, v5
	ds_write_b64 v12, v[4:5]
.LBB10_34:
	s_or_b64 exec, exec, s[0:1]
	v_or_b32_e32 v11, 1, v10
	v_cmp_ge_u32_e64 s[8:9], v11, v0
	s_and_saveexec_b64 s[0:1], s[8:9]
	s_xor_b64 s[0:1], exec, s[0:1]
	s_cbranch_execz .LBB10_38
; %bb.35:
	v_cmp_eq_u32_e32 vcc, v11, v0
	s_and_saveexec_b64 s[4:5], vcc
	s_cbranch_execz .LBB10_37
; %bb.36:
	v_mul_u32_u24_e32 v4, 34, v0
	v_lshlrev_b32_e32 v4, 3, v4
	v_mov_b32_e32 v5, 0
	ds_write_b32 v4, v5 offset:4
.LBB10_37:
	s_or_b64 exec, exec, s[4:5]
.LBB10_38:
	s_or_saveexec_b64 s[0:1], s[0:1]
	v_mul_u32_u24_e32 v4, 33, v11
	s_xor_b64 exec, exec, s[0:1]
	s_cbranch_execz .LBB10_40
; %bb.39:
	v_add_lshl_u32 v5, v4, v0, 3
	ds_read_b64 v[6:7], v5
	s_waitcnt lgkmcnt(0)
	v_xor_b32_e32 v7, 0x80000000, v7
	ds_write_b64 v12, v[6:7] offset:8
.LBB10_40:
	s_or_b64 exec, exec, s[0:1]
	v_or_b32_e32 v13, 2, v10
	v_cmp_ge_u32_e64 s[10:11], v13, v0
	s_and_saveexec_b64 s[0:1], s[10:11]
	s_xor_b64 s[0:1], exec, s[0:1]
	s_cbranch_execz .LBB10_44
; %bb.41:
	v_cmp_eq_u32_e32 vcc, v13, v0
	s_and_saveexec_b64 s[4:5], vcc
	s_cbranch_execz .LBB10_43
; %bb.42:
	v_mul_u32_u24_e32 v5, 34, v0
	v_lshlrev_b32_e32 v5, 3, v5
	v_mov_b32_e32 v6, 0
	ds_write_b32 v5, v6 offset:4
.LBB10_43:
	s_or_b64 exec, exec, s[4:5]
.LBB10_44:
	s_andn2_saveexec_b64 s[0:1], s[0:1]
	s_cbranch_execz .LBB10_46
; %bb.45:
	v_mul_u32_u24_e32 v5, 33, v13
	v_add_lshl_u32 v5, v5, v0, 3
	ds_read_b64 v[6:7], v5
	s_waitcnt lgkmcnt(0)
	v_xor_b32_e32 v7, 0x80000000, v7
	ds_write_b64 v12, v[6:7] offset:16
.LBB10_46:
	s_or_b64 exec, exec, s[0:1]
	v_or_b32_e32 v14, 3, v10
	v_cmp_ge_u32_e64 s[12:13], v14, v0
	s_and_saveexec_b64 s[0:1], s[12:13]
	s_xor_b64 s[0:1], exec, s[0:1]
	s_cbranch_execz .LBB10_50
; %bb.47:
	v_cmp_eq_u32_e32 vcc, v14, v0
	s_and_saveexec_b64 s[4:5], vcc
	s_cbranch_execz .LBB10_49
; %bb.48:
	v_mul_u32_u24_e32 v5, 34, v0
	v_lshlrev_b32_e32 v5, 3, v5
	v_mov_b32_e32 v6, 0
	ds_write_b32 v5, v6 offset:4
.LBB10_49:
	s_or_b64 exec, exec, s[4:5]
.LBB10_50:
	s_andn2_saveexec_b64 s[0:1], s[0:1]
	s_cbranch_execz .LBB10_52
; %bb.51:
	v_mul_u32_u24_e32 v5, 33, v14
	v_add_lshl_u32 v5, v5, v0, 3
	ds_read_b64 v[6:7], v5
	s_waitcnt lgkmcnt(0)
	v_xor_b32_e32 v7, 0x80000000, v7
	ds_write_b64 v12, v[6:7] offset:24
.LBB10_52:
	s_or_b64 exec, exec, s[0:1]
	v_mul_u32_u24_e32 v5, 0x84, v1
	v_lshlrev_b32_e32 v25, 3, v10
	s_waitcnt lgkmcnt(0)
	s_barrier
	v_add_lshl_u32 v24, v5, v0, 3
	v_add_lshl_u32 v15, v4, v0, 3
	ds_read_b128 v[4:7], v25 offset:9088
	ds_read_b64 v[8:9], v24
	ds_read2_b64 v[30:33], v15 offset1:33
	ds_read_b64 v[18:19], v15 offset:528
	ds_read_b128 v[34:37], v25 offset:9104
	s_mov_b32 s0, 0
	s_waitcnt lgkmcnt(3)
	v_pk_mul_f32 v[38:39], v[4:5], v[8:9] op_sel:[0,1]
	s_mov_b32 s1, s0
	v_pk_fma_f32 v[40:41], v[4:5], v[8:9], v[38:39] op_sel:[0,0,1] op_sel_hi:[1,1,0] neg_lo:[0,0,1] neg_hi:[0,0,1]
	v_pk_fma_f32 v[4:5], v[4:5], v[8:9], v[38:39] op_sel:[0,0,1] op_sel_hi:[1,0,0]
	s_waitcnt lgkmcnt(2)
	v_pk_mul_f32 v[8:9], v[6:7], v[30:31] op_sel:[0,1]
	v_mov_b32_e32 v41, v5
	v_pk_fma_f32 v[38:39], v[6:7], v[30:31], v[8:9] op_sel:[0,0,1] op_sel_hi:[1,1,0] neg_lo:[0,0,1] neg_hi:[0,0,1]
	v_pk_fma_f32 v[6:7], v[6:7], v[30:31], v[8:9] op_sel:[0,0,1] op_sel_hi:[1,0,0]
	v_pk_add_f32 v[4:5], v[40:41], 0 op_sel_hi:[1,0]
	v_mov_b32_e32 v39, v7
	s_waitcnt lgkmcnt(0)
	v_pk_mul_f32 v[6:7], v[34:35], v[32:33] op_sel:[0,1]
	v_pk_add_f32 v[4:5], v[4:5], v[38:39]
	v_pk_fma_f32 v[8:9], v[34:35], v[32:33], v[6:7] op_sel:[0,0,1] op_sel_hi:[1,1,0] neg_lo:[0,0,1] neg_hi:[0,0,1]
	v_pk_fma_f32 v[6:7], v[34:35], v[32:33], v[6:7] op_sel:[0,0,1] op_sel_hi:[1,0,0]
	v_add_lshl_u32 v29, v1, v28, 3
	v_mov_b32_e32 v9, v7
	v_pk_mul_f32 v[6:7], v[36:37], v[18:19] op_sel:[0,1]
	v_pk_add_f32 v[4:5], v[4:5], v[8:9]
	v_pk_fma_f32 v[8:9], v[36:37], v[18:19], v[6:7] op_sel:[0,0,1] op_sel_hi:[1,1,0] neg_lo:[0,0,1] neg_hi:[0,0,1]
	v_pk_fma_f32 v[6:7], v[36:37], v[18:19], v[6:7] op_sel:[0,0,1] op_sel_hi:[1,0,0]
	v_cmp_gt_u32_e64 s[4:5], 32, v27
	v_mov_b32_e32 v9, v7
	v_pk_add_f32 v[4:5], v[4:5], v[8:9]
	v_mov_b64_e32 v[18:19], s[0:1]
	s_barrier
	ds_write_b64 v29, v[4:5]
	s_waitcnt lgkmcnt(0)
	s_barrier
	s_and_saveexec_b64 s[0:1], s[4:5]
	s_cbranch_execz .LBB10_54
; %bb.53:
	v_lshlrev_b32_e32 v8, 3, v28
	ds_read2_b64 v[4:7], v8 offset1:7
	ds_read2_b64 v[30:33], v8 offset0:1 offset1:2
	ds_read2_b64 v[34:37], v8 offset0:3 offset1:4
	s_waitcnt lgkmcnt(1)
	v_add_f32_e32 v4, v30, v4
	v_add_f32_e32 v5, v31, v5
	;; [unrolled: 1-line block ×4, first 2 shown]
	ds_read2_b64 v[30:33], v8 offset0:5 offset1:6
	s_waitcnt lgkmcnt(1)
	v_add_f32_e32 v4, v4, v34
	v_add_f32_e32 v5, v5, v35
	;; [unrolled: 1-line block ×4, first 2 shown]
	s_waitcnt lgkmcnt(0)
	v_add_f32_e32 v4, v4, v30
	v_add_f32_e32 v5, v5, v31
	;; [unrolled: 1-line block ×4, first 2 shown]
	v_pk_add_f32 v[18:19], v[4:5], v[6:7]
.LBB10_54:
	s_or_b64 exec, exec, s[0:1]
	s_lshl_b32 s36, s20, 5
	s_ashr_i32 s37, s36, 31
	v_lshl_add_u64 v[4:5], s[36:37], 3, v[2:3]
	s_mov_b64 s[0:1], 0x100
	v_cndmask_b32_e64 v2, 0, 1, s[34:35]
	v_cmp_ne_u32_e64 s[14:15], 1, v2
	s_andn2_b64 vcc, exec, s[34:35]
	v_lshl_add_u64 v[2:3], v[4:5], 0, s[0:1]
	s_barrier
	s_cbranch_vccnz .LBB10_56
; %bb.55:
	s_lshl_b32 s0, s20, 3
	s_ashr_i32 s1, s0, 31
	s_ashr_i32 s21, s20, 31
	v_lshl_add_u64 v[6:7], s[0:1], 3, v[4:5]
	s_lshl_b64 s[0:1], s[20:21], 6
	v_lshl_add_u64 v[8:9], v[6:7], 0, s[0:1]
	v_lshl_add_u64 v[30:31], v[8:9], 0, s[0:1]
	global_load_dwordx2 v[32:33], v[4:5], off offset:256
	global_load_dwordx2 v[34:35], v[6:7], off offset:256
	;; [unrolled: 1-line block ×4, first 2 shown]
	v_mul_u32_u24_e32 v4, 33, v1
	v_add_lshl_u32 v4, v4, v0, 3
	s_waitcnt vmcnt(3)
	ds_write_b64 v4, v[32:33]
	s_waitcnt vmcnt(2)
	ds_write_b64 v4, v[34:35] offset:2112
	s_waitcnt vmcnt(1)
	ds_write_b64 v4, v[36:37] offset:4224
	;; [unrolled: 2-line block ×3, first 2 shown]
	s_cbranch_execz .LBB10_57
	s_branch .LBB10_72
.LBB10_56:
.LBB10_57:
	v_lshlrev_b32_e32 v4, 3, v0
	v_sub_co_u32_e32 v6, vcc, v2, v4
	s_ashr_i32 s25, s24, 31
	s_nop 0
	v_subbrev_co_u32_e32 v7, vcc, 0, v3, vcc
	s_movk_i32 s0, 0xfef8
	v_or_b32_e32 v5, 32, v0
	v_lshl_add_u64 v[6:7], s[24:25], 3, v[6:7]
	s_mov_b32 s1, -1
	v_lshl_add_u64 v[6:7], v[6:7], 0, s[0:1]
	v_cmp_gt_i32_e32 vcc, s24, v5
	s_sub_i32 s21, s24, 32
	v_mov_b32_e32 v8, 0
	v_cndmask_b32_e32 v7, v7, v3, vcc
	v_cndmask_b32_e32 v6, v6, v2, vcc
	v_cmp_gt_i32_e64 s[0:1], s21, v1
	v_mov_b32_e32 v9, v8
	s_and_saveexec_b64 s[34:35], s[0:1]
	s_cbranch_execz .LBB10_59
; %bb.58:
	global_load_dwordx2 v[8:9], v[6:7], off
.LBB10_59:
	s_or_b64 exec, exec, s[34:35]
	v_mul_u32_u24_e32 v5, 33, v1
	v_add_lshl_u32 v5, v5, v0, 3
	s_waitcnt vmcnt(0)
	ds_write_b64 v5, v[8:9]
	v_add_u32_e32 v8, 8, v1
	v_cmp_le_i32_e64 s[0:1], s21, v8
	s_and_saveexec_b64 s[34:35], s[0:1]
	s_xor_b64 s[0:1], exec, s[34:35]
	s_cbranch_execz .LBB10_61
; %bb.60:
	v_mul_u32_u24_e32 v8, 33, v8
	v_add_lshl_u32 v30, v8, v0, 3
	v_mov_b32_e32 v8, 0
	v_mov_b32_e32 v9, v8
	ds_write_b64 v30, v[8:9]
.LBB10_61:
	s_andn2_saveexec_b64 s[0:1], s[0:1]
	s_cbranch_execz .LBB10_63
; %bb.62:
	s_lshl_b32 s34, s20, 3
	s_ashr_i32 s35, s34, 31
	v_lshl_add_u64 v[8:9], s[34:35], 3, v[6:7]
	global_load_dwordx2 v[8:9], v[8:9], off
	s_waitcnt vmcnt(0)
	ds_write_b64 v5, v[8:9] offset:2112
.LBB10_63:
	s_or_b64 exec, exec, s[0:1]
	v_add_u32_e32 v8, 16, v1
	v_cmp_le_i32_e64 s[0:1], s21, v8
	s_and_saveexec_b64 s[34:35], s[0:1]
	s_xor_b64 s[0:1], exec, s[34:35]
	s_cbranch_execz .LBB10_65
; %bb.64:
	v_mul_u32_u24_e32 v8, 33, v8
	v_add_lshl_u32 v30, v8, v0, 3
	v_mov_b32_e32 v8, 0
	v_mov_b32_e32 v9, v8
	ds_write_b64 v30, v[8:9]
.LBB10_65:
	s_andn2_saveexec_b64 s[0:1], s[0:1]
	s_cbranch_execz .LBB10_67
; %bb.66:
	s_lshl_b32 s34, s20, 4
	s_ashr_i32 s35, s34, 31
	v_lshl_add_u64 v[8:9], s[34:35], 3, v[6:7]
	global_load_dwordx2 v[8:9], v[8:9], off
	s_waitcnt vmcnt(0)
	ds_write_b64 v5, v[8:9] offset:4224
.LBB10_67:
	s_or_b64 exec, exec, s[0:1]
	v_add_u32_e32 v8, 24, v1
	v_cmp_le_i32_e64 s[0:1], s21, v8
	s_and_saveexec_b64 s[34:35], s[0:1]
	s_xor_b64 s[0:1], exec, s[34:35]
	s_cbranch_execz .LBB10_69
; %bb.68:
	v_mov_b32_e32 v8, 0
	v_mov_b32_e32 v9, v8
	ds_write_b64 v5, v[8:9] offset:6336
                                        ; implicit-def: $vgpr5
.LBB10_69:
	s_andn2_saveexec_b64 s[0:1], s[0:1]
	s_cbranch_execz .LBB10_71
; %bb.70:
	s_mul_i32 s34, s20, 24
	s_ashr_i32 s35, s34, 31
	v_lshl_add_u64 v[8:9], s[34:35], 3, v[6:7]
	global_load_dwordx2 v[8:9], v[8:9], off
	s_waitcnt vmcnt(0)
	ds_write_b64 v5, v[8:9] offset:6336
.LBB10_71:
	s_or_b64 exec, exec, s[0:1]
	v_mov_b32_e32 v5, 0
	v_lshl_add_u64 v[4:5], v[6:7], 0, v[4:5]
	s_lshl_b64 s[0:1], s[24:25], 3
	v_mov_b32_e32 v6, s1
	v_subrev_co_u32_e64 v4, s[0:1], s0, v4
	s_nop 1
	v_subb_co_u32_e64 v5, s[0:1], v5, v6, s[0:1]
	s_mov_b64 s[0:1], 0x108
	s_nop 0
	v_lshl_add_u64 v[4:5], v[4:5], 0, s[0:1]
	v_cndmask_b32_e32 v3, v5, v3, vcc
	v_cndmask_b32_e32 v2, v4, v2, vcc
.LBB10_72:
	v_add_u32_e32 v30, 0x2380, v25
	s_waitcnt lgkmcnt(0)
	s_barrier
	s_and_saveexec_b64 s[0:1], s[6:7]
	s_xor_b64 s[0:1], exec, s[0:1]
	s_cbranch_execnz .LBB10_85
; %bb.73:
	s_andn2_saveexec_b64 s[0:1], s[0:1]
	s_cbranch_execnz .LBB10_88
.LBB10_74:
	s_or_b64 exec, exec, s[0:1]
	s_and_saveexec_b64 s[0:1], s[8:9]
	s_xor_b64 s[0:1], exec, s[0:1]
	s_cbranch_execnz .LBB10_89
.LBB10_75:
	s_andn2_saveexec_b64 s[0:1], s[0:1]
	s_cbranch_execnz .LBB10_92
.LBB10_76:
	s_or_b64 exec, exec, s[0:1]
	s_and_saveexec_b64 s[0:1], s[10:11]
	s_xor_b64 s[0:1], exec, s[0:1]
	s_cbranch_execnz .LBB10_93
.LBB10_77:
	s_andn2_saveexec_b64 s[0:1], s[0:1]
	s_cbranch_execnz .LBB10_96
.LBB10_78:
	s_or_b64 exec, exec, s[0:1]
	s_and_saveexec_b64 s[0:1], s[12:13]
	s_xor_b64 s[0:1], exec, s[0:1]
	s_cbranch_execnz .LBB10_97
.LBB10_79:
	s_andn2_saveexec_b64 s[0:1], s[0:1]
	s_cbranch_execz .LBB10_81
.LBB10_80:
	ds_read_b64 v[4:5], v15 offset:528
	s_waitcnt lgkmcnt(0)
	v_xor_b32_e32 v5, 0x80000000, v5
	ds_write_b64 v12, v[4:5] offset:24
.LBB10_81:
	s_or_b64 exec, exec, s[0:1]
	s_waitcnt lgkmcnt(0)
	s_barrier
	ds_read_b64 v[24:25], v24
	ds_read_b128 v[4:7], v30 offset:256
	ds_read2_b64 v[8:11], v15 offset1:33
	ds_read_b64 v[14:15], v15 offset:528
	ds_read_b128 v[32:35], v30 offset:272
	v_cmp_eq_u32_e64 s[6:7], 1, v1
	s_waitcnt lgkmcnt(3)
	v_pk_mul_f32 v[36:37], v[4:5], v[24:25] op_sel:[0,1]
	s_waitcnt lgkmcnt(0)
	v_pk_fma_f32 v[38:39], v[4:5], v[24:25], v[36:37] op_sel:[0,0,1] op_sel_hi:[1,1,0] neg_lo:[0,0,1] neg_hi:[0,0,1]
	v_pk_fma_f32 v[4:5], v[4:5], v[24:25], v[36:37] op_sel:[0,0,1] op_sel_hi:[1,0,0]
	v_pk_mul_f32 v[24:25], v[6:7], v[8:9] op_sel:[0,1]
	v_mov_b32_e32 v39, v5
	v_pk_fma_f32 v[36:37], v[6:7], v[8:9], v[24:25] op_sel:[0,0,1] op_sel_hi:[1,1,0] neg_lo:[0,0,1] neg_hi:[0,0,1]
	v_pk_fma_f32 v[6:7], v[6:7], v[8:9], v[24:25] op_sel:[0,0,1] op_sel_hi:[1,0,0]
	v_pk_add_f32 v[4:5], v[38:39], 0 op_sel_hi:[1,0]
	v_mov_b32_e32 v37, v7
	v_pk_mul_f32 v[6:7], v[32:33], v[10:11] op_sel:[0,1]
	v_pk_add_f32 v[4:5], v[4:5], v[36:37]
	v_pk_fma_f32 v[8:9], v[32:33], v[10:11], v[6:7] op_sel:[0,0,1] op_sel_hi:[1,1,0] neg_lo:[0,0,1] neg_hi:[0,0,1]
	v_pk_fma_f32 v[6:7], v[32:33], v[10:11], v[6:7] op_sel:[0,0,1] op_sel_hi:[1,0,0]
	s_barrier
	v_mov_b32_e32 v9, v7
	v_pk_mul_f32 v[6:7], v[34:35], v[14:15] op_sel:[0,1]
	v_pk_add_f32 v[4:5], v[4:5], v[8:9]
	v_pk_fma_f32 v[8:9], v[34:35], v[14:15], v[6:7] op_sel:[0,0,1] op_sel_hi:[1,1,0] neg_lo:[0,0,1] neg_hi:[0,0,1]
	v_pk_fma_f32 v[6:7], v[34:35], v[14:15], v[6:7] op_sel:[0,0,1] op_sel_hi:[1,0,0]
	s_nop 0
	v_mov_b32_e32 v9, v7
	v_pk_add_f32 v[4:5], v[4:5], v[8:9]
	ds_write_b64 v29, v[4:5]
	s_waitcnt lgkmcnt(0)
	s_barrier
	s_and_saveexec_b64 s[0:1], s[6:7]
	s_cbranch_execz .LBB10_83
; %bb.82:
	v_lshlrev_b32_e32 v13, 3, v28
	ds_read2_b64 v[4:7], v13 offset1:7
	ds_read2_b64 v[8:11], v13 offset0:1 offset1:2
	ds_read2_b64 v[32:35], v13 offset0:3 offset1:4
	s_waitcnt lgkmcnt(1)
	v_add_f32_e32 v4, v8, v4
	v_add_f32_e32 v5, v9, v5
	v_add_f32_e32 v4, v4, v10
	v_add_f32_e32 v5, v5, v11
	ds_read2_b64 v[8:11], v13 offset0:5 offset1:6
	s_waitcnt lgkmcnt(1)
	v_add_f32_e32 v4, v4, v32
	v_add_f32_e32 v5, v5, v33
	;; [unrolled: 1-line block ×4, first 2 shown]
	s_waitcnt lgkmcnt(0)
	v_add_f32_e32 v4, v4, v8
	v_add_f32_e32 v5, v5, v9
	v_pk_add_f32 v[4:5], v[4:5], v[10:11]
	s_nop 0
	v_pk_add_f32 v[18:19], v[4:5], v[6:7]
.LBB10_83:
	s_or_b64 exec, exec, s[0:1]
	s_lshl_b64 s[0:1], s[36:37], 3
	v_mov_b32_e32 v4, s1
	v_subrev_co_u32_e64 v24, s[0:1], s0, v2
	s_and_b64 vcc, exec, s[14:15]
	s_nop 0
	v_subb_co_u32_e64 v25, s[0:1], v3, v4, s[0:1]
	s_barrier
	s_cbranch_vccnz .LBB10_100
; %bb.84:
	s_lshl_b32 s0, s20, 3
	s_ashr_i32 s1, s0, 31
	s_ashr_i32 s21, s20, 31
	v_lshl_add_u64 v[2:3], s[0:1], 3, v[24:25]
	s_lshl_b64 s[0:1], s[20:21], 6
	v_lshl_add_u64 v[4:5], v[2:3], 0, s[0:1]
	v_lshl_add_u64 v[6:7], v[4:5], 0, s[0:1]
	global_load_dwordx2 v[14:15], v[24:25], off
	global_load_dwordx2 v[32:33], v[2:3], off
	global_load_dwordx2 v[34:35], v[4:5], off
	global_load_dwordx2 v[36:37], v[6:7], off
	v_mad_u32_u24 v8, v1, 33, v0
	v_add_u32_e32 v6, 8, v1
	v_add_u32_e32 v7, 16, v1
	;; [unrolled: 1-line block ×3, first 2 shown]
	v_lshlrev_b32_e32 v4, 3, v8
	v_add_u32_e32 v2, 0x108, v8
	v_add_u32_e32 v3, 0x210, v8
	;; [unrolled: 1-line block ×3, first 2 shown]
	s_waitcnt vmcnt(3)
	ds_write_b64 v4, v[14:15]
	s_waitcnt vmcnt(2)
	ds_write_b64 v4, v[32:33] offset:2112
	s_waitcnt vmcnt(1)
	ds_write_b64 v4, v[34:35] offset:4224
	;; [unrolled: 2-line block ×3, first 2 shown]
	s_cbranch_execz .LBB10_101
	s_branch .LBB10_116
.LBB10_85:
	v_cmp_eq_u32_e32 vcc, v10, v0
	s_and_saveexec_b64 s[6:7], vcc
	s_cbranch_execz .LBB10_87
; %bb.86:
	v_mul_u32_u24_e32 v4, 34, v0
	v_lshlrev_b32_e32 v4, 3, v4
	v_mov_b32_e32 v5, 0
	ds_write_b32 v4, v5 offset:4
.LBB10_87:
	s_or_b64 exec, exec, s[6:7]
	s_andn2_saveexec_b64 s[0:1], s[0:1]
	s_cbranch_execz .LBB10_74
.LBB10_88:
	ds_read_b64 v[4:5], v24
	s_waitcnt lgkmcnt(0)
	v_xor_b32_e32 v5, 0x80000000, v5
	ds_write_b64 v12, v[4:5]
	s_or_b64 exec, exec, s[0:1]
	s_and_saveexec_b64 s[0:1], s[8:9]
	s_xor_b64 s[0:1], exec, s[0:1]
	s_cbranch_execz .LBB10_75
.LBB10_89:
	v_cmp_eq_u32_e32 vcc, v11, v0
	s_and_saveexec_b64 s[6:7], vcc
	s_cbranch_execz .LBB10_91
; %bb.90:
	v_mul_u32_u24_e32 v4, 34, v0
	v_lshlrev_b32_e32 v4, 3, v4
	v_mov_b32_e32 v5, 0
	ds_write_b32 v4, v5 offset:4
.LBB10_91:
	s_or_b64 exec, exec, s[6:7]
	s_andn2_saveexec_b64 s[0:1], s[0:1]
	s_cbranch_execz .LBB10_76
.LBB10_92:
	ds_read_b64 v[4:5], v15
	s_waitcnt lgkmcnt(0)
	v_xor_b32_e32 v5, 0x80000000, v5
	ds_write_b64 v12, v[4:5] offset:8
	s_or_b64 exec, exec, s[0:1]
	s_and_saveexec_b64 s[0:1], s[10:11]
	s_xor_b64 s[0:1], exec, s[0:1]
	s_cbranch_execz .LBB10_77
.LBB10_93:
	v_cmp_eq_u32_e32 vcc, v13, v0
	s_and_saveexec_b64 s[6:7], vcc
	s_cbranch_execz .LBB10_95
; %bb.94:
	v_mul_u32_u24_e32 v4, 34, v0
	v_lshlrev_b32_e32 v4, 3, v4
	v_mov_b32_e32 v5, 0
	ds_write_b32 v4, v5 offset:4
.LBB10_95:
	s_or_b64 exec, exec, s[6:7]
	s_andn2_saveexec_b64 s[0:1], s[0:1]
	s_cbranch_execz .LBB10_78
.LBB10_96:
	ds_read_b64 v[4:5], v15 offset:264
	s_waitcnt lgkmcnt(0)
	v_xor_b32_e32 v5, 0x80000000, v5
	ds_write_b64 v12, v[4:5] offset:16
	s_or_b64 exec, exec, s[0:1]
	s_and_saveexec_b64 s[0:1], s[12:13]
	s_xor_b64 s[0:1], exec, s[0:1]
	s_cbranch_execz .LBB10_79
.LBB10_97:
	v_cmp_eq_u32_e32 vcc, v14, v0
	s_and_saveexec_b64 s[6:7], vcc
	s_cbranch_execz .LBB10_99
; %bb.98:
	v_mul_u32_u24_e32 v4, 34, v0
	v_lshlrev_b32_e32 v4, 3, v4
	v_mov_b32_e32 v5, 0
	ds_write_b32 v4, v5 offset:4
.LBB10_99:
	s_or_b64 exec, exec, s[6:7]
	s_andn2_saveexec_b64 s[0:1], s[0:1]
	s_cbranch_execnz .LBB10_80
	s_branch .LBB10_81
.LBB10_100:
                                        ; implicit-def: $vgpr8
                                        ; implicit-def: $vgpr6
                                        ; implicit-def: $vgpr2
                                        ; implicit-def: $vgpr7
                                        ; implicit-def: $vgpr3
                                        ; implicit-def: $vgpr9
                                        ; implicit-def: $vgpr10
.LBB10_101:
	v_lshlrev_b32_e32 v2, 3, v0
	v_sub_co_u32_e32 v4, vcc, v24, v2
	s_ashr_i32 s25, s24, 31
	s_nop 0
	v_subbrev_co_u32_e32 v5, vcc, 0, v25, vcc
	s_movk_i32 s0, 0xfef8
	v_or_b32_e32 v3, 32, v0
	v_lshl_add_u64 v[4:5], s[24:25], 3, v[4:5]
	s_mov_b32 s1, -1
	v_lshl_add_u64 v[4:5], v[4:5], 0, s[0:1]
	v_cmp_gt_i32_e32 vcc, s24, v3
	v_mov_b32_e32 v6, 0
	v_cmp_gt_i32_e64 s[0:1], s24, v1
	v_cndmask_b32_e32 v5, v5, v25, vcc
	v_cndmask_b32_e32 v4, v4, v24, vcc
	v_mov_b32_e32 v7, v6
	s_and_saveexec_b64 s[8:9], s[0:1]
	s_cbranch_execz .LBB10_103
; %bb.102:
	global_load_dwordx2 v[6:7], v[4:5], off
.LBB10_103:
	s_or_b64 exec, exec, s[8:9]
	v_mad_u32_u24 v8, v1, 33, v0
	v_lshlrev_b32_e32 v3, 3, v8
	s_waitcnt vmcnt(0)
	ds_write_b64 v3, v[6:7]
	v_add_u32_e32 v6, 8, v1
	v_cmp_le_i32_e64 s[0:1], s24, v6
	s_and_saveexec_b64 s[8:9], s[0:1]
	s_xor_b64 s[0:1], exec, s[8:9]
	s_cbranch_execz .LBB10_105
; %bb.104:
	v_mul_u32_u24_e32 v7, 33, v6
	v_mov_b32_e32 v10, 0
	v_add_lshl_u32 v7, v7, v0, 3
	v_mov_b32_e32 v11, v10
	ds_write_b64 v7, v[10:11]
.LBB10_105:
	s_andn2_saveexec_b64 s[0:1], s[0:1]
	s_cbranch_execz .LBB10_107
; %bb.106:
	s_lshl_b32 s8, s20, 3
	s_ashr_i32 s9, s8, 31
	v_lshl_add_u64 v[10:11], s[8:9], 3, v[4:5]
	global_load_dwordx2 v[10:11], v[10:11], off
	s_waitcnt vmcnt(0)
	ds_write_b64 v3, v[10:11] offset:2112
.LBB10_107:
	s_or_b64 exec, exec, s[0:1]
	v_add_u32_e32 v7, 16, v1
	v_cmp_le_i32_e64 s[0:1], s24, v7
	s_and_saveexec_b64 s[8:9], s[0:1]
	s_xor_b64 s[0:1], exec, s[8:9]
	s_cbranch_execz .LBB10_109
; %bb.108:
	v_mul_u32_u24_e32 v9, 33, v7
	v_mov_b32_e32 v10, 0
	v_add_lshl_u32 v9, v9, v0, 3
	v_mov_b32_e32 v11, v10
	ds_write_b64 v9, v[10:11]
.LBB10_109:
	s_andn2_saveexec_b64 s[0:1], s[0:1]
	s_cbranch_execz .LBB10_111
; %bb.110:
	s_lshl_b32 s8, s20, 4
	s_ashr_i32 s9, s8, 31
	v_lshl_add_u64 v[10:11], s[8:9], 3, v[4:5]
	global_load_dwordx2 v[10:11], v[10:11], off
	s_waitcnt vmcnt(0)
	ds_write_b64 v3, v[10:11] offset:4224
.LBB10_111:
	s_or_b64 exec, exec, s[0:1]
	v_add_u32_e32 v9, 24, v1
	v_cmp_le_i32_e64 s[0:1], s24, v9
                                        ; implicit-def: $vgpr10
	s_and_saveexec_b64 s[8:9], s[0:1]
	s_xor_b64 s[0:1], exec, s[8:9]
	s_cbranch_execz .LBB10_113
; %bb.112:
	v_mad_u32_u24 v10, v9, 33, v0
	v_mov_b32_e32 v14, 0
	v_lshlrev_b32_e32 v0, 3, v10
	v_mov_b32_e32 v15, v14
	ds_write_b64 v0, v[14:15]
                                        ; implicit-def: $vgpr3
.LBB10_113:
	s_andn2_saveexec_b64 s[0:1], s[0:1]
	s_cbranch_execz .LBB10_115
; %bb.114:
	s_mul_i32 s8, s20, 24
	s_ashr_i32 s9, s8, 31
	v_lshl_add_u64 v[10:11], s[8:9], 3, v[4:5]
	global_load_dwordx2 v[14:15], v[10:11], off
	v_add_u32_e32 v10, 0x318, v8
	s_waitcnt vmcnt(0)
	ds_write_b64 v3, v[14:15] offset:6336
.LBB10_115:
	s_or_b64 exec, exec, s[0:1]
	v_mov_b32_e32 v3, 0
	v_lshl_add_u64 v[2:3], v[4:5], 0, v[2:3]
	s_lshl_b64 s[0:1], s[24:25], 3
	v_mov_b32_e32 v0, s1
	v_subrev_co_u32_e64 v2, s[0:1], s0, v2
	s_nop 1
	v_subb_co_u32_e64 v3, s[0:1], v3, v0, s[0:1]
	s_mov_b64 s[0:1], 0x108
	s_nop 0
	v_lshl_add_u64 v[2:3], v[2:3], 0, s[0:1]
	v_cndmask_b32_e32 v25, v3, v25, vcc
	v_cndmask_b32_e32 v24, v2, v24, vcc
	v_add_u32_e32 v2, 0x108, v8
	v_add_u32_e32 v3, 0x210, v8
.LBB10_116:
	v_lshlrev_b32_e32 v0, 3, v8
	s_waitcnt lgkmcnt(0)
	s_barrier
	ds_read_b64 v[32:33], v0
	v_lshlrev_b32_e32 v4, 3, v1
	v_lshlrev_b32_e32 v5, 3, v2
	;; [unrolled: 1-line block ×7, first 2 shown]
	ds_read_b64 v[34:35], v0
	ds_read2_b64 v[8:11], v12 offset1:1
	ds_read2_b64 v[0:3], v12 offset0:2 offset1:3
	ds_read_b64 v[36:37], v6 offset:9088
	ds_read_b64 v[38:39], v5
	ds_read_b64 v[40:41], v4 offset:9088
	ds_read_b128 v[12:15], v30 offset:256
	ds_read_b128 v[4:7], v30 offset:272
	ds_read_b64 v[30:31], v31 offset:9088
	ds_read_b64 v[42:43], v42
	ds_read_b64 v[44:45], v44 offset:9088
	s_waitcnt lgkmcnt(5)
	v_pk_mul_f32 v[46:47], v[40:41], v[32:33] op_sel:[0,1]
	s_waitcnt lgkmcnt(0)
	v_pk_fma_f32 v[48:49], v[40:41], v[32:33], v[46:47] op_sel:[0,0,1] op_sel_hi:[1,1,0] neg_lo:[0,0,1] neg_hi:[0,0,1]
	v_pk_fma_f32 v[32:33], v[40:41], v[32:33], v[46:47] op_sel:[0,0,1] op_sel_hi:[1,0,0]
	v_pk_mul_f32 v[40:41], v[36:37], v[38:39] op_sel:[0,1]
	v_mov_b32_e32 v49, v33
	v_pk_fma_f32 v[46:47], v[36:37], v[38:39], v[40:41] op_sel:[0,0,1] op_sel_hi:[1,1,0] neg_lo:[0,0,1] neg_hi:[0,0,1]
	v_pk_fma_f32 v[36:37], v[36:37], v[38:39], v[40:41] op_sel:[0,0,1] op_sel_hi:[1,0,0]
	v_pk_add_f32 v[32:33], v[48:49], 0 op_sel_hi:[1,0]
	v_mov_b32_e32 v47, v37
	v_pk_mul_f32 v[36:37], v[44:45], v[34:35] op_sel:[0,1]
	v_pk_add_f32 v[32:33], v[32:33], v[46:47]
	v_pk_fma_f32 v[38:39], v[44:45], v[34:35], v[36:37] op_sel:[0,0,1] op_sel_hi:[1,1,0] neg_lo:[0,0,1] neg_hi:[0,0,1]
	v_pk_fma_f32 v[34:35], v[44:45], v[34:35], v[36:37] op_sel:[0,0,1] op_sel_hi:[1,0,0]
	s_barrier
	v_mov_b32_e32 v39, v35
	v_pk_mul_f32 v[34:35], v[30:31], v[42:43] op_sel:[0,1]
	v_pk_add_f32 v[32:33], v[32:33], v[38:39]
	v_pk_fma_f32 v[36:37], v[30:31], v[42:43], v[34:35] op_sel:[0,0,1] op_sel_hi:[1,1,0] neg_lo:[0,0,1] neg_hi:[0,0,1]
	v_pk_fma_f32 v[30:31], v[30:31], v[42:43], v[34:35] op_sel:[0,0,1] op_sel_hi:[1,0,0]
	s_nop 0
	v_mov_b32_e32 v37, v31
	v_pk_add_f32 v[30:31], v[32:33], v[36:37]
	ds_write_b64 v29, v[30:31]
	s_waitcnt lgkmcnt(0)
	s_barrier
	s_and_saveexec_b64 s[0:1], s[6:7]
	s_cbranch_execz .LBB10_118
; %bb.117:
	v_lshlrev_b32_e32 v42, 3, v28
	ds_read2_b64 v[30:33], v42 offset1:1
	ds_read2_b64 v[34:37], v42 offset0:2 offset1:3
	ds_read2_b64 v[38:41], v42 offset0:4 offset1:5
	s_waitcnt lgkmcnt(2)
	v_pk_add_f32 v[18:19], v[18:19], v[30:31]
	s_nop 0
	v_pk_add_f32 v[18:19], v[18:19], v[32:33]
	ds_read2_b64 v[30:33], v42 offset0:6 offset1:7
	s_waitcnt lgkmcnt(2)
	v_pk_add_f32 v[18:19], v[18:19], v[34:35]
	s_nop 0
	v_pk_add_f32 v[18:19], v[18:19], v[36:37]
	s_waitcnt lgkmcnt(1)
	v_pk_add_f32 v[18:19], v[18:19], v[38:39]
	s_nop 0
	v_pk_add_f32 v[18:19], v[18:19], v[40:41]
	;; [unrolled: 4-line block ×3, first 2 shown]
.LBB10_118:
	s_or_b64 exec, exec, s[0:1]
	v_pk_mul_f32 v[30:31], v[8:9], v[12:13] op_sel:[1,0]
	s_nop 0
	v_pk_fma_f32 v[32:33], v[8:9], v[12:13], v[30:31] op_sel:[0,0,1] op_sel_hi:[1,1,0]
	v_pk_fma_f32 v[8:9], v[8:9], v[12:13], v[30:31] op_sel:[0,0,1] op_sel_hi:[0,1,0] neg_lo:[0,0,1] neg_hi:[0,0,1]
	v_mov_b32_e32 v12, v11
	v_pk_mul_f32 v[12:13], v[12:13], v[14:15] op_sel_hi:[0,1]
	v_pk_fma_f32 v[30:31], v[10:11], v[14:15], v[12:13] op_sel:[0,0,1] op_sel_hi:[1,1,0]
	v_pk_fma_f32 v[10:11], v[10:11], v[14:15], v[12:13] op_sel:[0,0,1] op_sel_hi:[0,1,0] neg_lo:[0,0,1] neg_hi:[0,0,1]
	v_mov_b32_e32 v33, v9
	v_mov_b32_e32 v31, v11
	v_pk_mul_f32 v[10:11], v[0:1], v[4:5] op_sel:[1,0]
	v_pk_add_f32 v[8:9], v[32:33], 0 op_sel_hi:[1,0]
	v_pk_fma_f32 v[12:13], v[0:1], v[4:5], v[10:11] op_sel:[0,0,1] op_sel_hi:[1,1,0]
	v_pk_fma_f32 v[0:1], v[0:1], v[4:5], v[10:11] op_sel:[0,0,1] op_sel_hi:[0,1,0] neg_lo:[0,0,1] neg_hi:[0,0,1]
	v_mov_b32_e32 v4, v3
	v_pk_add_f32 v[8:9], v[8:9], v[30:31]
	v_mov_b32_e32 v13, v1
	v_pk_mul_f32 v[4:5], v[4:5], v[6:7] op_sel_hi:[0,1]
	v_pk_add_f32 v[0:1], v[8:9], v[12:13]
	v_pk_fma_f32 v[8:9], v[2:3], v[6:7], v[4:5] op_sel:[0,0,1] op_sel_hi:[1,1,0]
	v_pk_fma_f32 v[2:3], v[2:3], v[6:7], v[4:5] op_sel:[0,0,1] op_sel_hi:[0,1,0] neg_lo:[0,0,1] neg_hi:[0,0,1]
	v_mov_b32_e32 v9, v3
	v_pk_add_f32 v[0:1], v[0:1], v[8:9]
	s_barrier
	ds_write_b64 v29, v[0:1]
	s_waitcnt lgkmcnt(0)
	s_barrier
	s_and_saveexec_b64 s[0:1], s[4:5]
	s_cbranch_execz .LBB10_120
; %bb.119:
	v_lshlrev_b32_e32 v14, 3, v28
	ds_read2_b64 v[0:3], v14 offset1:1
	ds_read2_b64 v[4:7], v14 offset0:2 offset1:3
	ds_read2_b64 v[8:11], v14 offset0:4 offset1:5
	s_waitcnt lgkmcnt(2)
	v_pk_add_f32 v[0:1], v[18:19], v[0:1]
	s_nop 0
	v_pk_add_f32 v[12:13], v[0:1], v[2:3]
	ds_read2_b64 v[0:3], v14 offset0:6 offset1:7
	s_waitcnt lgkmcnt(2)
	v_pk_add_f32 v[4:5], v[12:13], v[4:5]
	s_nop 0
	v_pk_add_f32 v[4:5], v[4:5], v[6:7]
	s_waitcnt lgkmcnt(1)
	v_pk_add_f32 v[4:5], v[4:5], v[8:9]
	s_nop 0
	v_pk_add_f32 v[4:5], v[4:5], v[10:11]
	;; [unrolled: 4-line block ×3, first 2 shown]
.LBB10_120:
	s_or_b64 exec, exec, s[0:1]
	s_mul_hi_u32 s0, s38, s3
	s_mul_i32 s40, s40, s3
	s_add_i32 s0, s0, s40
	s_mul_i32 s3, s38, s3
	s_mul_i32 s0, s0, s39
	s_mul_hi_u32 s1, s3, s39
	s_add_i32 s1, s1, s0
	s_mul_i32 s0, s3, s39
	s_lshl_b64 s[0:1], s[0:1], 3
	s_add_u32 s3, s22, s0
	s_mul_i32 s0, s2, s38
	s_addc_u32 s4, s23, s1
	s_ashr_i32 s1, s0, 31
	s_lshl_b64 s[0:1], s[0:1], 3
	s_add_u32 s6, s3, s0
	v_cmp_le_i32_e32 vcc, s24, v26
	s_addc_u32 s7, s4, s1
	s_and_b64 vcc, s[30:31], vcc
	s_cmp_lt_i32 s2, 1
	v_lshlrev_b32_e32 v74, 3, v26
	s_barrier
	s_cbranch_scc1 .LBB10_127
; %bb.121:
	s_mul_i32 s0, s26, s33
	s_ashr_i32 s1, s0, 31
	s_lshl_b64 s[0:1], s[0:1], 3
	v_mov_b32_e32 v0, s1
	v_subrev_co_u32_e64 v4, s[0:1], s0, v20
	s_ashr_i32 s25, s24, 31
	s_nop 0
	v_subb_co_u32_e64 v5, s[0:1], v21, v0, s[0:1]
	v_mov_b32_e32 v0, s29
	v_subrev_co_u32_e64 v2, s[0:1], s28, v24
	v_and_b32_e32 v6, 15, v26
	s_nop 0
	v_subb_co_u32_e64 v3, s[0:1], v25, v0, s[0:1]
	v_lshlrev_b64 v[0:1], 3, v[22:23]
	v_sub_co_u32_e64 v0, s[0:1], v2, v0
	v_mul_lo_u32 v2, v17, s20
	s_nop 0
	v_subb_co_u32_e64 v1, s[0:1], v3, v1, s[0:1]
	v_lshl_add_u32 v2, v2, 2, v26
	v_ashrrev_i32_e32 v3, 31, v2
	s_movk_i32 s0, 0xff00
	v_lshl_add_u64 v[0:1], v[2:3], 3, v[0:1]
	s_mov_b32 s1, -1
	v_lshl_add_u64 v[2:3], v[0:1], 0, s[0:1]
	v_sub_co_u32_e64 v0, s[0:1], v0, v74
	v_lshrrev_b32_e32 v10, 4, v27
	s_nop 0
	v_subbrev_co_u32_e64 v1, s[0:1], 0, v1, s[0:1]
	s_movk_i32 s0, 0xfef8
	v_lshl_add_u64 v[0:1], s[24:25], 3, v[0:1]
	s_mov_b32 s1, -1
	v_lshl_add_u64 v[0:1], v[0:1], 0, s[0:1]
	v_cndmask_b32_e32 v8, v2, v0, vcc
	v_and_b32_e32 v0, 48, v26
	v_cndmask_b32_e32 v9, v3, v1, vcc
	v_lshlrev_b32_e32 v1, 3, v0
	s_movk_i32 s0, 0x218
	v_mad_u32_u24 v77, v6, s0, v1
	v_or_b32_e32 v1, 0x78, v74
	v_mad_u32_u24 v78, v6, s0, v1
	v_lshlrev_b32_e32 v1, 5, v10
	v_mad_u32_u24 v79, v6, s0, v1
	v_mov_b32_e32 v1, 0x2180
	s_ashr_i32 s21, s20, 31
	v_lshl_add_u32 v80, v17, 5, v1
	s_movk_i32 s1, 0x860
	v_lshlrev_b32_e32 v1, 3, v10
	v_mov_b32_e32 v7, 0
	s_lshl_b32 s3, s33, 6
	v_add_u32_e32 v75, 0x2180, v74
	v_add_u32_e32 v76, 0x2380, v74
	v_cmp_gt_u32_e64 s[4:5], 64, v27
	v_mad_u32_u24 v81, v17, s1, v74
	v_mad_u32_u24 v82, v6, s0, v1
	s_lshl_b64 s[0:1], s[20:21], 3
	s_lshl_b64 s[8:9], s[20:21], 9
	;; [unrolled: 1-line block ×3, first 2 shown]
	s_mul_hi_i32 s13, s20, 24
	s_mul_i32 s12, s20, 24
	s_mul_hi_i32 s15, s20, 0x90
	s_mul_i32 s14, s20, 0x90
	;; [unrolled: 2-line block ×10, first 2 shown]
	s_lshl_b64 s[40:41], s[20:21], 8
	s_mul_hi_i32 s43, s20, 0x88
	s_mul_i32 s42, s20, 0x88
	s_lshl_b64 s[20:21], s[20:21], 7
	v_or_b32_e32 v6, v0, v6
	s_mov_b32 s44, 0
	s_branch .LBB10_123
.LBB10_122:                             ;   in Loop: Header=BB10_123 Depth=1
	s_or_b64 exec, exec, s[46:47]
	v_mul_f32_e32 v83, v10, v22
	v_fma_f32 v83, -v11, v23, v83
	v_pk_mul_f32 v[10:11], v[10:11], v[22:23] op_sel:[1,0] op_sel_hi:[0,1]
	v_add_f32_e32 v10, v10, v11
	v_add_f32_e32 v19, v19, v10
	v_mul_f32_e32 v10, v12, v28
	v_add_f32_e32 v18, v18, v83
	v_fma_f32 v10, -v13, v29, v10
	v_add_f32_e32 v18, v18, v10
	v_pk_mul_f32 v[10:11], v[12:13], v[28:29] op_sel:[1,0] op_sel_hi:[0,1]
	v_add_f32_e32 v10, v10, v11
	v_add_f32_e32 v12, v19, v10
	v_mul_f32_e32 v10, v14, v26
	v_fma_f32 v10, -v15, v27, v10
	v_add_f32_e32 v13, v18, v10
	v_pk_mul_f32 v[10:11], v[14:15], v[26:27] op_sel:[1,0] op_sel_hi:[0,1]
	v_add_f32_e32 v10, v10, v11
	v_add_f32_e32 v12, v12, v10
	v_mul_f32_e32 v10, v20, v24
	;; [unrolled: 6-line block ×4, first 2 shown]
	v_fma_f32 v10, -v33, v51, v10
	v_add_f32_e32 v10, v13, v10
	v_pk_mul_f32 v[12:13], v[32:33], v[50:51] op_sel:[1,0] op_sel_hi:[0,1]
	v_add_f32_e32 v12, v12, v13
	v_add_f32_e32 v11, v11, v12
	v_mov_b32_e32 v12, v43
	v_pk_mul_f32 v[12:13], v[34:35], v[12:13] op_sel:[1,0] op_sel_hi:[0,1]
	v_pk_fma_f32 v[12:13], v[34:35], v[42:43], v[12:13] neg_lo:[0,0,1] neg_hi:[0,0,1]
	v_pk_mul_f32 v[14:15], v[34:35], v[42:43] op_sel:[1,0] op_sel_hi:[0,1]
	v_mov_b32_e32 v13, v14
	v_pk_fma_f32 v[14:15], v[34:35], v[42:43], v[12:13] op_sel:[1,0,0] op_sel_hi:[0,1,1]
	v_pk_mul_f32 v[20:21], v[36:37], v[40:41] op_sel:[1,0] op_sel_hi:[0,1]
	v_mov_b32_e32 v14, v41
	v_mov_b32_e32 v13, v20
	v_pk_mul_f32 v[18:19], v[36:37], v[14:15] op_sel:[1,0] op_sel_hi:[0,1]
	v_pk_fma_f32 v[20:21], v[36:37], v[40:41], v[12:13] op_sel:[1,0,0] op_sel_hi:[0,1,1]
	v_mov_b32_e32 v13, v15
	v_pk_fma_f32 v[18:19], v[36:37], v[40:41], v[18:19] neg_lo:[0,0,1] neg_hi:[0,0,1]
	v_pk_add_f32 v[10:11], v[10:11], v[12:13]
	v_pk_mul_f32 v[12:13], v[44:45], v[54:55] op_sel:[1,1] op_sel_hi:[0,1]
	v_mov_b32_e32 v19, v21
	v_pk_mul_f32 v[14:15], v[52:53], v[0:1] op_sel:[0,1]
	v_pk_fma_f32 v[22:23], v[44:45], v[54:55], v[12:13] neg_lo:[0,0,1] neg_hi:[0,0,1]
	v_pk_fma_f32 v[12:13], v[44:45], v[54:55], v[12:13] op_sel_hi:[1,0,1]
	v_pk_add_f32 v[10:11], v[10:11], v[18:19]
	v_mov_b32_e32 v18, v3
	v_mov_b32_e32 v23, v13
	v_pk_fma_f32 v[12:13], v[52:53], v[0:1], v[14:15] op_sel:[0,0,1] op_sel_hi:[1,1,0] neg_lo:[0,0,1] neg_hi:[0,0,1]
	v_pk_fma_f32 v[0:1], v[52:53], v[0:1], v[14:15] op_sel:[0,0,1] op_sel_hi:[1,0,0]
	v_pk_mul_f32 v[18:19], v[48:49], v[18:19] op_sel_hi:[1,0]
	v_pk_add_f32 v[10:11], v[10:11], v[22:23]
	v_mov_b32_e32 v13, v1
	v_pk_add_f32 v[0:1], v[10:11], v[12:13]
	v_pk_fma_f32 v[10:11], v[48:49], v[2:3], v[18:19] op_sel:[0,0,1] op_sel_hi:[1,1,0] neg_lo:[0,0,1] neg_hi:[0,0,1]
	v_pk_fma_f32 v[2:3], v[48:49], v[2:3], v[18:19] op_sel:[0,0,1] op_sel_hi:[1,0,0]
	v_pk_mul_f32 v[20:21], v[46:47], v[56:57] op_sel:[0,1]
	v_mov_b32_e32 v11, v3
	v_pk_add_f32 v[0:1], v[0:1], v[10:11]
	v_pk_fma_f32 v[2:3], v[46:47], v[56:57], v[20:21] op_sel:[0,0,1] op_sel_hi:[1,1,0] neg_lo:[0,0,1] neg_hi:[0,0,1]
	v_pk_fma_f32 v[10:11], v[46:47], v[56:57], v[20:21] op_sel:[0,0,1] op_sel_hi:[1,0,0]
	v_pk_mul_f32 v[12:13], v[62:63], v[70:71] op_sel:[0,1]
	v_mov_b32_e32 v3, v11
	v_pk_add_f32 v[0:1], v[0:1], v[2:3]
	v_pk_mul_f32 v[2:3], v[60:61], v[66:67] op_sel:[0,1]
	v_pk_mul_f32 v[10:11], v[64:65], v[72:73] op_sel:[0,1]
	v_pk_fma_f32 v[18:19], v[60:61], v[66:67], v[2:3] op_sel:[0,0,1] op_sel_hi:[1,1,0] neg_lo:[0,0,1] neg_hi:[0,0,1]
	v_pk_fma_f32 v[2:3], v[60:61], v[66:67], v[2:3] op_sel:[0,0,1] op_sel_hi:[1,0,0]
	v_pk_mul_f32 v[14:15], v[58:59], v[68:69] op_sel:[0,1]
	v_mov_b32_e32 v19, v3
	v_pk_fma_f32 v[2:3], v[64:65], v[72:73], v[10:11] op_sel:[0,0,1] op_sel_hi:[1,1,0] neg_lo:[0,0,1] neg_hi:[0,0,1]
	v_pk_fma_f32 v[10:11], v[64:65], v[72:73], v[10:11] op_sel:[0,0,1] op_sel_hi:[1,0,0]
	v_pk_add_f32 v[0:1], v[0:1], v[18:19]
	v_mov_b32_e32 v3, v11
	v_pk_fma_f32 v[10:11], v[62:63], v[70:71], v[12:13] op_sel:[0,0,1] op_sel_hi:[1,1,0] neg_lo:[0,0,1] neg_hi:[0,0,1]
	v_pk_fma_f32 v[12:13], v[62:63], v[70:71], v[12:13] op_sel:[0,0,1] op_sel_hi:[1,0,0]
	v_pk_add_f32 v[0:1], v[0:1], v[2:3]
	;; [unrolled: 4-line block ×3, first 2 shown]
	v_mov_b32_e32 v13, v15
	s_add_i32 s2, s2, -1
	s_add_i32 s44, s44, s3
	v_pk_add_f32 v[18:19], v[0:1], v[12:13]
	v_lshl_add_u64 v[8:9], v[8:9], 0, s[8:9]
	s_cmp_eq_u32 s2, 0
	v_add_u32_e32 v6, 64, v6
	s_barrier
	s_cbranch_scc1 .LBB10_127
.LBB10_123:                             ; =>This Inner Loop Header: Depth=1
	s_and_saveexec_b64 s[46:47], s[18:19]
	s_cbranch_execz .LBB10_125
; %bb.124:                              ;   in Loop: Header=BB10_123 Depth=1
	s_ashr_i32 s45, s44, 31
	v_lshl_add_u64 v[0:1], s[44:45], 3, v[4:5]
	global_load_dwordx2 v[0:1], v[0:1], off
	s_waitcnt vmcnt(0)
	ds_write_b64 v75, v[0:1]
.LBB10_125:                             ;   in Loop: Header=BB10_123 Depth=1
	s_or_b64 exec, exec, s[46:47]
	v_lshl_add_u64 v[0:1], v[8:9], 0, s[0:1]
	s_waitcnt lgkmcnt(0)
	s_barrier
	global_load_dwordx2 v[10:11], v[8:9], off
	global_load_dwordx2 v[12:13], v[0:1], off
	v_lshl_add_u64 v[0:1], v[8:9], 0, s[10:11]
	global_load_dwordx2 v[14:15], v[0:1], off
	v_lshl_add_u64 v[0:1], v[8:9], 0, s[12:13]
	global_load_dwordx2 v[20:21], v[0:1], off
	ds_read_b64 v[0:1], v76
	ds_read_b64 v[22:23], v80
	v_lshl_add_u64 v[2:3], v[8:9], 0, s[20:21]
	v_lshl_add_u64 v[58:59], v[8:9], 0, s[36:37]
	s_waitcnt vmcnt(3) lgkmcnt(1)
	v_mul_f32_e32 v24, v11, v1
	v_mul_f32_e32 v25, v11, v0
	v_fmac_f32_e32 v24, v10, v0
	v_fma_f32 v25, v10, v1, -v25
	s_waitcnt vmcnt(2)
	v_mul_f32_e32 v26, v13, v1
	v_mul_f32_e32 v27, v13, v0
	s_waitcnt vmcnt(1)
	v_mul_f32_e32 v30, v15, v1
	v_mul_f32_e32 v28, v15, v0
	s_waitcnt vmcnt(0)
	v_mul_f32_e32 v29, v21, v0
	ds_write_b64 v81, v[24:25]
	v_fmac_f32_e32 v26, v12, v0
	v_fma_f32 v27, v12, v1, -v27
	v_mul_f32_e32 v32, v21, v1
	v_fmac_f32_e32 v30, v14, v0
	v_fma_f32 v31, v14, v1, -v28
	v_fma_f32 v33, v20, v1, -v29
	ds_read_b64 v[28:29], v80 offset:8
	ds_write_b64 v81, v[26:27] offset:536
	v_fmac_f32_e32 v32, v20, v0
	ds_read_b64 v[26:27], v80 offset:16
	ds_write_b64 v81, v[30:31] offset:1072
	ds_read_b64 v[24:25], v80 offset:24
	ds_write_b64 v81, v[32:33] offset:1608
	s_waitcnt lgkmcnt(0)
	s_barrier
	ds_read2_b64 v[66:69], v79 offset1:1
	ds_read2_b64 v[70:73], v79 offset0:2 offset1:3
	s_waitcnt lgkmcnt(0)
	s_barrier
	global_load_dwordx2 v[30:31], v[2:3], off
	v_lshl_add_u64 v[0:1], v[8:9], 0, s[42:43]
	global_load_dwordx2 v[32:33], v[0:1], off
	v_lshl_add_u64 v[0:1], v[8:9], 0, s[14:15]
	;; [unrolled: 2-line block ×3, first 2 shown]
	global_load_dwordx2 v[36:37], v[0:1], off
	ds_read_b64 v[0:1], v76
	ds_read_b64 v[38:39], v80 offset:128
	v_lshl_add_u64 v[2:3], v[8:9], 0, s[40:41]
	v_pk_add_f32 v[66:67], v[66:67], 0 op_sel_hi:[1,0]
	s_waitcnt vmcnt(3) lgkmcnt(1)
	v_mul_f32_e32 v40, v31, v1
	v_mul_f32_e32 v41, v31, v0
	s_waitcnt vmcnt(2)
	v_mul_f32_e32 v42, v33, v1
	v_mul_f32_e32 v43, v33, v0
	v_fmac_f32_e32 v40, v30, v0
	v_fma_f32 v41, v30, v1, -v41
	s_waitcnt vmcnt(1)
	v_mul_f32_e32 v44, v35, v1
	v_mul_f32_e32 v45, v35, v0
	v_fmac_f32_e32 v42, v32, v0
	v_fma_f32 v43, v32, v1, -v43
	ds_write_b64 v81, v[40:41]
	s_waitcnt vmcnt(0)
	v_mul_f32_e32 v46, v37, v1
	v_mul_f32_e32 v47, v37, v0
	v_fmac_f32_e32 v44, v34, v0
	v_fma_f32 v45, v34, v1, -v45
	ds_read_b64 v[50:51], v80 offset:136
	ds_write_b64 v81, v[42:43] offset:536
	v_fmac_f32_e32 v46, v36, v0
	v_fma_f32 v47, v36, v1, -v47
	ds_read_b64 v[42:43], v80 offset:144
	ds_write_b64 v81, v[44:45] offset:1072
	v_lshl_add_u64 v[0:1], v[8:9], 0, s[38:39]
	ds_read_b64 v[40:41], v80 offset:152
	ds_write_b64 v81, v[46:47] offset:1608
	s_waitcnt lgkmcnt(0)
	s_barrier
	ds_read2_b64 v[84:87], v79 offset1:1
	ds_read2_b64 v[88:91], v79 offset0:2 offset1:3
	s_waitcnt lgkmcnt(0)
	s_barrier
	global_load_dwordx2 v[44:45], v[2:3], off
	global_load_dwordx2 v[52:53], v[0:1], off
	v_lshl_add_u64 v[0:1], v[8:9], 0, s[24:25]
	global_load_dwordx2 v[48:49], v[0:1], off
	v_lshl_add_u64 v[0:1], v[8:9], 0, s[26:27]
	global_load_dwordx2 v[46:47], v[0:1], off
	ds_read_b64 v[0:1], v76
	ds_read_b64 v[54:55], v80 offset:256
	v_pk_add_f32 v[66:67], v[66:67], v[68:69]
	s_waitcnt vmcnt(3) lgkmcnt(1)
	v_mul_f32_e32 v2, v45, v1
	v_mul_f32_e32 v3, v45, v0
	s_waitcnt vmcnt(2)
	v_mul_f32_e32 v60, v53, v1
	v_mul_f32_e32 v56, v53, v0
	s_waitcnt vmcnt(1)
	v_mul_f32_e32 v62, v49, v1
	v_mul_f32_e32 v57, v49, v0
	v_fmac_f32_e32 v2, v44, v0
	v_fma_f32 v3, v44, v1, -v3
	s_waitcnt vmcnt(0)
	v_mul_f32_e32 v64, v47, v1
	v_mul_f32_e32 v65, v47, v0
	v_fmac_f32_e32 v60, v52, v0
	v_fma_f32 v61, v52, v1, -v56
	v_fmac_f32_e32 v62, v48, v0
	v_fma_f32 v63, v48, v1, -v57
	ds_write_b64 v81, v[2:3]
	v_fmac_f32_e32 v64, v46, v0
	v_fma_f32 v65, v46, v1, -v65
	ds_read2_b64 v[0:3], v80 offset0:33 offset1:34
	ds_read_b64 v[56:57], v80 offset:280
	ds_write2_b64 v81, v[60:61], v[62:63] offset0:67 offset1:134
	ds_write_b64 v81, v[64:65] offset:1608
	s_waitcnt lgkmcnt(0)
	s_barrier
	ds_read2_b64 v[92:95], v79 offset1:1
	ds_read2_b64 v[96:99], v79 offset0:2 offset1:3
	s_waitcnt lgkmcnt(0)
	s_barrier
	global_load_dwordx2 v[60:61], v[58:59], off
	v_lshl_add_u64 v[58:59], v[8:9], 0, s[34:35]
	global_load_dwordx2 v[64:65], v[58:59], off
	v_lshl_add_u64 v[58:59], v[8:9], 0, s[28:29]
	global_load_dwordx2 v[62:63], v[58:59], off
	v_lshl_add_u64 v[58:59], v[8:9], 0, s[30:31]
	global_load_dwordx2 v[58:59], v[58:59], off
	v_pk_add_f32 v[66:67], v[66:67], v[70:71]
	v_pk_add_f32 v[70:71], v[92:93], 0 op_sel_hi:[1,0]
	v_pk_add_f32 v[100:101], v[66:67], v[72:73]
	v_pk_add_f32 v[66:67], v[84:85], 0 op_sel_hi:[1,0]
	v_pk_add_f32 v[70:71], v[70:71], v[94:95]
	v_pk_add_f32 v[66:67], v[66:67], v[86:87]
	;; [unrolled: 1-line block ×6, first 2 shown]
	ds_read_b64 v[68:69], v76
	ds_read_b64 v[66:67], v80 offset:384
	s_waitcnt vmcnt(3) lgkmcnt(1)
	v_mul_f32_e32 v70, v61, v69
	v_mul_f32_e32 v71, v61, v68
	s_waitcnt vmcnt(2)
	v_mul_f32_e32 v72, v65, v68
	v_mul_f32_e32 v84, v65, v69
	v_fma_f32 v71, v60, v69, -v71
	v_fmac_f32_e32 v70, v60, v68
	s_waitcnt vmcnt(1)
	v_mul_f32_e32 v73, v63, v68
	v_mul_f32_e32 v86, v63, v69
	v_fma_f32 v85, v64, v69, -v72
	v_fmac_f32_e32 v84, v64, v68
	ds_write_b64 v81, v[70:71]
	s_waitcnt vmcnt(0)
	v_mul_f32_e32 v83, v59, v68
	v_mul_f32_e32 v88, v59, v69
	v_fma_f32 v87, v62, v69, -v73
	v_fmac_f32_e32 v86, v62, v68
	ds_read_b64 v[72:73], v80 offset:392
	ds_write_b64 v81, v[84:85] offset:536
	v_fma_f32 v89, v58, v69, -v83
	v_fmac_f32_e32 v88, v58, v68
	ds_read_b64 v[70:71], v80 offset:400
	ds_write_b64 v81, v[86:87] offset:1072
	ds_read_b64 v[68:69], v80 offset:408
	ds_write_b64 v81, v[88:89] offset:1608
	s_waitcnt lgkmcnt(0)
	s_barrier
	ds_read2_b64 v[84:87], v79 offset1:1
	ds_read2_b64 v[88:91], v79 offset0:2 offset1:3
	s_waitcnt lgkmcnt(0)
	s_barrier
	v_pk_add_f32 v[84:85], v[84:85], 0 op_sel_hi:[1,0]
	ds_write2_b64 v82, v[100:101], v[102:103] offset1:16
	v_pk_add_f32 v[84:85], v[84:85], v[86:87]
	s_nop 0
	v_pk_add_f32 v[84:85], v[84:85], v[88:89]
	s_nop 0
	v_pk_add_f32 v[84:85], v[84:85], v[90:91]
	ds_write2_b64 v82, v[92:93], v[84:85] offset0:32 offset1:48
	s_waitcnt lgkmcnt(0)
	s_barrier
	s_and_saveexec_b64 s[46:47], s[4:5]
	s_cbranch_execz .LBB10_122
; %bb.126:                              ;   in Loop: Header=BB10_123 Depth=1
	ds_read_b64 v[92:93], v77
	ds_read2_b64 v[84:87], v77 offset0:1 offset1:2
	ds_read2_b64 v[88:91], v77 offset0:3 offset1:4
	v_lshl_add_u64 v[96:97], v[6:7], 3, s[6:7]
	s_waitcnt lgkmcnt(1)
	v_add_f32_e32 v83, v84, v92
	v_add_f32_e32 v84, v85, v93
	;; [unrolled: 1-line block ×4, first 2 shown]
	ds_read2_b64 v[84:87], v77 offset0:5 offset1:6
	s_waitcnt lgkmcnt(1)
	v_add_f32_e32 v83, v83, v88
	v_add_f32_e32 v88, v92, v89
	;; [unrolled: 1-line block ×4, first 2 shown]
	ds_read2_b64 v[88:91], v77 offset0:7 offset1:8
	s_waitcnt lgkmcnt(1)
	v_pk_add_f32 v[84:85], v[92:93], v[84:85]
	ds_read2_b64 v[92:95], v77 offset0:9 offset1:10
	v_pk_add_f32 v[84:85], v[84:85], v[86:87]
	s_waitcnt lgkmcnt(1)
	v_pk_add_f32 v[84:85], v[84:85], v[88:89]
	s_nop 0
	v_pk_add_f32 v[88:89], v[84:85], v[90:91]
	ds_read2_b64 v[84:87], v77 offset0:11 offset1:12
	s_waitcnt lgkmcnt(1)
	v_pk_add_f32 v[92:93], v[88:89], v[92:93]
	ds_read2_b64 v[88:91], v77 offset0:13 offset1:14
	v_pk_add_f32 v[92:93], v[92:93], v[94:95]
	ds_read_b64 v[94:95], v78
	s_waitcnt lgkmcnt(2)
	v_pk_add_f32 v[84:85], v[92:93], v[84:85]
	s_nop 0
	v_pk_add_f32 v[84:85], v[84:85], v[86:87]
	s_waitcnt lgkmcnt(1)
	v_pk_add_f32 v[84:85], v[84:85], v[88:89]
	s_nop 0
	v_pk_add_f32 v[84:85], v[84:85], v[90:91]
	s_waitcnt lgkmcnt(0)
	v_pk_add_f32 v[84:85], v[84:85], v[94:95]
	global_store_dwordx2 v[96:97], v[84:85], off
	s_branch .LBB10_122
.LBB10_127:
	s_movk_i32 s0, 0x218
	v_mad_u32_u24 v0, v17, s0, v74
	s_or_b64 s[0:1], s[16:17], vcc
	s_xor_b64 s[0:1], s[0:1], -1
	ds_write_b64 v0, v[18:19]
	s_waitcnt lgkmcnt(0)
	s_barrier
	s_and_saveexec_b64 s[2:3], s[0:1]
	s_cbranch_execz .LBB10_129
; %bb.128:
	ds_read2_b64 v[0:3], v74 offset1:67
	ds_read2_b64 v[4:7], v74 offset0:134 offset1:201
	v_ashrrev_i32_e32 v17, 31, v16
	v_lshl_add_u64 v[8:9], v[16:17], 3, s[6:7]
	s_waitcnt lgkmcnt(1)
	v_pk_add_f32 v[0:1], v[2:3], v[0:1]
	s_waitcnt lgkmcnt(0)
	v_pk_add_f32 v[0:1], v[0:1], v[4:5]
	s_nop 0
	v_pk_add_f32 v[0:1], v[0:1], v[6:7]
	global_store_dwordx2 v[8:9], v[0:1], off
.LBB10_129:
	s_endpgm
	.section	.rodata,"a",@progbits
	.p2align	6, 0x0
	.amdhsa_kernel _ZL26rocblas_hemvn_kernel_lowerILb1ELi64ELi4ELi33ELi32ELi16EiPK19rocblas_complex_numIfES3_PS1_EviT6_lT7_lT5_lS6_lS7_lS5_lT8_i
		.amdhsa_group_segment_fixed_size 9600
		.amdhsa_private_segment_fixed_size 0
		.amdhsa_kernarg_size 376
		.amdhsa_user_sgpr_count 2
		.amdhsa_user_sgpr_dispatch_ptr 0
		.amdhsa_user_sgpr_queue_ptr 0
		.amdhsa_user_sgpr_kernarg_segment_ptr 1
		.amdhsa_user_sgpr_dispatch_id 0
		.amdhsa_user_sgpr_kernarg_preload_length 0
		.amdhsa_user_sgpr_kernarg_preload_offset 0
		.amdhsa_user_sgpr_private_segment_size 0
		.amdhsa_uses_dynamic_stack 0
		.amdhsa_enable_private_segment 0
		.amdhsa_system_sgpr_workgroup_id_x 1
		.amdhsa_system_sgpr_workgroup_id_y 0
		.amdhsa_system_sgpr_workgroup_id_z 1
		.amdhsa_system_sgpr_workgroup_info 0
		.amdhsa_system_vgpr_workitem_id 1
		.amdhsa_next_free_vgpr 104
		.amdhsa_next_free_sgpr 48
		.amdhsa_accum_offset 104
		.amdhsa_reserve_vcc 1
		.amdhsa_float_round_mode_32 0
		.amdhsa_float_round_mode_16_64 0
		.amdhsa_float_denorm_mode_32 3
		.amdhsa_float_denorm_mode_16_64 3
		.amdhsa_dx10_clamp 1
		.amdhsa_ieee_mode 1
		.amdhsa_fp16_overflow 0
		.amdhsa_tg_split 0
		.amdhsa_exception_fp_ieee_invalid_op 0
		.amdhsa_exception_fp_denorm_src 0
		.amdhsa_exception_fp_ieee_div_zero 0
		.amdhsa_exception_fp_ieee_overflow 0
		.amdhsa_exception_fp_ieee_underflow 0
		.amdhsa_exception_fp_ieee_inexact 0
		.amdhsa_exception_int_div_zero 0
	.end_amdhsa_kernel
	.section	.text._ZL26rocblas_hemvn_kernel_lowerILb1ELi64ELi4ELi33ELi32ELi16EiPK19rocblas_complex_numIfES3_PS1_EviT6_lT7_lT5_lS6_lS7_lS5_lT8_i,"axG",@progbits,_ZL26rocblas_hemvn_kernel_lowerILb1ELi64ELi4ELi33ELi32ELi16EiPK19rocblas_complex_numIfES3_PS1_EviT6_lT7_lT5_lS6_lS7_lS5_lT8_i,comdat
.Lfunc_end10:
	.size	_ZL26rocblas_hemvn_kernel_lowerILb1ELi64ELi4ELi33ELi32ELi16EiPK19rocblas_complex_numIfES3_PS1_EviT6_lT7_lT5_lS6_lS7_lS5_lT8_i, .Lfunc_end10-_ZL26rocblas_hemvn_kernel_lowerILb1ELi64ELi4ELi33ELi32ELi16EiPK19rocblas_complex_numIfES3_PS1_EviT6_lT7_lT5_lS6_lS7_lS5_lT8_i
                                        ; -- End function
	.section	.AMDGPU.csdata,"",@progbits
; Kernel info:
; codeLenInByte = 7952
; NumSgprs: 54
; NumVgprs: 104
; NumAgprs: 0
; TotalNumVgprs: 104
; ScratchSize: 0
; MemoryBound: 1
; FloatMode: 240
; IeeeMode: 1
; LDSByteSize: 9600 bytes/workgroup (compile time only)
; SGPRBlocks: 6
; VGPRBlocks: 12
; NumSGPRsForWavesPerEU: 54
; NumVGPRsForWavesPerEU: 104
; AccumOffset: 104
; Occupancy: 4
; WaveLimiterHint : 1
; COMPUTE_PGM_RSRC2:SCRATCH_EN: 0
; COMPUTE_PGM_RSRC2:USER_SGPR: 2
; COMPUTE_PGM_RSRC2:TRAP_HANDLER: 0
; COMPUTE_PGM_RSRC2:TGID_X_EN: 1
; COMPUTE_PGM_RSRC2:TGID_Y_EN: 0
; COMPUTE_PGM_RSRC2:TGID_Z_EN: 1
; COMPUTE_PGM_RSRC2:TIDIG_COMP_CNT: 1
; COMPUTE_PGM_RSRC3_GFX90A:ACCUM_OFFSET: 25
; COMPUTE_PGM_RSRC3_GFX90A:TG_SPLIT: 0
	.section	.text._ZL36rocblas_hemvn_kernel_lower_block_sumILi64EiPK19rocblas_complex_numIfEPS1_S1_EviT1_lS5_lT2_lT0_lPT3_i,"axG",@progbits,_ZL36rocblas_hemvn_kernel_lower_block_sumILi64EiPK19rocblas_complex_numIfEPS1_S1_EviT1_lS5_lT2_lT0_lPT3_i,comdat
	.globl	_ZL36rocblas_hemvn_kernel_lower_block_sumILi64EiPK19rocblas_complex_numIfEPS1_S1_EviT1_lS5_lT2_lT0_lPT3_i ; -- Begin function _ZL36rocblas_hemvn_kernel_lower_block_sumILi64EiPK19rocblas_complex_numIfEPS1_S1_EviT1_lS5_lT2_lT0_lPT3_i
	.p2align	8
	.type	_ZL36rocblas_hemvn_kernel_lower_block_sumILi64EiPK19rocblas_complex_numIfEPS1_S1_EviT1_lS5_lT2_lT0_lPT3_i,@function
_ZL36rocblas_hemvn_kernel_lower_block_sumILi64EiPK19rocblas_complex_numIfEPS1_S1_EviT1_lS5_lT2_lT0_lPT3_i: ; @_ZL36rocblas_hemvn_kernel_lower_block_sumILi64EiPK19rocblas_complex_numIfEPS1_S1_EviT1_lS5_lT2_lT0_lPT3_i
; %bb.0:
	s_load_dwordx8 s[4:11], s[0:1], 0x8
	s_waitcnt lgkmcnt(0)
	s_mul_i32 s7, s3, s7
	s_mul_hi_u32 s12, s3, s6
	s_add_i32 s7, s12, s7
	s_mul_i32 s6, s3, s6
	s_lshl_b64 s[6:7], s[6:7], 3
	s_add_u32 s4, s4, s6
	s_addc_u32 s5, s5, s7
	s_mul_i32 s6, s3, s11
	s_mul_hi_u32 s7, s3, s10
	s_add_i32 s11, s7, s6
	s_mul_i32 s10, s3, s10
	s_load_dwordx2 s[6:7], s[4:5], 0x0
	s_lshl_b64 s[4:5], s[10:11], 3
	s_add_u32 s4, s8, s4
	s_addc_u32 s5, s9, s5
	s_load_dwordx2 s[8:9], s[4:5], 0x0
	s_waitcnt lgkmcnt(0)
	s_or_b32 s4, s6, s7
	s_bitset0_b32 s4, 31
	s_cmp_eq_u32 s4, 0
	s_cselect_b64 s[4:5], -1, 0
	v_cmp_eq_f32_e64 s[10:11], s8, 1.0
	v_cmp_eq_f32_e64 s[12:13], s9, 0
	s_and_b64 s[10:11], s[10:11], s[12:13]
	s_and_b64 s[10:11], s[4:5], s[10:11]
	s_and_b64 vcc, exec, s[10:11]
	s_cbranch_vccnz .LBB11_17
; %bb.1:
	s_load_dwordx2 s[10:11], s[0:1], 0x40
	s_load_dword s16, s[0:1], 0x38
	s_load_dwordx4 s[20:23], s[0:1], 0x28
	s_load_dword s12, s[0:1], 0x0
	v_lshl_or_b32 v4, s2, 6, v0
	s_waitcnt lgkmcnt(0)
	s_mul_i32 s11, s3, s11
	s_mul_hi_u32 s13, s3, s10
	s_add_i32 s11, s13, s11
	s_mul_i32 s10, s3, s10
	s_lshl_b64 s[10:11], s[10:11], 3
	s_add_u32 s13, s20, s10
	s_addc_u32 s14, s21, s11
	s_lshl_b64 s[10:11], s[22:23], 3
	s_add_u32 s10, s13, s10
	s_addc_u32 s11, s14, s11
	s_mov_b64 s[14:15], -1
	s_andn2_b64 vcc, exec, s[4:5]
	v_cmp_gt_i32_e64 s[4:5], s12, v4
	s_cbranch_vccnz .LBB11_7
; %bb.2:
	s_and_saveexec_b64 s[14:15], s[4:5]
	s_cbranch_execz .LBB11_6
; %bb.3:
	v_cmp_neq_f32_e64 s[4:5], s8, 0
	v_cmp_neq_f32_e64 s[18:19], s9, 0
	v_mul_lo_u32 v0, v4, s16
	v_ashrrev_i32_e32 v1, 31, v0
	s_or_b64 s[4:5], s[4:5], s[18:19]
	s_andn2_b64 vcc, exec, s[4:5]
	v_mov_b32_e32 v2, 0
	v_lshl_add_u64 v[0:1], v[0:1], 3, s[10:11]
	v_mov_b32_e32 v3, 0
	s_cbranch_vccnz .LBB11_5
; %bb.4:
	global_load_dwordx2 v[6:7], v[0:1], off
	s_waitcnt vmcnt(0)
	v_pk_mul_f32 v[8:9], v[6:7], s[8:9] op_sel:[1,0]
	s_nop 0
	v_pk_fma_f32 v[2:3], v[6:7], s[8:9], v[8:9] op_sel:[0,0,1] op_sel_hi:[1,1,0] neg_lo:[0,0,1] neg_hi:[0,0,1]
	v_pk_fma_f32 v[6:7], v[6:7], s[8:9], v[8:9] op_sel:[0,0,1] op_sel_hi:[0,1,0]
	v_mov_b32_e32 v3, v7
.LBB11_5:
	global_store_dwordx2 v[0:1], v[2:3], off
.LBB11_6:
	s_or_b64 exec, exec, s[14:15]
	s_mov_b64 s[14:15], 0
.LBB11_7:
	s_andn2_b64 vcc, exec, s[14:15]
	s_cbranch_vccnz .LBB11_17
; %bb.8:
	v_cmp_gt_i32_e32 vcc, s12, v4
	s_and_saveexec_b64 s[4:5], vcc
	s_cbranch_execz .LBB11_17
; %bb.9:
	s_load_dword s4, s[0:1], 0x58
	v_mov_b32_e32 v1, 0
	v_mov_b32_e32 v0, v1
	s_waitcnt lgkmcnt(0)
	s_cmp_ge_i32 s2, s4
	s_cbranch_scc1 .LBB11_12
; %bb.10:
	s_ashr_i32 s13, s12, 31
	s_mul_i32 s5, s2, s12
	s_load_dwordx2 s[0:1], s[0:1], 0x48
	v_add_u32_e32 v0, s5, v4
	s_mul_hi_u32 s5, s12, s3
	s_mul_i32 s14, s13, s3
	s_add_i32 s5, s5, s14
	s_mul_i32 s3, s12, s3
	s_mul_i32 s5, s5, s4
	s_mul_hi_u32 s14, s3, s4
	s_add_i32 s15, s14, s5
	s_mul_i32 s14, s3, s4
	s_lshl_b64 s[14:15], s[14:15], 3
	s_waitcnt lgkmcnt(0)
	s_add_u32 s0, s0, s14
	v_ashrrev_i32_e32 v1, 31, v0
	s_addc_u32 s1, s1, s15
	v_lshl_add_u64 v[2:3], v[0:1], 3, s[0:1]
	v_mov_b32_e32 v0, 0
	s_lshl_b64 s[0:1], s[12:13], 3
	v_mov_b32_e32 v1, v0
.LBB11_11:                              ; =>This Inner Loop Header: Depth=1
	global_load_dwordx2 v[6:7], v[2:3], off
	s_add_i32 s2, s2, 1
	v_lshl_add_u64 v[2:3], v[2:3], 0, s[0:1]
	s_cmp_ge_i32 s2, s4
	s_waitcnt vmcnt(0)
	v_pk_add_f32 v[0:1], v[0:1], v[6:7]
	s_cbranch_scc0 .LBB11_11
.LBB11_12:
	v_cmp_neq_f32_e64 s[0:1], s8, 0
	v_cmp_neq_f32_e64 s[2:3], s9, 0
	s_or_b64 s[0:1], s[0:1], s[2:3]
	v_pk_mul_f32 v[6:7], v[0:1], s[6:7] op_sel:[1,0]
	v_mul_lo_u32 v4, v4, s16
	s_andn2_b64 vcc, exec, s[0:1]
	v_pk_fma_f32 v[2:3], v[0:1], s[6:7], v[6:7] op_sel:[0,0,1] op_sel_hi:[0,1,0]
	v_ashrrev_i32_e32 v5, 31, v4
	s_cbranch_vccz .LBB11_14
; %bb.13:
	v_pk_mul_f32 v[8:9], v[0:1], s[6:7] op_sel_hi:[0,1]
	v_sub_f32_e32 v2, v8, v7
	s_cbranch_execz .LBB11_15
	s_branch .LBB11_16
.LBB11_14:
.LBB11_15:
	v_lshl_add_u64 v[8:9], v[4:5], 3, s[10:11]
	global_load_dwordx2 v[8:9], v[8:9], off
	v_pk_fma_f32 v[0:1], v[0:1], s[6:7], v[6:7] op_sel:[0,0,1] op_sel_hi:[1,1,0] neg_lo:[0,0,1] neg_hi:[0,0,1]
	s_waitcnt vmcnt(0)
	v_pk_mul_f32 v[6:7], v[8:9], s[8:9] op_sel:[1,0]
	s_nop 0
	v_pk_fma_f32 v[10:11], v[8:9], s[8:9], v[6:7] op_sel:[0,0,1] op_sel_hi:[1,1,0] neg_lo:[0,0,1] neg_hi:[0,0,1]
	v_pk_fma_f32 v[6:7], v[8:9], s[8:9], v[6:7] op_sel:[0,0,1] op_sel_hi:[0,1,0]
	v_mov_b32_e32 v11, v7
	v_mov_b32_e32 v1, v3
	v_pk_add_f32 v[2:3], v[0:1], v[10:11]
.LBB11_16:
	v_lshl_add_u64 v[0:1], v[4:5], 3, s[10:11]
	global_store_dwordx2 v[0:1], v[2:3], off
.LBB11_17:
	s_endpgm
	.section	.rodata,"a",@progbits
	.p2align	6, 0x0
	.amdhsa_kernel _ZL36rocblas_hemvn_kernel_lower_block_sumILi64EiPK19rocblas_complex_numIfEPS1_S1_EviT1_lS5_lT2_lT0_lPT3_i
		.amdhsa_group_segment_fixed_size 0
		.amdhsa_private_segment_fixed_size 0
		.amdhsa_kernarg_size 344
		.amdhsa_user_sgpr_count 2
		.amdhsa_user_sgpr_dispatch_ptr 0
		.amdhsa_user_sgpr_queue_ptr 0
		.amdhsa_user_sgpr_kernarg_segment_ptr 1
		.amdhsa_user_sgpr_dispatch_id 0
		.amdhsa_user_sgpr_kernarg_preload_length 0
		.amdhsa_user_sgpr_kernarg_preload_offset 0
		.amdhsa_user_sgpr_private_segment_size 0
		.amdhsa_uses_dynamic_stack 0
		.amdhsa_enable_private_segment 0
		.amdhsa_system_sgpr_workgroup_id_x 1
		.amdhsa_system_sgpr_workgroup_id_y 0
		.amdhsa_system_sgpr_workgroup_id_z 1
		.amdhsa_system_sgpr_workgroup_info 0
		.amdhsa_system_vgpr_workitem_id 0
		.amdhsa_next_free_vgpr 12
		.amdhsa_next_free_sgpr 24
		.amdhsa_accum_offset 12
		.amdhsa_reserve_vcc 1
		.amdhsa_float_round_mode_32 0
		.amdhsa_float_round_mode_16_64 0
		.amdhsa_float_denorm_mode_32 3
		.amdhsa_float_denorm_mode_16_64 3
		.amdhsa_dx10_clamp 1
		.amdhsa_ieee_mode 1
		.amdhsa_fp16_overflow 0
		.amdhsa_tg_split 0
		.amdhsa_exception_fp_ieee_invalid_op 0
		.amdhsa_exception_fp_denorm_src 0
		.amdhsa_exception_fp_ieee_div_zero 0
		.amdhsa_exception_fp_ieee_overflow 0
		.amdhsa_exception_fp_ieee_underflow 0
		.amdhsa_exception_fp_ieee_inexact 0
		.amdhsa_exception_int_div_zero 0
	.end_amdhsa_kernel
	.section	.text._ZL36rocblas_hemvn_kernel_lower_block_sumILi64EiPK19rocblas_complex_numIfEPS1_S1_EviT1_lS5_lT2_lT0_lPT3_i,"axG",@progbits,_ZL36rocblas_hemvn_kernel_lower_block_sumILi64EiPK19rocblas_complex_numIfEPS1_S1_EviT1_lS5_lT2_lT0_lPT3_i,comdat
.Lfunc_end11:
	.size	_ZL36rocblas_hemvn_kernel_lower_block_sumILi64EiPK19rocblas_complex_numIfEPS1_S1_EviT1_lS5_lT2_lT0_lPT3_i, .Lfunc_end11-_ZL36rocblas_hemvn_kernel_lower_block_sumILi64EiPK19rocblas_complex_numIfEPS1_S1_EviT1_lS5_lT2_lT0_lPT3_i
                                        ; -- End function
	.section	.AMDGPU.csdata,"",@progbits
; Kernel info:
; codeLenInByte = 712
; NumSgprs: 30
; NumVgprs: 12
; NumAgprs: 0
; TotalNumVgprs: 12
; ScratchSize: 0
; MemoryBound: 0
; FloatMode: 240
; IeeeMode: 1
; LDSByteSize: 0 bytes/workgroup (compile time only)
; SGPRBlocks: 3
; VGPRBlocks: 1
; NumSGPRsForWavesPerEU: 30
; NumVGPRsForWavesPerEU: 12
; AccumOffset: 12
; Occupancy: 8
; WaveLimiterHint : 0
; COMPUTE_PGM_RSRC2:SCRATCH_EN: 0
; COMPUTE_PGM_RSRC2:USER_SGPR: 2
; COMPUTE_PGM_RSRC2:TRAP_HANDLER: 0
; COMPUTE_PGM_RSRC2:TGID_X_EN: 1
; COMPUTE_PGM_RSRC2:TGID_Y_EN: 0
; COMPUTE_PGM_RSRC2:TGID_Z_EN: 1
; COMPUTE_PGM_RSRC2:TIDIG_COMP_CNT: 0
; COMPUTE_PGM_RSRC3_GFX90A:ACCUM_OFFSET: 2
; COMPUTE_PGM_RSRC3_GFX90A:TG_SPLIT: 0
	.section	.text._ZL26rocblas_hemvn_kernel_lowerILb1ELi64ELi4ELi33ELi32ELi16El19rocblas_complex_numIfEPKS1_PS1_EviT6_lT7_lT5_lS6_lS7_lS5_lT8_i,"axG",@progbits,_ZL26rocblas_hemvn_kernel_lowerILb1ELi64ELi4ELi33ELi32ELi16El19rocblas_complex_numIfEPKS1_PS1_EviT6_lT7_lT5_lS6_lS7_lS5_lT8_i,comdat
	.globl	_ZL26rocblas_hemvn_kernel_lowerILb1ELi64ELi4ELi33ELi32ELi16El19rocblas_complex_numIfEPKS1_PS1_EviT6_lT7_lT5_lS6_lS7_lS5_lT8_i ; -- Begin function _ZL26rocblas_hemvn_kernel_lowerILb1ELi64ELi4ELi33ELi32ELi16El19rocblas_complex_numIfEPKS1_PS1_EviT6_lT7_lT5_lS6_lS7_lS5_lT8_i
	.p2align	8
	.type	_ZL26rocblas_hemvn_kernel_lowerILb1ELi64ELi4ELi33ELi32ELi16El19rocblas_complex_numIfEPKS1_PS1_EviT6_lT7_lT5_lS6_lS7_lS5_lT8_i,@function
_ZL26rocblas_hemvn_kernel_lowerILb1ELi64ELi4ELi33ELi32ELi16El19rocblas_complex_numIfEPKS1_PS1_EviT6_lT7_lT5_lS6_lS7_lS5_lT8_i: ; @_ZL26rocblas_hemvn_kernel_lowerILb1ELi64ELi4ELi33ELi32ELi16El19rocblas_complex_numIfEPKS1_PS1_EviT6_lT7_lT5_lS6_lS7_lS5_lT8_i
; %bb.0:
	s_load_dwordx2 s[6:7], s[0:1], 0x84
	s_add_u32 s4, s0, 0x78
	s_addc_u32 s5, s1, 0
	s_waitcnt lgkmcnt(0)
	s_lshr_b32 s8, s6, 16
	s_and_b32 s6, s6, 0xffff
	s_and_b32 s7, s7, 0xffff
	s_mul_i32 s6, s8, s6
	s_mul_i32 s6, s6, s7
	s_cmpk_lg_i32 s6, 0x100
	s_cbranch_scc1 .LBB12_129
; %bb.1:
	s_load_dwordx2 s[6:7], s[0:1], 0x4
	s_mov_b64 s[8:9], -1
	s_waitcnt lgkmcnt(0)
	s_or_b32 s6, s6, s7
	s_bitset0_b32 s6, 31
	s_cmp_lg_u32 s6, 0
	s_cselect_b64 s[6:7], -1, 0
	s_and_b64 vcc, exec, s[6:7]
	s_cbranch_vccnz .LBB12_3
; %bb.2:
	s_load_dwordx2 s[8:9], s[0:1], 0x58
	s_waitcnt lgkmcnt(0)
	v_cmp_neq_f32_e64 s[10:11], s8, 1.0
	v_cmp_neq_f32_e64 s[8:9], s9, 0
	s_or_b64 s[8:9], s[10:11], s[8:9]
.LBB12_3:
	s_andn2_b64 vcc, exec, s[8:9]
	s_cbranch_vccnz .LBB12_129
; %bb.4:
	s_andn2_b64 vcc, exec, s[6:7]
	s_cbranch_vccnz .LBB12_129
; %bb.5:
	s_load_dwordx16 s[36:51], s[0:1], 0x18
	s_load_dword s52, s[4:5], 0x0
	s_load_dword s33, s[0:1], 0x0
	v_and_b32_e32 v26, 0x3ff, v0
	v_bfe_u32 v76, v0, 10, 10
	s_waitcnt lgkmcnt(0)
	s_mul_i32 s5, s3, s51
	s_mul_hi_u32 s6, s3, s50
	s_mul_i32 s4, s3, s50
	s_add_i32 s5, s6, s5
	s_lshl_b64 s[4:5], s[4:5], 3
	s_add_u32 s6, s44, s4
	s_addc_u32 s7, s45, s5
	s_lshl_b64 s[4:5], s[46:47], 3
	s_add_u32 s4, s6, s4
	s_addc_u32 s5, s7, s5
	s_ashr_i32 s44, s33, 31
	s_lshr_b32 s7, s44, 26
	s_add_i32 s7, s33, s7
	s_lshl_b32 s26, s2, 6
	s_andn2_b32 s7, s7, 63
	s_add_i32 s6, s52, -1
	s_sub_i32 s7, s33, s7
	v_add_u32_e32 v16, s26, v26
	s_cmp_eq_u32 s2, s6
	v_ashrrev_i32_e32 v17, 31, v16
	s_cselect_b32 s24, s7, 0
	v_mul_lo_u32 v2, v17, s48
	v_mul_lo_u32 v3, v16, s49
	v_mad_u64_u32 v[0:1], s[6:7], v16, s48, 0
	v_add3_u32 v1, v1, v3, v2
	v_lshl_add_u64 v[20:21], v[0:1], 3, s[4:5]
	v_cmp_ne_u32_e64 s[4:5], 0, v76
	v_cmp_eq_u32_e64 s[18:19], 0, v76
	s_and_saveexec_b64 s[6:7], s[18:19]
	s_cbranch_execz .LBB12_10
; %bb.6:
	s_cmp_lg_u32 s24, 0
	s_cselect_b64 s[8:9], -1, 0
	v_cmp_le_i32_e32 vcc, s24, v26
	v_mov_b32_e32 v0, 0x2380
	s_and_b64 s[8:9], s[8:9], vcc
	v_lshl_add_u32 v0, v26, 3, v0
	s_and_saveexec_b64 s[10:11], s[8:9]
	s_xor_b64 s[8:9], exec, s[10:11]
	s_cbranch_execz .LBB12_8
; %bb.7:
	v_mov_b32_e32 v2, 0
	v_mov_b32_e32 v3, v2
	ds_write_b64 v0, v[2:3]
                                        ; implicit-def: $vgpr0
.LBB12_8:
	s_andn2_saveexec_b64 s[8:9], s[8:9]
	s_cbranch_execz .LBB12_10
; %bb.9:
	global_load_dwordx2 v[2:3], v[20:21], off
	s_waitcnt vmcnt(0)
	ds_write_b64 v0, v[2:3]
.LBB12_10:
	s_or_b64 exec, exec, s[6:7]
	s_mul_i32 s6, s3, s43
	s_mul_hi_u32 s7, s3, s42
	s_add_i32 s7, s7, s6
	s_mul_i32 s6, s3, s42
	s_lshl_b64 s[6:7], s[6:7], 3
	s_add_u32 s8, s36, s6
	s_addc_u32 s9, s37, s7
	s_lshl_b64 s[6:7], s[38:39], 3
	s_add_u32 s8, s8, s6
	s_addc_u32 s9, s9, s7
	s_ashr_i32 s27, s26, 31
	v_lshl_add_u32 v27, v76, 6, v26
	s_lshl_b64 s[6:7], s[26:27], 3
	v_and_b32_e32 v0, 31, v26
	v_lshrrev_b32_e32 v10, 5, v27
	s_add_u32 s8, s8, s6
	v_mov_b32_e32 v1, 0
	s_addc_u32 s9, s9, s7
	v_mad_u64_u32 v[22:23], s[6:7], v10, s40, v[0:1]
	v_mov_b32_e32 v2, v23
	v_mad_u64_u32 v[2:3], s[6:7], v10, s41, v[2:3]
	s_mul_i32 s6, s26, s41
	s_mul_hi_u32 s7, s26, s40
	s_add_i32 s6, s7, s6
	s_mul_i32 s7, s27, s40
	s_add_i32 s7, s6, s7
	s_mul_i32 s6, s26, s40
	s_lshl_b64 s[28:29], s[6:7], 3
	s_add_u32 s6, s28, s8
	s_addc_u32 s7, s29, s9
	s_cmp_lg_u32 s24, 0
	v_mov_b32_e32 v23, v2
	s_cselect_b64 s[30:31], -1, 0
	s_cmp_eq_u32 s24, 0
	v_lshl_add_u64 v[2:3], v[22:23], 3, s[6:7]
	s_cselect_b64 s[20:21], -1, 0
	s_and_b64 vcc, exec, s[30:31]
	s_cbranch_vccnz .LBB12_12
; %bb.11:
	s_lshl_b64 s[6:7], s[40:41], 6
	v_lshl_add_u64 v[4:5], v[2:3], 0, s[6:7]
	v_mov_b32_e32 v1, 0xc0
	global_load_dwordx2 v[6:7], v[4:5], off
	global_load_dwordx2 v[12:13], v[2:3], off
	v_lshl_add_u64 v[4:5], v[4:5], 0, s[6:7]
	v_mad_u64_u32 v[8:9], s[6:7], s40, v1, v[2:3]
	s_mul_i32 s6, s41, 0xc0
	global_load_dwordx2 v[4:5], v[4:5], off
	v_add_u32_e32 v9, s6, v9
	global_load_dwordx2 v[8:9], v[8:9], off
	v_mul_u32_u24_e32 v1, 33, v10
	v_add_lshl_u32 v1, v1, v0, 3
	s_waitcnt vmcnt(2)
	ds_write_b64 v1, v[12:13]
	ds_write_b64 v1, v[6:7] offset:2112
	s_waitcnt vmcnt(1)
	ds_write_b64 v1, v[4:5] offset:4224
	s_waitcnt vmcnt(0)
	ds_write_b64 v1, v[8:9] offset:6336
	s_cbranch_execz .LBB12_13
	s_branch .LBB12_28
.LBB12_12:
.LBB12_13:
	v_lshlrev_b32_e32 v4, 3, v0
	v_sub_co_u32_e32 v6, vcc, v2, v4
	s_ashr_i32 s25, s24, 31
	s_nop 0
	v_subbrev_co_u32_e32 v7, vcc, 0, v3, vcc
	v_lshl_add_u64 v[6:7], s[24:25], 3, v[6:7]
	v_lshl_add_u64 v[6:7], v[6:7], 0, -8
	v_cmp_gt_i32_e32 vcc, s24, v0
	v_mov_b32_e32 v8, 0
	v_cmp_gt_i32_e64 s[6:7], s24, v10
	v_cndmask_b32_e32 v7, v7, v3, vcc
	v_cndmask_b32_e32 v6, v6, v2, vcc
	v_mov_b32_e32 v9, v8
	s_and_saveexec_b64 s[8:9], s[6:7]
	s_cbranch_execz .LBB12_15
; %bb.14:
	global_load_dwordx2 v[8:9], v[6:7], off
.LBB12_15:
	s_or_b64 exec, exec, s[8:9]
	v_mul_u32_u24_e32 v1, 33, v10
	v_add_u32_e32 v5, 8, v10
	v_add_lshl_u32 v1, v1, v0, 3
	v_cmp_le_i32_e64 s[6:7], s24, v5
	s_waitcnt vmcnt(0)
	ds_write_b64 v1, v[8:9]
	s_and_saveexec_b64 s[8:9], s[6:7]
	s_xor_b64 s[6:7], exec, s[8:9]
	s_cbranch_execz .LBB12_17
; %bb.16:
	v_mul_u32_u24_e32 v5, 33, v5
	v_mov_b32_e32 v8, 0
	v_add_lshl_u32 v5, v5, v0, 3
	v_mov_b32_e32 v9, v8
	ds_write_b64 v5, v[8:9]
.LBB12_17:
	s_andn2_saveexec_b64 s[6:7], s[6:7]
	s_cbranch_execz .LBB12_19
; %bb.18:
	s_lshl_b64 s[8:9], s[40:41], 6
	v_lshl_add_u64 v[8:9], v[6:7], 0, s[8:9]
	global_load_dwordx2 v[8:9], v[8:9], off
	s_waitcnt vmcnt(0)
	ds_write_b64 v1, v[8:9] offset:2112
.LBB12_19:
	s_or_b64 exec, exec, s[6:7]
	v_add_u32_e32 v5, 16, v10
	v_cmp_le_i32_e64 s[6:7], s24, v5
	s_and_saveexec_b64 s[8:9], s[6:7]
	s_xor_b64 s[6:7], exec, s[8:9]
	s_cbranch_execz .LBB12_21
; %bb.20:
	v_mov_b32_e32 v8, 0
	v_mov_b32_e32 v9, v8
	ds_write_b64 v1, v[8:9] offset:4224
.LBB12_21:
	s_andn2_saveexec_b64 s[6:7], s[6:7]
	s_cbranch_execz .LBB12_23
; %bb.22:
	s_lshl_b64 s[8:9], s[40:41], 7
	v_lshl_add_u64 v[8:9], v[6:7], 0, s[8:9]
	global_load_dwordx2 v[8:9], v[8:9], off
	s_waitcnt vmcnt(0)
	ds_write_b64 v1, v[8:9] offset:4224
.LBB12_23:
	s_or_b64 exec, exec, s[6:7]
	v_add_u32_e32 v5, 24, v10
	v_cmp_le_i32_e64 s[6:7], s24, v5
	s_and_saveexec_b64 s[8:9], s[6:7]
	s_xor_b64 s[6:7], exec, s[8:9]
	s_cbranch_execz .LBB12_25
; %bb.24:
	v_mov_b32_e32 v8, 0
	v_mov_b32_e32 v9, v8
	ds_write_b64 v1, v[8:9] offset:6336
                                        ; implicit-def: $vgpr1
.LBB12_25:
	s_andn2_saveexec_b64 s[6:7], s[6:7]
	s_cbranch_execz .LBB12_27
; %bb.26:
	v_mov_b32_e32 v5, 0xc0
	v_mad_u64_u32 v[8:9], s[8:9], s40, v5, v[6:7]
	s_mul_i32 s8, s41, 0xc0
	s_nop 0
	v_add_u32_e32 v9, s8, v9
	global_load_dwordx2 v[8:9], v[8:9], off
	s_waitcnt vmcnt(0)
	ds_write_b64 v1, v[8:9] offset:6336
.LBB12_27:
	s_or_b64 exec, exec, s[6:7]
	v_mov_b32_e32 v5, 0
	v_lshl_add_u64 v[4:5], v[6:7], 0, v[4:5]
	s_lshl_b64 s[6:7], s[24:25], 3
	v_mov_b32_e32 v1, s7
	v_subrev_co_u32_e64 v4, s[6:7], s6, v4
	s_nop 1
	v_subb_co_u32_e64 v5, s[6:7], v5, v1, s[6:7]
	v_lshl_add_u64 v[4:5], v[4:5], 0, 8
	v_cndmask_b32_e32 v3, v5, v3, vcc
	v_cndmask_b32_e32 v2, v4, v2, vcc
.LBB12_28:
	v_lshlrev_b32_e32 v11, 2, v10
	v_cmp_ge_u32_e64 s[8:9], v11, v0
	s_waitcnt lgkmcnt(0)
	s_barrier
	s_and_saveexec_b64 s[6:7], s[8:9]
	s_xor_b64 s[6:7], exec, s[6:7]
	s_cbranch_execz .LBB12_32
; %bb.29:
	v_cmp_eq_u32_e32 vcc, v11, v0
	s_and_saveexec_b64 s[10:11], vcc
	s_cbranch_execz .LBB12_31
; %bb.30:
	v_mul_u32_u24_e32 v1, 34, v0
	v_lshlrev_b32_e32 v1, 3, v1
	v_mov_b32_e32 v4, 0
	ds_write_b32 v1, v4 offset:4
.LBB12_31:
	s_or_b64 exec, exec, s[10:11]
.LBB12_32:
	s_or_saveexec_b64 s[6:7], s[6:7]
	v_mul_u32_u24_e32 v28, 33, v0
	v_add_lshl_u32 v1, v11, v28, 3
	s_xor_b64 exec, exec, s[6:7]
	s_cbranch_execz .LBB12_34
; %bb.33:
	v_mul_u32_u24_e32 v4, 0x84, v10
	v_add_lshl_u32 v4, v4, v0, 3
	ds_read_b64 v[4:5], v4
	s_waitcnt lgkmcnt(0)
	v_xor_b32_e32 v5, 0x80000000, v5
	ds_write_b64 v1, v[4:5]
.LBB12_34:
	s_or_b64 exec, exec, s[6:7]
	v_or_b32_e32 v12, 1, v11
	v_cmp_ge_u32_e64 s[10:11], v12, v0
	s_and_saveexec_b64 s[6:7], s[10:11]
	s_xor_b64 s[6:7], exec, s[6:7]
	s_cbranch_execz .LBB12_38
; %bb.35:
	v_cmp_eq_u32_e32 vcc, v12, v0
	s_and_saveexec_b64 s[12:13], vcc
	s_cbranch_execz .LBB12_37
; %bb.36:
	v_mul_u32_u24_e32 v4, 34, v0
	v_lshlrev_b32_e32 v4, 3, v4
	v_mov_b32_e32 v5, 0
	ds_write_b32 v4, v5 offset:4
.LBB12_37:
	s_or_b64 exec, exec, s[12:13]
.LBB12_38:
	s_or_saveexec_b64 s[6:7], s[6:7]
	v_mul_u32_u24_e32 v4, 33, v12
	s_xor_b64 exec, exec, s[6:7]
	s_cbranch_execz .LBB12_40
; %bb.39:
	v_add_lshl_u32 v5, v4, v0, 3
	ds_read_b64 v[6:7], v5
	s_waitcnt lgkmcnt(0)
	v_xor_b32_e32 v7, 0x80000000, v7
	ds_write_b64 v1, v[6:7] offset:8
.LBB12_40:
	s_or_b64 exec, exec, s[6:7]
	v_or_b32_e32 v13, 2, v11
	v_cmp_ge_u32_e64 s[12:13], v13, v0
	s_and_saveexec_b64 s[6:7], s[12:13]
	s_xor_b64 s[6:7], exec, s[6:7]
	s_cbranch_execz .LBB12_44
; %bb.41:
	v_cmp_eq_u32_e32 vcc, v13, v0
	s_and_saveexec_b64 s[14:15], vcc
	s_cbranch_execz .LBB12_43
; %bb.42:
	v_mul_u32_u24_e32 v5, 34, v0
	v_lshlrev_b32_e32 v5, 3, v5
	v_mov_b32_e32 v6, 0
	ds_write_b32 v5, v6 offset:4
.LBB12_43:
	s_or_b64 exec, exec, s[14:15]
.LBB12_44:
	s_andn2_saveexec_b64 s[6:7], s[6:7]
	s_cbranch_execz .LBB12_46
; %bb.45:
	v_mul_u32_u24_e32 v5, 33, v13
	v_add_lshl_u32 v5, v5, v0, 3
	ds_read_b64 v[6:7], v5
	s_waitcnt lgkmcnt(0)
	v_xor_b32_e32 v7, 0x80000000, v7
	ds_write_b64 v1, v[6:7] offset:16
.LBB12_46:
	s_or_b64 exec, exec, s[6:7]
	v_or_b32_e32 v14, 3, v11
	v_cmp_ge_u32_e64 s[14:15], v14, v0
	s_and_saveexec_b64 s[6:7], s[14:15]
	s_xor_b64 s[6:7], exec, s[6:7]
	s_cbranch_execz .LBB12_50
; %bb.47:
	v_cmp_eq_u32_e32 vcc, v14, v0
	s_and_saveexec_b64 s[16:17], vcc
	s_cbranch_execz .LBB12_49
; %bb.48:
	v_mul_u32_u24_e32 v5, 34, v0
	v_lshlrev_b32_e32 v5, 3, v5
	v_mov_b32_e32 v6, 0
	ds_write_b32 v5, v6 offset:4
.LBB12_49:
	s_or_b64 exec, exec, s[16:17]
.LBB12_50:
	s_andn2_saveexec_b64 s[6:7], s[6:7]
	s_cbranch_execz .LBB12_52
; %bb.51:
	v_mul_u32_u24_e32 v5, 33, v14
	v_add_lshl_u32 v5, v5, v0, 3
	ds_read_b64 v[6:7], v5
	s_waitcnt lgkmcnt(0)
	v_xor_b32_e32 v7, 0x80000000, v7
	ds_write_b64 v1, v[6:7] offset:24
.LBB12_52:
	s_or_b64 exec, exec, s[6:7]
	v_mul_u32_u24_e32 v5, 0x84, v10
	v_lshlrev_b32_e32 v25, 3, v11
	s_waitcnt lgkmcnt(0)
	s_barrier
	v_add_lshl_u32 v24, v5, v0, 3
	v_add_lshl_u32 v15, v4, v0, 3
	ds_read_b128 v[4:7], v25 offset:9088
	ds_read_b64 v[8:9], v24
	ds_read2_b64 v[30:33], v15 offset1:33
	ds_read_b64 v[18:19], v15 offset:528
	ds_read_b128 v[34:37], v25 offset:9104
	s_mov_b32 s16, 0
	s_waitcnt lgkmcnt(3)
	v_pk_mul_f32 v[38:39], v[4:5], v[8:9] op_sel:[0,1]
	s_mov_b32 s17, s16
	v_pk_fma_f32 v[40:41], v[4:5], v[8:9], v[38:39] op_sel:[0,0,1] op_sel_hi:[1,1,0] neg_lo:[0,0,1] neg_hi:[0,0,1]
	v_pk_fma_f32 v[4:5], v[4:5], v[8:9], v[38:39] op_sel:[0,0,1] op_sel_hi:[1,0,0]
	s_waitcnt lgkmcnt(2)
	v_pk_mul_f32 v[8:9], v[6:7], v[30:31] op_sel:[0,1]
	v_mov_b32_e32 v41, v5
	v_pk_fma_f32 v[38:39], v[6:7], v[30:31], v[8:9] op_sel:[0,0,1] op_sel_hi:[1,1,0] neg_lo:[0,0,1] neg_hi:[0,0,1]
	v_pk_fma_f32 v[6:7], v[6:7], v[30:31], v[8:9] op_sel:[0,0,1] op_sel_hi:[1,0,0]
	v_pk_add_f32 v[4:5], v[40:41], 0 op_sel_hi:[1,0]
	v_mov_b32_e32 v39, v7
	s_waitcnt lgkmcnt(0)
	v_pk_mul_f32 v[6:7], v[34:35], v[32:33] op_sel:[0,1]
	v_pk_add_f32 v[4:5], v[4:5], v[38:39]
	v_pk_fma_f32 v[8:9], v[34:35], v[32:33], v[6:7] op_sel:[0,0,1] op_sel_hi:[1,1,0] neg_lo:[0,0,1] neg_hi:[0,0,1]
	v_pk_fma_f32 v[6:7], v[34:35], v[32:33], v[6:7] op_sel:[0,0,1] op_sel_hi:[1,0,0]
	v_add_lshl_u32 v29, v10, v28, 3
	v_mov_b32_e32 v9, v7
	v_pk_mul_f32 v[6:7], v[36:37], v[18:19] op_sel:[0,1]
	v_pk_add_f32 v[4:5], v[4:5], v[8:9]
	v_pk_fma_f32 v[8:9], v[36:37], v[18:19], v[6:7] op_sel:[0,0,1] op_sel_hi:[1,1,0] neg_lo:[0,0,1] neg_hi:[0,0,1]
	v_pk_fma_f32 v[6:7], v[36:37], v[18:19], v[6:7] op_sel:[0,0,1] op_sel_hi:[1,0,0]
	v_cmp_gt_u32_e64 s[6:7], 32, v27
	v_mov_b32_e32 v9, v7
	v_pk_add_f32 v[4:5], v[4:5], v[8:9]
	v_mov_b64_e32 v[18:19], s[16:17]
	s_barrier
	ds_write_b64 v29, v[4:5]
	s_waitcnt lgkmcnt(0)
	s_barrier
	s_and_saveexec_b64 s[16:17], s[6:7]
	s_cbranch_execz .LBB12_54
; %bb.53:
	v_lshlrev_b32_e32 v8, 3, v28
	ds_read2_b64 v[4:7], v8 offset1:7
	ds_read2_b64 v[30:33], v8 offset0:1 offset1:2
	ds_read2_b64 v[34:37], v8 offset0:3 offset1:4
	s_waitcnt lgkmcnt(1)
	v_add_f32_e32 v4, v30, v4
	v_add_f32_e32 v5, v31, v5
	;; [unrolled: 1-line block ×4, first 2 shown]
	ds_read2_b64 v[30:33], v8 offset0:5 offset1:6
	s_waitcnt lgkmcnt(1)
	v_add_f32_e32 v4, v4, v34
	v_add_f32_e32 v5, v5, v35
	;; [unrolled: 1-line block ×4, first 2 shown]
	s_waitcnt lgkmcnt(0)
	v_add_f32_e32 v4, v4, v30
	v_add_f32_e32 v5, v5, v31
	;; [unrolled: 1-line block ×4, first 2 shown]
	v_pk_add_f32 v[18:19], v[4:5], v[6:7]
.LBB12_54:
	s_or_b64 exec, exec, s[16:17]
	s_lshl_b64 s[22:23], s[40:41], 8
	v_lshl_add_u64 v[4:5], v[2:3], 0, s[22:23]
	s_mov_b64 s[34:35], 0x100
	v_cndmask_b32_e64 v2, 0, 1, s[20:21]
	v_cmp_ne_u32_e64 s[16:17], 1, v2
	s_andn2_b64 vcc, exec, s[20:21]
	v_lshl_add_u64 v[2:3], v[4:5], 0, s[34:35]
	s_barrier
	s_cbranch_vccnz .LBB12_56
; %bb.55:
	s_lshl_b64 s[20:21], s[40:41], 6
	v_lshl_add_u64 v[6:7], v[4:5], 0, s[20:21]
	v_mov_b32_e32 v30, 0xc0
	v_lshl_add_u64 v[8:9], v[6:7], 0, s[20:21]
	v_mad_u64_u32 v[30:31], s[20:21], s40, v30, v[4:5]
	s_mul_i32 s20, s41, 0xc0
	s_nop 0
	v_add_u32_e32 v31, s20, v31
	global_load_dwordx2 v[32:33], v[4:5], off offset:256
	global_load_dwordx2 v[34:35], v[6:7], off offset:256
	;; [unrolled: 1-line block ×4, first 2 shown]
	v_mul_u32_u24_e32 v4, 33, v10
	v_add_lshl_u32 v4, v4, v0, 3
	s_waitcnt vmcnt(3)
	ds_write_b64 v4, v[32:33]
	s_waitcnt vmcnt(2)
	ds_write_b64 v4, v[34:35] offset:2112
	s_waitcnt vmcnt(1)
	ds_write_b64 v4, v[36:37] offset:4224
	;; [unrolled: 2-line block ×3, first 2 shown]
	s_cbranch_execz .LBB12_57
	s_branch .LBB12_72
.LBB12_56:
.LBB12_57:
	v_lshlrev_b32_e32 v4, 3, v0
	v_sub_co_u32_e32 v6, vcc, v2, v4
	s_ashr_i32 s25, s24, 31
	s_nop 0
	v_subbrev_co_u32_e32 v7, vcc, 0, v3, vcc
	s_movk_i32 s20, 0xfef8
	v_or_b32_e32 v5, 32, v0
	v_lshl_add_u64 v[6:7], s[24:25], 3, v[6:7]
	s_mov_b32 s21, -1
	v_lshl_add_u64 v[6:7], v[6:7], 0, s[20:21]
	v_cmp_gt_i32_e32 vcc, s24, v5
	s_sub_i32 s36, s24, 32
	v_mov_b32_e32 v8, 0
	v_cndmask_b32_e32 v7, v7, v3, vcc
	v_cndmask_b32_e32 v6, v6, v2, vcc
	v_cmp_gt_i32_e64 s[20:21], s36, v10
	v_mov_b32_e32 v9, v8
	s_and_saveexec_b64 s[34:35], s[20:21]
	s_cbranch_execz .LBB12_59
; %bb.58:
	global_load_dwordx2 v[8:9], v[6:7], off
.LBB12_59:
	s_or_b64 exec, exec, s[34:35]
	v_mul_u32_u24_e32 v5, 33, v10
	v_add_lshl_u32 v5, v5, v0, 3
	s_waitcnt vmcnt(0)
	ds_write_b64 v5, v[8:9]
	v_add_u32_e32 v8, 8, v10
	v_cmp_le_i32_e64 s[20:21], s36, v8
	s_and_saveexec_b64 s[34:35], s[20:21]
	s_xor_b64 s[20:21], exec, s[34:35]
	s_cbranch_execz .LBB12_61
; %bb.60:
	v_mul_u32_u24_e32 v8, 33, v8
	v_add_lshl_u32 v30, v8, v0, 3
	v_mov_b32_e32 v8, 0
	v_mov_b32_e32 v9, v8
	ds_write_b64 v30, v[8:9]
.LBB12_61:
	s_andn2_saveexec_b64 s[20:21], s[20:21]
	s_cbranch_execz .LBB12_63
; %bb.62:
	s_lshl_b64 s[34:35], s[40:41], 6
	v_lshl_add_u64 v[8:9], v[6:7], 0, s[34:35]
	global_load_dwordx2 v[8:9], v[8:9], off
	s_waitcnt vmcnt(0)
	ds_write_b64 v5, v[8:9] offset:2112
.LBB12_63:
	s_or_b64 exec, exec, s[20:21]
	v_add_u32_e32 v8, 16, v10
	v_cmp_le_i32_e64 s[20:21], s36, v8
	s_and_saveexec_b64 s[34:35], s[20:21]
	s_xor_b64 s[20:21], exec, s[34:35]
	s_cbranch_execz .LBB12_65
; %bb.64:
	v_mov_b32_e32 v8, 0
	v_mov_b32_e32 v9, v8
	ds_write_b64 v5, v[8:9] offset:4224
.LBB12_65:
	s_andn2_saveexec_b64 s[20:21], s[20:21]
	s_cbranch_execz .LBB12_67
; %bb.66:
	s_lshl_b64 s[34:35], s[40:41], 7
	v_lshl_add_u64 v[8:9], v[6:7], 0, s[34:35]
	global_load_dwordx2 v[8:9], v[8:9], off
	s_waitcnt vmcnt(0)
	ds_write_b64 v5, v[8:9] offset:4224
.LBB12_67:
	s_or_b64 exec, exec, s[20:21]
	v_add_u32_e32 v8, 24, v10
	v_cmp_le_i32_e64 s[20:21], s36, v8
	s_and_saveexec_b64 s[34:35], s[20:21]
	s_xor_b64 s[20:21], exec, s[34:35]
	s_cbranch_execz .LBB12_69
; %bb.68:
	v_mov_b32_e32 v8, 0
	v_mov_b32_e32 v9, v8
	ds_write_b64 v5, v[8:9] offset:6336
                                        ; implicit-def: $vgpr5
.LBB12_69:
	s_andn2_saveexec_b64 s[20:21], s[20:21]
	s_cbranch_execz .LBB12_71
; %bb.70:
	v_mov_b32_e32 v8, 0xc0
	v_mad_u64_u32 v[8:9], s[34:35], s40, v8, v[6:7]
	s_mul_i32 s34, s41, 0xc0
	s_nop 0
	v_add_u32_e32 v9, s34, v9
	global_load_dwordx2 v[8:9], v[8:9], off
	s_waitcnt vmcnt(0)
	ds_write_b64 v5, v[8:9] offset:6336
.LBB12_71:
	s_or_b64 exec, exec, s[20:21]
	v_mov_b32_e32 v5, 0
	v_lshl_add_u64 v[4:5], v[6:7], 0, v[4:5]
	s_lshl_b64 s[20:21], s[24:25], 3
	v_mov_b32_e32 v6, s21
	v_subrev_co_u32_e64 v4, s[20:21], s20, v4
	s_nop 1
	v_subb_co_u32_e64 v5, s[20:21], v5, v6, s[20:21]
	s_mov_b64 s[20:21], 0x108
	s_nop 0
	v_lshl_add_u64 v[4:5], v[4:5], 0, s[20:21]
	v_cndmask_b32_e32 v3, v5, v3, vcc
	v_cndmask_b32_e32 v2, v4, v2, vcc
.LBB12_72:
	v_add_u32_e32 v30, 0x2380, v25
	s_lshl_b64 s[20:21], s[40:41], 5
	s_waitcnt lgkmcnt(0)
	s_barrier
	s_and_saveexec_b64 s[34:35], s[8:9]
	s_xor_b64 s[8:9], exec, s[34:35]
	s_cbranch_execnz .LBB12_85
; %bb.73:
	s_andn2_saveexec_b64 s[8:9], s[8:9]
	s_cbranch_execnz .LBB12_88
.LBB12_74:
	s_or_b64 exec, exec, s[8:9]
	s_and_saveexec_b64 s[8:9], s[10:11]
	s_xor_b64 s[8:9], exec, s[8:9]
	s_cbranch_execnz .LBB12_89
.LBB12_75:
	s_andn2_saveexec_b64 s[8:9], s[8:9]
	s_cbranch_execnz .LBB12_92
.LBB12_76:
	s_or_b64 exec, exec, s[8:9]
	s_and_saveexec_b64 s[8:9], s[12:13]
	s_xor_b64 s[8:9], exec, s[8:9]
	s_cbranch_execnz .LBB12_93
.LBB12_77:
	s_andn2_saveexec_b64 s[8:9], s[8:9]
	s_cbranch_execnz .LBB12_96
.LBB12_78:
	s_or_b64 exec, exec, s[8:9]
	s_and_saveexec_b64 s[8:9], s[14:15]
	s_xor_b64 s[8:9], exec, s[8:9]
	s_cbranch_execnz .LBB12_97
.LBB12_79:
	s_andn2_saveexec_b64 s[8:9], s[8:9]
	s_cbranch_execz .LBB12_81
.LBB12_80:
	ds_read_b64 v[4:5], v15 offset:528
	s_waitcnt lgkmcnt(0)
	v_xor_b32_e32 v5, 0x80000000, v5
	ds_write_b64 v1, v[4:5] offset:24
.LBB12_81:
	s_or_b64 exec, exec, s[8:9]
	s_waitcnt lgkmcnt(0)
	s_barrier
	ds_read_b64 v[8:9], v24
	ds_read_b128 v[4:7], v30 offset:256
	ds_read2_b64 v[32:35], v15 offset1:33
	ds_read_b64 v[24:25], v15 offset:528
	ds_read_b128 v[12:15], v30 offset:272
	v_cmp_eq_u32_e64 s[8:9], 1, v10
	s_waitcnt lgkmcnt(3)
	v_pk_mul_f32 v[36:37], v[4:5], v[8:9] op_sel:[0,1]
	s_waitcnt lgkmcnt(0)
	v_pk_fma_f32 v[38:39], v[4:5], v[8:9], v[36:37] op_sel:[0,0,1] op_sel_hi:[1,1,0] neg_lo:[0,0,1] neg_hi:[0,0,1]
	v_pk_fma_f32 v[4:5], v[4:5], v[8:9], v[36:37] op_sel:[0,0,1] op_sel_hi:[1,0,0]
	v_pk_mul_f32 v[8:9], v[6:7], v[32:33] op_sel:[0,1]
	v_mov_b32_e32 v39, v5
	v_pk_fma_f32 v[36:37], v[6:7], v[32:33], v[8:9] op_sel:[0,0,1] op_sel_hi:[1,1,0] neg_lo:[0,0,1] neg_hi:[0,0,1]
	v_pk_fma_f32 v[6:7], v[6:7], v[32:33], v[8:9] op_sel:[0,0,1] op_sel_hi:[1,0,0]
	v_pk_add_f32 v[4:5], v[38:39], 0 op_sel_hi:[1,0]
	v_mov_b32_e32 v37, v7
	v_pk_mul_f32 v[6:7], v[12:13], v[34:35] op_sel:[0,1]
	v_pk_add_f32 v[4:5], v[4:5], v[36:37]
	v_pk_fma_f32 v[8:9], v[12:13], v[34:35], v[6:7] op_sel:[0,0,1] op_sel_hi:[1,1,0] neg_lo:[0,0,1] neg_hi:[0,0,1]
	v_pk_fma_f32 v[6:7], v[12:13], v[34:35], v[6:7] op_sel:[0,0,1] op_sel_hi:[1,0,0]
	s_barrier
	v_mov_b32_e32 v9, v7
	v_pk_mul_f32 v[6:7], v[14:15], v[24:25] op_sel:[0,1]
	v_pk_add_f32 v[4:5], v[4:5], v[8:9]
	v_pk_fma_f32 v[8:9], v[14:15], v[24:25], v[6:7] op_sel:[0,0,1] op_sel_hi:[1,1,0] neg_lo:[0,0,1] neg_hi:[0,0,1]
	v_pk_fma_f32 v[6:7], v[14:15], v[24:25], v[6:7] op_sel:[0,0,1] op_sel_hi:[1,0,0]
	s_nop 0
	v_mov_b32_e32 v9, v7
	v_pk_add_f32 v[4:5], v[4:5], v[8:9]
	ds_write_b64 v29, v[4:5]
	s_waitcnt lgkmcnt(0)
	s_barrier
	s_and_saveexec_b64 s[10:11], s[8:9]
	s_cbranch_execz .LBB12_83
; %bb.82:
	v_lshlrev_b32_e32 v8, 3, v28
	ds_read2_b64 v[4:7], v8 offset1:7
	ds_read2_b64 v[12:15], v8 offset0:1 offset1:2
	ds_read2_b64 v[32:35], v8 offset0:3 offset1:4
	s_waitcnt lgkmcnt(1)
	v_add_f32_e32 v4, v12, v4
	v_add_f32_e32 v5, v13, v5
	;; [unrolled: 1-line block ×4, first 2 shown]
	ds_read2_b64 v[12:15], v8 offset0:5 offset1:6
	s_waitcnt lgkmcnt(1)
	v_add_f32_e32 v4, v4, v32
	v_add_f32_e32 v5, v5, v33
	;; [unrolled: 1-line block ×4, first 2 shown]
	s_waitcnt lgkmcnt(0)
	v_add_f32_e32 v4, v4, v12
	v_add_f32_e32 v5, v5, v13
	v_pk_add_f32 v[4:5], v[4:5], v[14:15]
	s_nop 0
	v_pk_add_f32 v[18:19], v[4:5], v[6:7]
.LBB12_83:
	s_or_b64 exec, exec, s[10:11]
	s_lshl_b64 s[10:11], s[20:21], 3
	v_mov_b32_e32 v4, s11
	v_subrev_co_u32_e64 v24, s[10:11], s10, v2
	s_and_b64 vcc, exec, s[16:17]
	s_nop 0
	v_subb_co_u32_e64 v25, s[10:11], v3, v4, s[10:11]
	s_barrier
	s_cbranch_vccnz .LBB12_100
; %bb.84:
	s_lshl_b64 s[10:11], s[40:41], 6
	v_lshl_add_u64 v[2:3], v[24:25], 0, s[10:11]
	v_mov_b32_e32 v6, 0xc0
	v_lshl_add_u64 v[4:5], v[2:3], 0, s[10:11]
	v_mad_u64_u32 v[6:7], s[10:11], s40, v6, v[24:25]
	s_mul_i32 s10, s41, 0xc0
	s_nop 0
	v_add_u32_e32 v7, s10, v7
	global_load_dwordx2 v[12:13], v[24:25], off
	global_load_dwordx2 v[14:15], v[2:3], off
	global_load_dwordx2 v[32:33], v[4:5], off
	global_load_dwordx2 v[34:35], v[6:7], off
	v_mad_u32_u24 v8, v10, 33, v0
	v_add_u32_e32 v6, 8, v10
	v_add_u32_e32 v7, 16, v10
	;; [unrolled: 1-line block ×3, first 2 shown]
	v_lshlrev_b32_e32 v4, 3, v8
	v_add_u32_e32 v2, 0x108, v8
	v_add_u32_e32 v3, 0x210, v8
	;; [unrolled: 1-line block ×3, first 2 shown]
	s_waitcnt vmcnt(3)
	ds_write_b64 v4, v[12:13]
	s_waitcnt vmcnt(2)
	ds_write_b64 v4, v[14:15] offset:2112
	s_waitcnt vmcnt(1)
	ds_write_b64 v4, v[32:33] offset:4224
	;; [unrolled: 2-line block ×3, first 2 shown]
	s_cbranch_execz .LBB12_101
	s_branch .LBB12_116
.LBB12_85:
	v_cmp_eq_u32_e32 vcc, v11, v0
	s_and_saveexec_b64 s[34:35], vcc
	s_cbranch_execz .LBB12_87
; %bb.86:
	v_mul_u32_u24_e32 v4, 34, v0
	v_lshlrev_b32_e32 v4, 3, v4
	v_mov_b32_e32 v5, 0
	ds_write_b32 v4, v5 offset:4
.LBB12_87:
	s_or_b64 exec, exec, s[34:35]
	s_andn2_saveexec_b64 s[8:9], s[8:9]
	s_cbranch_execz .LBB12_74
.LBB12_88:
	ds_read_b64 v[4:5], v24
	s_waitcnt lgkmcnt(0)
	v_xor_b32_e32 v5, 0x80000000, v5
	ds_write_b64 v1, v[4:5]
	s_or_b64 exec, exec, s[8:9]
	s_and_saveexec_b64 s[8:9], s[10:11]
	s_xor_b64 s[8:9], exec, s[8:9]
	s_cbranch_execz .LBB12_75
.LBB12_89:
	v_cmp_eq_u32_e32 vcc, v12, v0
	s_and_saveexec_b64 s[10:11], vcc
	s_cbranch_execz .LBB12_91
; %bb.90:
	v_mul_u32_u24_e32 v4, 34, v0
	v_lshlrev_b32_e32 v4, 3, v4
	v_mov_b32_e32 v5, 0
	ds_write_b32 v4, v5 offset:4
.LBB12_91:
	s_or_b64 exec, exec, s[10:11]
	s_andn2_saveexec_b64 s[8:9], s[8:9]
	s_cbranch_execz .LBB12_76
.LBB12_92:
	ds_read_b64 v[4:5], v15
	s_waitcnt lgkmcnt(0)
	v_xor_b32_e32 v5, 0x80000000, v5
	ds_write_b64 v1, v[4:5] offset:8
	s_or_b64 exec, exec, s[8:9]
	s_and_saveexec_b64 s[8:9], s[12:13]
	s_xor_b64 s[8:9], exec, s[8:9]
	s_cbranch_execz .LBB12_77
.LBB12_93:
	v_cmp_eq_u32_e32 vcc, v13, v0
	s_and_saveexec_b64 s[10:11], vcc
	s_cbranch_execz .LBB12_95
; %bb.94:
	v_mul_u32_u24_e32 v4, 34, v0
	v_lshlrev_b32_e32 v4, 3, v4
	v_mov_b32_e32 v5, 0
	ds_write_b32 v4, v5 offset:4
.LBB12_95:
	s_or_b64 exec, exec, s[10:11]
	s_andn2_saveexec_b64 s[8:9], s[8:9]
	s_cbranch_execz .LBB12_78
.LBB12_96:
	ds_read_b64 v[4:5], v15 offset:264
	s_waitcnt lgkmcnt(0)
	v_xor_b32_e32 v5, 0x80000000, v5
	ds_write_b64 v1, v[4:5] offset:16
	s_or_b64 exec, exec, s[8:9]
	s_and_saveexec_b64 s[8:9], s[14:15]
	s_xor_b64 s[8:9], exec, s[8:9]
	s_cbranch_execz .LBB12_79
.LBB12_97:
	v_cmp_eq_u32_e32 vcc, v14, v0
	s_and_saveexec_b64 s[10:11], vcc
	s_cbranch_execz .LBB12_99
; %bb.98:
	v_mul_u32_u24_e32 v4, 34, v0
	v_lshlrev_b32_e32 v4, 3, v4
	v_mov_b32_e32 v5, 0
	ds_write_b32 v4, v5 offset:4
.LBB12_99:
	s_or_b64 exec, exec, s[10:11]
	s_andn2_saveexec_b64 s[8:9], s[8:9]
	s_cbranch_execnz .LBB12_80
	s_branch .LBB12_81
.LBB12_100:
                                        ; implicit-def: $vgpr8
                                        ; implicit-def: $vgpr6
                                        ; implicit-def: $vgpr2
                                        ; implicit-def: $vgpr7
                                        ; implicit-def: $vgpr3
                                        ; implicit-def: $vgpr9
                                        ; implicit-def: $vgpr11
.LBB12_101:
	v_lshlrev_b32_e32 v2, 3, v0
	v_sub_co_u32_e32 v4, vcc, v24, v2
	s_ashr_i32 s25, s24, 31
	s_nop 0
	v_subbrev_co_u32_e32 v5, vcc, 0, v25, vcc
	s_movk_i32 s10, 0xfef8
	v_or_b32_e32 v3, 32, v0
	v_lshl_add_u64 v[4:5], s[24:25], 3, v[4:5]
	s_mov_b32 s11, -1
	v_lshl_add_u64 v[4:5], v[4:5], 0, s[10:11]
	v_cmp_gt_i32_e32 vcc, s24, v3
	v_mov_b32_e32 v6, 0
	v_cmp_gt_i32_e64 s[10:11], s24, v10
	v_cndmask_b32_e32 v5, v5, v25, vcc
	v_cndmask_b32_e32 v4, v4, v24, vcc
	v_mov_b32_e32 v7, v6
	s_and_saveexec_b64 s[12:13], s[10:11]
	s_cbranch_execz .LBB12_103
; %bb.102:
	global_load_dwordx2 v[6:7], v[4:5], off
.LBB12_103:
	s_or_b64 exec, exec, s[12:13]
	v_mad_u32_u24 v8, v10, 33, v0
	v_lshlrev_b32_e32 v3, 3, v8
	s_waitcnt vmcnt(0)
	ds_write_b64 v3, v[6:7]
	v_add_u32_e32 v6, 8, v10
	v_cmp_le_i32_e64 s[10:11], s24, v6
	s_and_saveexec_b64 s[12:13], s[10:11]
	s_xor_b64 s[10:11], exec, s[12:13]
	s_cbranch_execz .LBB12_105
; %bb.104:
	v_mul_u32_u24_e32 v7, 33, v6
	v_mov_b32_e32 v12, 0
	v_add_lshl_u32 v7, v7, v0, 3
	v_mov_b32_e32 v13, v12
	ds_write_b64 v7, v[12:13]
.LBB12_105:
	s_andn2_saveexec_b64 s[10:11], s[10:11]
	s_cbranch_execz .LBB12_107
; %bb.106:
	s_lshl_b64 s[12:13], s[40:41], 6
	v_lshl_add_u64 v[12:13], v[4:5], 0, s[12:13]
	global_load_dwordx2 v[12:13], v[12:13], off
	s_waitcnt vmcnt(0)
	ds_write_b64 v3, v[12:13] offset:2112
.LBB12_107:
	s_or_b64 exec, exec, s[10:11]
	v_add_u32_e32 v7, 16, v10
	v_cmp_le_i32_e64 s[10:11], s24, v7
	s_and_saveexec_b64 s[12:13], s[10:11]
	s_xor_b64 s[10:11], exec, s[12:13]
	s_cbranch_execz .LBB12_109
; %bb.108:
	v_mul_u32_u24_e32 v9, 33, v7
	v_mov_b32_e32 v12, 0
	v_add_lshl_u32 v0, v9, v0, 3
	v_mov_b32_e32 v13, v12
	ds_write_b64 v0, v[12:13]
.LBB12_109:
	s_andn2_saveexec_b64 s[10:11], s[10:11]
	s_cbranch_execz .LBB12_111
; %bb.110:
	s_lshl_b64 s[12:13], s[40:41], 7
	v_lshl_add_u64 v[12:13], v[4:5], 0, s[12:13]
	global_load_dwordx2 v[12:13], v[12:13], off
	s_waitcnt vmcnt(0)
	ds_write_b64 v3, v[12:13] offset:4224
.LBB12_111:
	s_or_b64 exec, exec, s[10:11]
	v_add_u32_e32 v9, 24, v10
	v_cmp_le_i32_e64 s[10:11], s24, v9
                                        ; implicit-def: $vgpr11
	s_and_saveexec_b64 s[12:13], s[10:11]
	s_xor_b64 s[10:11], exec, s[12:13]
	s_cbranch_execz .LBB12_113
; %bb.112:
	v_mov_b32_e32 v12, 0
	v_add_u32_e32 v11, 0x318, v8
	v_mov_b32_e32 v13, v12
	ds_write_b64 v3, v[12:13] offset:6336
                                        ; implicit-def: $vgpr3
.LBB12_113:
	s_andn2_saveexec_b64 s[10:11], s[10:11]
	s_cbranch_execz .LBB12_115
; %bb.114:
	v_mov_b32_e32 v0, 0xc0
	v_mad_u64_u32 v[12:13], s[12:13], s40, v0, v[4:5]
	s_mul_i32 s12, s41, 0xc0
	s_nop 0
	v_add_u32_e32 v13, s12, v13
	global_load_dwordx2 v[12:13], v[12:13], off
	v_add_u32_e32 v11, 0x318, v8
	s_waitcnt vmcnt(0)
	ds_write_b64 v3, v[12:13] offset:6336
.LBB12_115:
	s_or_b64 exec, exec, s[10:11]
	v_mov_b32_e32 v3, 0
	v_lshl_add_u64 v[2:3], v[4:5], 0, v[2:3]
	s_lshl_b64 s[10:11], s[24:25], 3
	v_mov_b32_e32 v0, s11
	v_subrev_co_u32_e64 v2, s[10:11], s10, v2
	s_nop 1
	v_subb_co_u32_e64 v3, s[10:11], v3, v0, s[10:11]
	s_mov_b64 s[10:11], 0x108
	s_nop 0
	v_lshl_add_u64 v[2:3], v[2:3], 0, s[10:11]
	v_cndmask_b32_e32 v25, v3, v25, vcc
	v_cndmask_b32_e32 v24, v2, v24, vcc
	v_add_u32_e32 v2, 0x108, v8
	v_add_u32_e32 v3, 0x210, v8
.LBB12_116:
	v_lshlrev_b32_e32 v0, 3, v8
	s_waitcnt lgkmcnt(0)
	s_barrier
	ds_read_b64 v[32:33], v0
	v_lshlrev_b32_e32 v4, 3, v10
	v_lshlrev_b32_e32 v5, 3, v2
	;; [unrolled: 1-line block ×7, first 2 shown]
	ds_read_b64 v[34:35], v0
	ds_read2_b64 v[8:11], v1 offset1:1
	ds_read2_b64 v[0:3], v1 offset0:2 offset1:3
	ds_read_b64 v[36:37], v6 offset:9088
	ds_read_b64 v[38:39], v5
	ds_read_b64 v[40:41], v4 offset:9088
	ds_read_b128 v[12:15], v30 offset:256
	ds_read_b128 v[4:7], v30 offset:272
	ds_read_b64 v[30:31], v31 offset:9088
	ds_read_b64 v[42:43], v42
	ds_read_b64 v[44:45], v44 offset:9088
	s_waitcnt lgkmcnt(5)
	v_pk_mul_f32 v[46:47], v[40:41], v[32:33] op_sel:[0,1]
	s_waitcnt lgkmcnt(0)
	v_pk_fma_f32 v[48:49], v[40:41], v[32:33], v[46:47] op_sel:[0,0,1] op_sel_hi:[1,1,0] neg_lo:[0,0,1] neg_hi:[0,0,1]
	v_pk_fma_f32 v[32:33], v[40:41], v[32:33], v[46:47] op_sel:[0,0,1] op_sel_hi:[1,0,0]
	v_pk_mul_f32 v[40:41], v[36:37], v[38:39] op_sel:[0,1]
	v_mov_b32_e32 v49, v33
	v_pk_fma_f32 v[46:47], v[36:37], v[38:39], v[40:41] op_sel:[0,0,1] op_sel_hi:[1,1,0] neg_lo:[0,0,1] neg_hi:[0,0,1]
	v_pk_fma_f32 v[36:37], v[36:37], v[38:39], v[40:41] op_sel:[0,0,1] op_sel_hi:[1,0,0]
	v_pk_add_f32 v[32:33], v[48:49], 0 op_sel_hi:[1,0]
	v_mov_b32_e32 v47, v37
	v_pk_mul_f32 v[36:37], v[44:45], v[34:35] op_sel:[0,1]
	v_pk_add_f32 v[32:33], v[32:33], v[46:47]
	v_pk_fma_f32 v[38:39], v[44:45], v[34:35], v[36:37] op_sel:[0,0,1] op_sel_hi:[1,1,0] neg_lo:[0,0,1] neg_hi:[0,0,1]
	v_pk_fma_f32 v[34:35], v[44:45], v[34:35], v[36:37] op_sel:[0,0,1] op_sel_hi:[1,0,0]
	s_barrier
	v_mov_b32_e32 v39, v35
	v_pk_mul_f32 v[34:35], v[30:31], v[42:43] op_sel:[0,1]
	v_pk_add_f32 v[32:33], v[32:33], v[38:39]
	v_pk_fma_f32 v[36:37], v[30:31], v[42:43], v[34:35] op_sel:[0,0,1] op_sel_hi:[1,1,0] neg_lo:[0,0,1] neg_hi:[0,0,1]
	v_pk_fma_f32 v[30:31], v[30:31], v[42:43], v[34:35] op_sel:[0,0,1] op_sel_hi:[1,0,0]
	s_nop 0
	v_mov_b32_e32 v37, v31
	v_pk_add_f32 v[30:31], v[32:33], v[36:37]
	ds_write_b64 v29, v[30:31]
	s_waitcnt lgkmcnt(0)
	s_barrier
	s_and_saveexec_b64 s[10:11], s[8:9]
	s_cbranch_execz .LBB12_118
; %bb.117:
	v_lshlrev_b32_e32 v42, 3, v28
	ds_read2_b64 v[30:33], v42 offset1:1
	ds_read2_b64 v[34:37], v42 offset0:2 offset1:3
	ds_read2_b64 v[38:41], v42 offset0:4 offset1:5
	s_waitcnt lgkmcnt(2)
	v_pk_add_f32 v[18:19], v[18:19], v[30:31]
	s_nop 0
	v_pk_add_f32 v[18:19], v[18:19], v[32:33]
	ds_read2_b64 v[30:33], v42 offset0:6 offset1:7
	s_waitcnt lgkmcnt(2)
	v_pk_add_f32 v[18:19], v[18:19], v[34:35]
	s_nop 0
	v_pk_add_f32 v[18:19], v[18:19], v[36:37]
	s_waitcnt lgkmcnt(1)
	v_pk_add_f32 v[18:19], v[18:19], v[38:39]
	s_nop 0
	v_pk_add_f32 v[18:19], v[18:19], v[40:41]
	;; [unrolled: 4-line block ×3, first 2 shown]
.LBB12_118:
	s_or_b64 exec, exec, s[10:11]
	v_pk_mul_f32 v[30:31], v[8:9], v[12:13] op_sel:[1,0]
	s_nop 0
	v_pk_fma_f32 v[32:33], v[8:9], v[12:13], v[30:31] op_sel:[0,0,1] op_sel_hi:[1,1,0]
	v_pk_fma_f32 v[8:9], v[8:9], v[12:13], v[30:31] op_sel:[0,0,1] op_sel_hi:[0,1,0] neg_lo:[0,0,1] neg_hi:[0,0,1]
	v_mov_b32_e32 v12, v11
	v_pk_mul_f32 v[12:13], v[12:13], v[14:15] op_sel_hi:[0,1]
	v_pk_fma_f32 v[30:31], v[10:11], v[14:15], v[12:13] op_sel:[0,0,1] op_sel_hi:[1,1,0]
	v_pk_fma_f32 v[10:11], v[10:11], v[14:15], v[12:13] op_sel:[0,0,1] op_sel_hi:[0,1,0] neg_lo:[0,0,1] neg_hi:[0,0,1]
	v_mov_b32_e32 v33, v9
	v_mov_b32_e32 v31, v11
	v_pk_mul_f32 v[10:11], v[0:1], v[4:5] op_sel:[1,0]
	v_pk_add_f32 v[8:9], v[32:33], 0 op_sel_hi:[1,0]
	v_pk_fma_f32 v[12:13], v[0:1], v[4:5], v[10:11] op_sel:[0,0,1] op_sel_hi:[1,1,0]
	v_pk_fma_f32 v[0:1], v[0:1], v[4:5], v[10:11] op_sel:[0,0,1] op_sel_hi:[0,1,0] neg_lo:[0,0,1] neg_hi:[0,0,1]
	v_mov_b32_e32 v4, v3
	v_pk_add_f32 v[8:9], v[8:9], v[30:31]
	v_mov_b32_e32 v13, v1
	v_pk_mul_f32 v[4:5], v[4:5], v[6:7] op_sel_hi:[0,1]
	v_pk_add_f32 v[0:1], v[8:9], v[12:13]
	v_pk_fma_f32 v[8:9], v[2:3], v[6:7], v[4:5] op_sel:[0,0,1] op_sel_hi:[1,1,0]
	v_pk_fma_f32 v[2:3], v[2:3], v[6:7], v[4:5] op_sel:[0,0,1] op_sel_hi:[0,1,0] neg_lo:[0,0,1] neg_hi:[0,0,1]
	v_mov_b32_e32 v9, v3
	v_pk_add_f32 v[0:1], v[0:1], v[8:9]
	s_barrier
	ds_write_b64 v29, v[0:1]
	s_waitcnt lgkmcnt(0)
	s_barrier
	s_and_saveexec_b64 s[8:9], s[6:7]
	s_cbranch_execz .LBB12_120
; %bb.119:
	v_lshlrev_b32_e32 v14, 3, v28
	ds_read2_b64 v[0:3], v14 offset1:1
	ds_read2_b64 v[4:7], v14 offset0:2 offset1:3
	ds_read2_b64 v[8:11], v14 offset0:4 offset1:5
	s_waitcnt lgkmcnt(2)
	v_pk_add_f32 v[0:1], v[18:19], v[0:1]
	s_nop 0
	v_pk_add_f32 v[12:13], v[0:1], v[2:3]
	ds_read2_b64 v[0:3], v14 offset0:6 offset1:7
	s_waitcnt lgkmcnt(2)
	v_pk_add_f32 v[4:5], v[12:13], v[4:5]
	s_nop 0
	v_pk_add_f32 v[4:5], v[4:5], v[6:7]
	s_waitcnt lgkmcnt(1)
	v_pk_add_f32 v[4:5], v[4:5], v[8:9]
	s_nop 0
	v_pk_add_f32 v[4:5], v[4:5], v[10:11]
	;; [unrolled: 4-line block ×3, first 2 shown]
.LBB12_120:
	s_or_b64 exec, exec, s[8:9]
	s_load_dwordx2 s[0:1], s[0:1], 0x68
	s_mul_hi_u32 s6, s33, s3
	s_mul_i32 s44, s44, s3
	s_add_i32 s6, s6, s44
	s_mul_i32 s3, s33, s3
	s_mul_i32 s6, s6, s52
	s_mul_hi_u32 s7, s3, s52
	s_add_i32 s7, s7, s6
	s_mul_i32 s6, s3, s52
	s_lshl_b64 s[6:7], s[6:7], 3
	s_waitcnt lgkmcnt(0)
	s_add_u32 s3, s0, s6
	s_mul_i32 s0, s2, s33
	s_addc_u32 s7, s1, s7
	s_ashr_i32 s1, s0, 31
	s_lshl_b64 s[0:1], s[0:1], 3
	s_add_u32 s6, s3, s0
	v_cmp_le_i32_e32 vcc, s24, v26
	s_addc_u32 s7, s7, s1
	s_and_b64 vcc, s[30:31], vcc
	s_cmp_lt_i32 s2, 1
	v_lshlrev_b32_e32 v4, 3, v26
	s_barrier
	s_cbranch_scc1 .LBB12_127
; %bb.121:
	s_mul_i32 s0, s26, s49
	s_mul_hi_u32 s1, s26, s48
	s_add_i32 s0, s1, s0
	s_mul_i32 s1, s27, s48
	s_add_i32 s1, s0, s1
	s_mul_i32 s0, s26, s48
	s_lshl_b64 s[0:1], s[0:1], 3
	v_mov_b32_e32 v0, s1
	v_subrev_co_u32_e64 v6, s[0:1], s0, v20
	v_lshlrev_b32_e32 v5, 2, v76
	s_nop 0
	v_subb_co_u32_e64 v7, s[0:1], v21, v0, s[0:1]
	v_mov_b32_e32 v0, s29
	v_subrev_co_u32_e64 v2, s[0:1], s28, v24
	s_ashr_i32 s25, s24, 31
	s_nop 0
	v_subb_co_u32_e64 v3, s[0:1], v25, v0, s[0:1]
	v_lshlrev_b64 v[0:1], 3, v[22:23]
	v_sub_co_u32_e64 v0, s[0:1], v2, v0
	v_and_b32_e32 v12, 15, v26
	s_nop 0
	v_subb_co_u32_e64 v1, s[0:1], v3, v1, s[0:1]
	v_mad_u64_u32 v[2:3], s[0:1], v5, s40, 0
	v_mov_b32_e32 v8, v3
	v_mad_u64_u32 v[8:9], s[0:1], v5, s41, v[8:9]
	v_mov_b32_e32 v3, v8
	v_lshl_add_u64 v[0:1], v[2:3], 3, v[0:1]
	s_movk_i32 s0, 0xfef8
	v_lshl_add_u64 v[2:3], s[24:25], 3, v[0:1]
	s_mov_b32 s1, -1
	v_mov_b32_e32 v9, 0
	v_lshl_add_u64 v[2:3], v[2:3], 0, s[0:1]
	v_mov_b32_e32 v5, v9
	s_movk_i32 s0, 0xff00
	v_lshl_add_u64 v[0:1], v[0:1], 0, v[4:5]
	s_mov_b32 s1, -1
	v_lshl_add_u64 v[0:1], v[0:1], 0, s[0:1]
	v_cndmask_b32_e32 v10, v0, v2, vcc
	v_and_b32_e32 v0, 48, v26
	v_cndmask_b32_e32 v11, v1, v3, vcc
	v_lshlrev_b32_e32 v1, 3, v0
	s_movk_i32 s3, 0x218
	v_lshrrev_b32_e32 v13, 4, v27
	v_mad_u32_u24 v78, v12, s3, v1
	v_or_b32_e32 v1, 0x78, v4
	v_mad_u32_u24 v79, v12, s3, v1
	v_lshlrev_b32_e32 v1, 5, v13
	v_mad_u32_u24 v80, v12, s3, v1
	v_mov_b32_e32 v1, 0x2180
	v_lshl_add_u32 v81, v76, 5, v1
	v_lshlrev_b32_e32 v1, 3, v13
	v_mad_u32_u24 v83, v12, s3, v1
	s_mul_i32 s3, s41, 24
	s_mul_hi_u32 s14, s40, 24
	s_add_i32 s15, s14, s3
	s_mul_i32 s3, s41, 0x90
	s_mul_hi_u32 s16, s40, 0x90
	s_add_i32 s17, s16, s3
	;; [unrolled: 3-line block ×9, first 2 shown]
	s_mul_i32 s3, s41, 0x108
	s_mul_hi_u32 s33, s40, 0x108
	s_movk_i32 s8, 0x860
	s_add_i32 s39, s33, s3
	s_mul_i32 s3, s41, 0x88
	s_mul_hi_u32 s33, s40, 0x88
	v_add_u32_e32 v5, 0x2180, v4
	v_add_u32_e32 v77, 0x2380, v4
	v_cmp_gt_u32_e64 s[0:1], 64, v27
	v_mad_u32_u24 v82, v76, s8, v4
	s_lshl_b64 s[8:9], s[40:41], 3
	s_lshl_b64 s[10:11], s[40:41], 9
	;; [unrolled: 1-line block ×3, first 2 shown]
	s_mul_i32 s14, s40, 24
	s_mul_i32 s16, s40, 0x90
	;; [unrolled: 1-line block ×10, first 2 shown]
	s_add_i32 s43, s33, s3
	s_mul_i32 s42, s40, 0x88
	s_lshl_b64 s[40:41], s[40:41], 7
	v_or_b32_e32 v84, v0, v12
	s_mov_b32 s3, 0
	s_branch .LBB12_123
.LBB12_122:                             ;   in Loop: Header=BB12_123 Depth=1
	s_or_b64 exec, exec, s[44:45]
	v_mul_f32_e32 v8, v12, v24
	v_fma_f32 v8, -v13, v25, v8
	v_pk_mul_f32 v[12:13], v[12:13], v[24:25] op_sel:[1,0] op_sel_hi:[0,1]
	v_add_f32_e32 v12, v12, v13
	v_add_f32_e32 v8, v18, v8
	;; [unrolled: 1-line block ×3, first 2 shown]
	v_mul_f32_e32 v12, v14, v30
	v_fma_f32 v12, -v15, v31, v12
	v_add_f32_e32 v8, v8, v12
	v_pk_mul_f32 v[12:13], v[14:15], v[30:31] op_sel:[1,0] op_sel_hi:[0,1]
	v_add_f32_e32 v12, v12, v13
	v_add_f32_e32 v14, v18, v12
	v_mul_f32_e32 v12, v20, v28
	v_fma_f32 v12, -v21, v29, v12
	v_add_f32_e32 v8, v8, v12
	v_pk_mul_f32 v[12:13], v[20:21], v[28:29] op_sel:[1,0] op_sel_hi:[0,1]
	v_add_f32_e32 v12, v12, v13
	v_add_f32_e32 v14, v14, v12
	;; [unrolled: 6-line block ×4, first 2 shown]
	v_mul_f32_e32 v12, v34, v52
	v_fma_f32 v12, -v35, v53, v12
	v_pk_mul_f32 v[14:15], v[34:35], v[52:53] op_sel:[1,0] op_sel_hi:[0,1]
	v_add_f32_e32 v12, v8, v12
	v_add_f32_e32 v8, v14, v15
	;; [unrolled: 1-line block ×3, first 2 shown]
	v_mov_b32_e32 v8, v45
	v_pk_mul_f32 v[14:15], v[36:37], v[8:9] op_sel:[1,0] op_sel_hi:[0,1]
	v_pk_fma_f32 v[14:15], v[36:37], v[44:45], v[14:15] neg_lo:[0,0,1] neg_hi:[0,0,1]
	v_pk_mul_f32 v[18:19], v[36:37], v[44:45] op_sel:[1,0] op_sel_hi:[0,1]
	v_mov_b32_e32 v15, v18
	v_pk_mul_f32 v[22:23], v[38:39], v[42:43] op_sel:[1,0] op_sel_hi:[0,1]
	v_pk_fma_f32 v[18:19], v[36:37], v[44:45], v[14:15] op_sel:[1,0,0] op_sel_hi:[0,1,1]
	v_mov_b32_e32 v8, v43
	v_mov_b32_e32 v15, v22
	v_pk_mul_f32 v[20:21], v[38:39], v[8:9] op_sel:[1,0] op_sel_hi:[0,1]
	v_pk_fma_f32 v[22:23], v[38:39], v[42:43], v[14:15] op_sel:[1,0,0] op_sel_hi:[0,1,1]
	v_mov_b32_e32 v15, v19
	v_pk_fma_f32 v[20:21], v[38:39], v[42:43], v[20:21] neg_lo:[0,0,1] neg_hi:[0,0,1]
	v_pk_add_f32 v[12:13], v[12:13], v[14:15]
	v_pk_mul_f32 v[14:15], v[46:47], v[56:57] op_sel:[1,1] op_sel_hi:[0,1]
	v_mov_b32_e32 v21, v23
	v_pk_mul_f32 v[18:19], v[54:55], v[0:1] op_sel:[0,1]
	v_pk_fma_f32 v[24:25], v[46:47], v[56:57], v[14:15] neg_lo:[0,0,1] neg_hi:[0,0,1]
	v_pk_fma_f32 v[14:15], v[46:47], v[56:57], v[14:15] op_sel_hi:[1,0,1]
	v_pk_add_f32 v[12:13], v[12:13], v[20:21]
	v_mov_b32_e32 v8, v3
	v_mov_b32_e32 v25, v15
	v_pk_fma_f32 v[14:15], v[54:55], v[0:1], v[18:19] op_sel:[0,0,1] op_sel_hi:[1,1,0] neg_lo:[0,0,1] neg_hi:[0,0,1]
	v_pk_fma_f32 v[0:1], v[54:55], v[0:1], v[18:19] op_sel:[0,0,1] op_sel_hi:[1,0,0]
	v_pk_mul_f32 v[20:21], v[50:51], v[8:9] op_sel_hi:[1,0]
	v_pk_add_f32 v[12:13], v[12:13], v[24:25]
	v_mov_b32_e32 v15, v1
	v_pk_add_f32 v[0:1], v[12:13], v[14:15]
	v_pk_fma_f32 v[12:13], v[50:51], v[2:3], v[20:21] op_sel:[0,0,1] op_sel_hi:[1,1,0] neg_lo:[0,0,1] neg_hi:[0,0,1]
	v_pk_fma_f32 v[2:3], v[50:51], v[2:3], v[20:21] op_sel:[0,0,1] op_sel_hi:[1,0,0]
	v_pk_mul_f32 v[22:23], v[48:49], v[58:59] op_sel:[0,1]
	v_mov_b32_e32 v13, v3
	v_pk_add_f32 v[0:1], v[0:1], v[12:13]
	v_pk_fma_f32 v[2:3], v[48:49], v[58:59], v[22:23] op_sel:[0,0,1] op_sel_hi:[1,1,0] neg_lo:[0,0,1] neg_hi:[0,0,1]
	v_pk_fma_f32 v[12:13], v[48:49], v[58:59], v[22:23] op_sel:[0,0,1] op_sel_hi:[1,0,0]
	v_pk_mul_f32 v[14:15], v[64:65], v[72:73] op_sel:[0,1]
	v_mov_b32_e32 v3, v13
	v_pk_add_f32 v[0:1], v[0:1], v[2:3]
	v_pk_mul_f32 v[2:3], v[62:63], v[68:69] op_sel:[0,1]
	v_pk_mul_f32 v[12:13], v[66:67], v[74:75] op_sel:[0,1]
	v_pk_fma_f32 v[20:21], v[62:63], v[68:69], v[2:3] op_sel:[0,0,1] op_sel_hi:[1,1,0] neg_lo:[0,0,1] neg_hi:[0,0,1]
	v_pk_fma_f32 v[2:3], v[62:63], v[68:69], v[2:3] op_sel:[0,0,1] op_sel_hi:[1,0,0]
	v_pk_mul_f32 v[18:19], v[60:61], v[70:71] op_sel:[0,1]
	v_mov_b32_e32 v21, v3
	v_pk_fma_f32 v[2:3], v[66:67], v[74:75], v[12:13] op_sel:[0,0,1] op_sel_hi:[1,1,0] neg_lo:[0,0,1] neg_hi:[0,0,1]
	v_pk_fma_f32 v[12:13], v[66:67], v[74:75], v[12:13] op_sel:[0,0,1] op_sel_hi:[1,0,0]
	v_pk_add_f32 v[0:1], v[0:1], v[20:21]
	v_mov_b32_e32 v3, v13
	v_pk_fma_f32 v[12:13], v[64:65], v[72:73], v[14:15] op_sel:[0,0,1] op_sel_hi:[1,1,0] neg_lo:[0,0,1] neg_hi:[0,0,1]
	v_pk_fma_f32 v[14:15], v[64:65], v[72:73], v[14:15] op_sel:[0,0,1] op_sel_hi:[1,0,0]
	v_pk_add_f32 v[0:1], v[0:1], v[2:3]
	;; [unrolled: 4-line block ×3, first 2 shown]
	v_mov_b32_e32 v15, v19
	s_add_i32 s3, s3, 64
	s_add_i32 s2, s2, -1
	v_pk_add_f32 v[18:19], v[0:1], v[14:15]
	s_cmp_eq_u32 s2, 0
	v_lshl_add_u64 v[10:11], v[10:11], 0, s[10:11]
	s_barrier
	s_cbranch_scc1 .LBB12_127
.LBB12_123:                             ; =>This Inner Loop Header: Depth=1
	s_and_saveexec_b64 s[44:45], s[18:19]
	s_cbranch_execz .LBB12_125
; %bb.124:                              ;   in Loop: Header=BB12_123 Depth=1
	s_mul_i32 s33, s3, s49
	s_mul_hi_u32 s46, s3, s48
	s_add_i32 s47, s46, s33
	s_mul_i32 s46, s3, s48
	v_lshl_add_u64 v[0:1], s[46:47], 3, v[6:7]
	global_load_dwordx2 v[0:1], v[0:1], off
	s_waitcnt vmcnt(0)
	ds_write_b64 v5, v[0:1]
.LBB12_125:                             ;   in Loop: Header=BB12_123 Depth=1
	s_or_b64 exec, exec, s[44:45]
	v_lshl_add_u64 v[0:1], v[10:11], 0, s[8:9]
	s_waitcnt lgkmcnt(0)
	s_barrier
	global_load_dwordx2 v[12:13], v[10:11], off
	global_load_dwordx2 v[14:15], v[0:1], off
	v_lshl_add_u64 v[0:1], v[10:11], 0, s[12:13]
	global_load_dwordx2 v[20:21], v[0:1], off
	v_lshl_add_u64 v[0:1], v[10:11], 0, s[14:15]
	global_load_dwordx2 v[22:23], v[0:1], off
	ds_read_b64 v[0:1], v77
	ds_read_b64 v[24:25], v81
	v_lshl_add_u64 v[2:3], v[10:11], 0, s[40:41]
	v_lshl_add_u64 v[60:61], v[10:11], 0, s[36:37]
	s_waitcnt vmcnt(3) lgkmcnt(1)
	v_mul_f32_e32 v26, v13, v1
	v_mul_f32_e32 v8, v13, v0
	v_fmac_f32_e32 v26, v12, v0
	v_fma_f32 v27, v12, v1, -v8
	s_waitcnt vmcnt(2)
	v_mul_f32_e32 v28, v15, v1
	v_mul_f32_e32 v8, v15, v0
	s_waitcnt vmcnt(1)
	v_mul_f32_e32 v32, v21, v1
	v_mul_f32_e32 v30, v21, v0
	s_waitcnt vmcnt(0)
	v_mul_f32_e32 v31, v23, v0
	ds_write_b64 v82, v[26:27]
	v_fmac_f32_e32 v28, v14, v0
	v_fma_f32 v29, v14, v1, -v8
	v_mul_f32_e32 v34, v23, v1
	v_fmac_f32_e32 v32, v20, v0
	v_fma_f32 v33, v20, v1, -v30
	v_fma_f32 v35, v22, v1, -v31
	ds_read_b64 v[30:31], v81 offset:8
	ds_write_b64 v82, v[28:29] offset:536
	v_fmac_f32_e32 v34, v22, v0
	ds_read_b64 v[28:29], v81 offset:16
	ds_write_b64 v82, v[32:33] offset:1072
	ds_read_b64 v[26:27], v81 offset:24
	ds_write_b64 v82, v[34:35] offset:1608
	s_waitcnt lgkmcnt(0)
	s_barrier
	ds_read2_b64 v[68:71], v80 offset1:1
	ds_read2_b64 v[72:75], v80 offset0:2 offset1:3
	s_waitcnt lgkmcnt(0)
	s_barrier
	global_load_dwordx2 v[32:33], v[2:3], off
	v_lshl_add_u64 v[0:1], v[10:11], 0, s[42:43]
	global_load_dwordx2 v[34:35], v[0:1], off
	v_lshl_add_u64 v[0:1], v[10:11], 0, s[16:17]
	global_load_dwordx2 v[36:37], v[0:1], off
	v_lshl_add_u64 v[0:1], v[10:11], 0, s[20:21]
	global_load_dwordx2 v[38:39], v[0:1], off
	ds_read_b64 v[0:1], v77
	ds_read_b64 v[40:41], v81 offset:128
	v_lshl_add_u64 v[2:3], v[10:11], 0, s[22:23]
	v_pk_add_f32 v[68:69], v[68:69], 0 op_sel_hi:[1,0]
	s_waitcnt vmcnt(3) lgkmcnt(1)
	v_mul_f32_e32 v42, v33, v1
	v_mul_f32_e32 v8, v33, v0
	s_waitcnt vmcnt(2)
	v_mul_f32_e32 v44, v35, v1
	v_mul_f32_e32 v45, v35, v0
	v_fmac_f32_e32 v42, v32, v0
	v_fma_f32 v43, v32, v1, -v8
	s_waitcnt vmcnt(1)
	v_mul_f32_e32 v46, v37, v1
	v_mul_f32_e32 v47, v37, v0
	v_fmac_f32_e32 v44, v34, v0
	v_fma_f32 v45, v34, v1, -v45
	ds_write_b64 v82, v[42:43]
	s_waitcnt vmcnt(0)
	v_mul_f32_e32 v48, v39, v1
	v_mul_f32_e32 v49, v39, v0
	v_fmac_f32_e32 v46, v36, v0
	v_fma_f32 v47, v36, v1, -v47
	ds_read_b64 v[52:53], v81 offset:136
	ds_write_b64 v82, v[44:45] offset:536
	v_fmac_f32_e32 v48, v38, v0
	v_fma_f32 v49, v38, v1, -v49
	ds_read_b64 v[44:45], v81 offset:144
	ds_write_b64 v82, v[46:47] offset:1072
	v_lshl_add_u64 v[0:1], v[10:11], 0, s[38:39]
	ds_read_b64 v[42:43], v81 offset:152
	ds_write_b64 v82, v[48:49] offset:1608
	s_waitcnt lgkmcnt(0)
	s_barrier
	ds_read2_b64 v[86:89], v80 offset1:1
	ds_read2_b64 v[90:93], v80 offset0:2 offset1:3
	s_waitcnt lgkmcnt(0)
	s_barrier
	global_load_dwordx2 v[46:47], v[2:3], off
	global_load_dwordx2 v[54:55], v[0:1], off
	v_lshl_add_u64 v[0:1], v[10:11], 0, s[24:25]
	global_load_dwordx2 v[50:51], v[0:1], off
	v_lshl_add_u64 v[0:1], v[10:11], 0, s[26:27]
	global_load_dwordx2 v[48:49], v[0:1], off
	ds_read_b64 v[0:1], v77
	ds_read_b64 v[56:57], v81 offset:256
	v_pk_add_f32 v[68:69], v[68:69], v[70:71]
	s_waitcnt vmcnt(3) lgkmcnt(1)
	v_mul_f32_e32 v2, v47, v1
	v_mul_f32_e32 v3, v47, v0
	s_waitcnt vmcnt(2)
	v_mul_f32_e32 v62, v55, v1
	v_mul_f32_e32 v8, v55, v0
	s_waitcnt vmcnt(1)
	v_mul_f32_e32 v64, v51, v1
	v_mul_f32_e32 v58, v51, v0
	v_fmac_f32_e32 v2, v46, v0
	v_fma_f32 v3, v46, v1, -v3
	s_waitcnt vmcnt(0)
	v_mul_f32_e32 v66, v49, v1
	v_mul_f32_e32 v59, v49, v0
	v_fmac_f32_e32 v62, v54, v0
	v_fma_f32 v63, v54, v1, -v8
	v_fmac_f32_e32 v64, v50, v0
	v_fma_f32 v65, v50, v1, -v58
	ds_write_b64 v82, v[2:3]
	v_fmac_f32_e32 v66, v48, v0
	v_fma_f32 v67, v48, v1, -v59
	ds_read2_b64 v[0:3], v81 offset0:33 offset1:34
	ds_read_b64 v[58:59], v81 offset:280
	ds_write2_b64 v82, v[62:63], v[64:65] offset0:67 offset1:134
	ds_write_b64 v82, v[66:67] offset:1608
	s_waitcnt lgkmcnt(0)
	s_barrier
	ds_read2_b64 v[94:97], v80 offset1:1
	ds_read2_b64 v[98:101], v80 offset0:2 offset1:3
	s_waitcnt lgkmcnt(0)
	s_barrier
	global_load_dwordx2 v[62:63], v[60:61], off
	v_lshl_add_u64 v[60:61], v[10:11], 0, s[34:35]
	global_load_dwordx2 v[66:67], v[60:61], off
	v_lshl_add_u64 v[60:61], v[10:11], 0, s[28:29]
	;; [unrolled: 2-line block ×3, first 2 shown]
	global_load_dwordx2 v[60:61], v[60:61], off
	v_pk_add_f32 v[68:69], v[68:69], v[72:73]
	v_pk_add_f32 v[72:73], v[94:95], 0 op_sel_hi:[1,0]
	v_pk_add_f32 v[102:103], v[68:69], v[74:75]
	v_pk_add_f32 v[68:69], v[86:87], 0 op_sel_hi:[1,0]
	v_pk_add_f32 v[72:73], v[72:73], v[96:97]
	v_pk_add_f32 v[68:69], v[68:69], v[88:89]
	;; [unrolled: 1-line block ×6, first 2 shown]
	ds_read_b64 v[70:71], v77
	ds_read_b64 v[68:69], v81 offset:384
	s_waitcnt vmcnt(3) lgkmcnt(1)
	v_mul_f32_e32 v72, v63, v71
	v_mul_f32_e32 v8, v63, v70
	s_waitcnt vmcnt(2)
	v_mul_f32_e32 v74, v67, v70
	v_mul_f32_e32 v86, v67, v71
	v_fma_f32 v73, v62, v71, -v8
	v_fmac_f32_e32 v72, v62, v70
	s_waitcnt vmcnt(1)
	v_mul_f32_e32 v75, v65, v70
	v_mul_f32_e32 v88, v65, v71
	v_fma_f32 v87, v66, v71, -v74
	v_fmac_f32_e32 v86, v66, v70
	ds_write_b64 v82, v[72:73]
	s_waitcnt vmcnt(0)
	v_mul_f32_e32 v85, v61, v70
	v_mul_f32_e32 v90, v61, v71
	v_fma_f32 v89, v64, v71, -v75
	v_fmac_f32_e32 v88, v64, v70
	ds_read_b64 v[74:75], v81 offset:392
	ds_write_b64 v82, v[86:87] offset:536
	v_fma_f32 v91, v60, v71, -v85
	v_fmac_f32_e32 v90, v60, v70
	ds_read_b64 v[72:73], v81 offset:400
	ds_write_b64 v82, v[88:89] offset:1072
	ds_read_b64 v[70:71], v81 offset:408
	ds_write_b64 v82, v[90:91] offset:1608
	s_waitcnt lgkmcnt(0)
	s_barrier
	ds_read2_b64 v[86:89], v80 offset1:1
	ds_read2_b64 v[90:93], v80 offset0:2 offset1:3
	s_waitcnt lgkmcnt(0)
	s_barrier
	v_pk_add_f32 v[86:87], v[86:87], 0 op_sel_hi:[1,0]
	ds_write2_b64 v83, v[102:103], v[104:105] offset1:16
	v_pk_add_f32 v[86:87], v[86:87], v[88:89]
	s_nop 0
	v_pk_add_f32 v[86:87], v[86:87], v[90:91]
	s_nop 0
	v_pk_add_f32 v[86:87], v[86:87], v[92:93]
	ds_write2_b64 v83, v[94:95], v[86:87] offset0:32 offset1:48
	s_waitcnt lgkmcnt(0)
	s_barrier
	s_and_saveexec_b64 s[44:45], s[0:1]
	s_cbranch_execz .LBB12_122
; %bb.126:                              ;   in Loop: Header=BB12_123 Depth=1
	ds_read_b64 v[94:95], v78
	ds_read2_b64 v[86:89], v78 offset0:1 offset1:2
	ds_read2_b64 v[90:93], v78 offset0:3 offset1:4
	s_waitcnt lgkmcnt(1)
	v_add_f32_e32 v8, v86, v94
	v_add_f32_e32 v85, v87, v95
	;; [unrolled: 1-line block ×4, first 2 shown]
	ds_read2_b64 v[86:89], v78 offset0:5 offset1:6
	s_waitcnt lgkmcnt(1)
	v_add_f32_e32 v8, v8, v90
	v_add_f32_e32 v85, v85, v91
	;; [unrolled: 1-line block ×4, first 2 shown]
	ds_read2_b64 v[90:93], v78 offset0:7 offset1:8
	s_waitcnt lgkmcnt(1)
	v_pk_add_f32 v[86:87], v[94:95], v[86:87]
	ds_read2_b64 v[94:97], v78 offset0:9 offset1:10
	v_pk_add_f32 v[86:87], v[86:87], v[88:89]
	v_add_u32_e32 v8, s3, v84
	s_waitcnt lgkmcnt(1)
	v_pk_add_f32 v[86:87], v[86:87], v[90:91]
	v_lshl_add_u64 v[98:99], v[8:9], 3, s[6:7]
	v_pk_add_f32 v[90:91], v[86:87], v[92:93]
	ds_read2_b64 v[86:89], v78 offset0:11 offset1:12
	s_waitcnt lgkmcnt(1)
	v_pk_add_f32 v[94:95], v[90:91], v[94:95]
	ds_read2_b64 v[90:93], v78 offset0:13 offset1:14
	v_pk_add_f32 v[94:95], v[94:95], v[96:97]
	ds_read_b64 v[96:97], v79
	s_waitcnt lgkmcnt(2)
	v_pk_add_f32 v[86:87], v[94:95], v[86:87]
	s_nop 0
	v_pk_add_f32 v[86:87], v[86:87], v[88:89]
	s_waitcnt lgkmcnt(1)
	v_pk_add_f32 v[86:87], v[86:87], v[90:91]
	s_nop 0
	v_pk_add_f32 v[86:87], v[86:87], v[92:93]
	s_waitcnt lgkmcnt(0)
	v_pk_add_f32 v[86:87], v[86:87], v[96:97]
	global_store_dwordx2 v[98:99], v[86:87], off
	s_branch .LBB12_122
.LBB12_127:
	s_movk_i32 s0, 0x218
	v_mad_u32_u24 v0, v76, s0, v4
	s_or_b64 s[0:1], s[4:5], vcc
	s_xor_b64 s[0:1], s[0:1], -1
	ds_write_b64 v0, v[18:19]
	s_waitcnt lgkmcnt(0)
	s_barrier
	s_and_saveexec_b64 s[2:3], s[0:1]
	s_cbranch_execz .LBB12_129
; %bb.128:
	ds_read2_b64 v[0:3], v4 offset1:67
	ds_read2_b64 v[4:7], v4 offset0:134 offset1:201
	v_lshl_add_u64 v[8:9], v[16:17], 3, s[6:7]
	s_waitcnt lgkmcnt(1)
	v_pk_add_f32 v[0:1], v[2:3], v[0:1]
	s_waitcnt lgkmcnt(0)
	v_pk_add_f32 v[0:1], v[0:1], v[4:5]
	s_nop 0
	v_pk_add_f32 v[0:1], v[0:1], v[6:7]
	global_store_dwordx2 v[8:9], v[0:1], off
.LBB12_129:
	s_endpgm
	.section	.rodata,"a",@progbits
	.p2align	6, 0x0
	.amdhsa_kernel _ZL26rocblas_hemvn_kernel_lowerILb1ELi64ELi4ELi33ELi32ELi16El19rocblas_complex_numIfEPKS1_PS1_EviT6_lT7_lT5_lS6_lS7_lS5_lT8_i
		.amdhsa_group_segment_fixed_size 9600
		.amdhsa_private_segment_fixed_size 0
		.amdhsa_kernarg_size 376
		.amdhsa_user_sgpr_count 2
		.amdhsa_user_sgpr_dispatch_ptr 0
		.amdhsa_user_sgpr_queue_ptr 0
		.amdhsa_user_sgpr_kernarg_segment_ptr 1
		.amdhsa_user_sgpr_dispatch_id 0
		.amdhsa_user_sgpr_kernarg_preload_length 0
		.amdhsa_user_sgpr_kernarg_preload_offset 0
		.amdhsa_user_sgpr_private_segment_size 0
		.amdhsa_uses_dynamic_stack 0
		.amdhsa_enable_private_segment 0
		.amdhsa_system_sgpr_workgroup_id_x 1
		.amdhsa_system_sgpr_workgroup_id_y 0
		.amdhsa_system_sgpr_workgroup_id_z 1
		.amdhsa_system_sgpr_workgroup_info 0
		.amdhsa_system_vgpr_workitem_id 1
		.amdhsa_next_free_vgpr 106
		.amdhsa_next_free_sgpr 53
		.amdhsa_accum_offset 108
		.amdhsa_reserve_vcc 1
		.amdhsa_float_round_mode_32 0
		.amdhsa_float_round_mode_16_64 0
		.amdhsa_float_denorm_mode_32 3
		.amdhsa_float_denorm_mode_16_64 3
		.amdhsa_dx10_clamp 1
		.amdhsa_ieee_mode 1
		.amdhsa_fp16_overflow 0
		.amdhsa_tg_split 0
		.amdhsa_exception_fp_ieee_invalid_op 0
		.amdhsa_exception_fp_denorm_src 0
		.amdhsa_exception_fp_ieee_div_zero 0
		.amdhsa_exception_fp_ieee_overflow 0
		.amdhsa_exception_fp_ieee_underflow 0
		.amdhsa_exception_fp_ieee_inexact 0
		.amdhsa_exception_int_div_zero 0
	.end_amdhsa_kernel
	.section	.text._ZL26rocblas_hemvn_kernel_lowerILb1ELi64ELi4ELi33ELi32ELi16El19rocblas_complex_numIfEPKS1_PS1_EviT6_lT7_lT5_lS6_lS7_lS5_lT8_i,"axG",@progbits,_ZL26rocblas_hemvn_kernel_lowerILb1ELi64ELi4ELi33ELi32ELi16El19rocblas_complex_numIfEPKS1_PS1_EviT6_lT7_lT5_lS6_lS7_lS5_lT8_i,comdat
.Lfunc_end12:
	.size	_ZL26rocblas_hemvn_kernel_lowerILb1ELi64ELi4ELi33ELi32ELi16El19rocblas_complex_numIfEPKS1_PS1_EviT6_lT7_lT5_lS6_lS7_lS5_lT8_i, .Lfunc_end12-_ZL26rocblas_hemvn_kernel_lowerILb1ELi64ELi4ELi33ELi32ELi16El19rocblas_complex_numIfEPKS1_PS1_EviT6_lT7_lT5_lS6_lS7_lS5_lT8_i
                                        ; -- End function
	.section	.AMDGPU.csdata,"",@progbits
; Kernel info:
; codeLenInByte = 8088
; NumSgprs: 59
; NumVgprs: 106
; NumAgprs: 0
; TotalNumVgprs: 106
; ScratchSize: 0
; MemoryBound: 1
; FloatMode: 240
; IeeeMode: 1
; LDSByteSize: 9600 bytes/workgroup (compile time only)
; SGPRBlocks: 7
; VGPRBlocks: 13
; NumSGPRsForWavesPerEU: 59
; NumVGPRsForWavesPerEU: 106
; AccumOffset: 108
; Occupancy: 4
; WaveLimiterHint : 0
; COMPUTE_PGM_RSRC2:SCRATCH_EN: 0
; COMPUTE_PGM_RSRC2:USER_SGPR: 2
; COMPUTE_PGM_RSRC2:TRAP_HANDLER: 0
; COMPUTE_PGM_RSRC2:TGID_X_EN: 1
; COMPUTE_PGM_RSRC2:TGID_Y_EN: 0
; COMPUTE_PGM_RSRC2:TGID_Z_EN: 1
; COMPUTE_PGM_RSRC2:TIDIG_COMP_CNT: 1
; COMPUTE_PGM_RSRC3_GFX90A:ACCUM_OFFSET: 26
; COMPUTE_PGM_RSRC3_GFX90A:TG_SPLIT: 0
	.section	.text._ZL36rocblas_hemvn_kernel_lower_block_sumILi64El19rocblas_complex_numIfEPS1_S1_EviT1_lS3_lT2_lT0_lPT3_i,"axG",@progbits,_ZL36rocblas_hemvn_kernel_lower_block_sumILi64El19rocblas_complex_numIfEPS1_S1_EviT1_lS3_lT2_lT0_lPT3_i,comdat
	.globl	_ZL36rocblas_hemvn_kernel_lower_block_sumILi64El19rocblas_complex_numIfEPS1_S1_EviT1_lS3_lT2_lT0_lPT3_i ; -- Begin function _ZL36rocblas_hemvn_kernel_lower_block_sumILi64El19rocblas_complex_numIfEPS1_S1_EviT1_lS3_lT2_lT0_lPT3_i
	.p2align	8
	.type	_ZL36rocblas_hemvn_kernel_lower_block_sumILi64El19rocblas_complex_numIfEPS1_S1_EviT1_lS3_lT2_lT0_lPT3_i,@function
_ZL36rocblas_hemvn_kernel_lower_block_sumILi64El19rocblas_complex_numIfEPS1_S1_EviT1_lS3_lT2_lT0_lPT3_i: ; @_ZL36rocblas_hemvn_kernel_lower_block_sumILi64El19rocblas_complex_numIfEPS1_S1_EviT1_lS3_lT2_lT0_lPT3_i
; %bb.0:
	s_load_dwordx4 s[8:11], s[0:1], 0x0
	s_load_dwordx2 s[12:13], s[0:1], 0x18
	s_waitcnt lgkmcnt(0)
	s_or_b32 s4, s9, s10
	s_bitset0_b32 s4, 31
	s_cmp_eq_u32 s4, 0
	v_cmp_eq_f32_e64 s[4:5], s12, 1.0
	v_cmp_eq_f32_e64 s[6:7], s13, 0
	s_cselect_b64 s[16:17], -1, 0
	s_and_b64 s[4:5], s[4:5], s[6:7]
	s_and_b64 s[4:5], s[16:17], s[4:5]
	s_and_b64 vcc, exec, s[4:5]
	s_cbranch_vccnz .LBB13_17
; %bb.1:
	s_mov_b32 s15, s10
	s_load_dwordx2 s[10:11], s[0:1], 0x40
	s_load_dwordx2 s[18:19], s[0:1], 0x28
	s_load_dwordx4 s[4:7], s[0:1], 0x30
	s_mov_b32 s14, s9
	v_lshl_or_b32 v8, s2, 6, v0
	s_waitcnt lgkmcnt(0)
	s_mul_i32 s9, s3, s11
	s_mul_hi_u32 s11, s3, s10
	s_mul_i32 s10, s3, s10
	s_add_i32 s11, s11, s9
	s_lshl_b64 s[10:11], s[10:11], 3
	s_add_u32 s9, s18, s10
	s_addc_u32 s11, s19, s11
	s_lshl_b64 s[4:5], s[4:5], 3
	s_add_u32 s10, s9, s4
	s_addc_u32 s11, s11, s5
	s_mov_b64 s[18:19], -1
	s_andn2_b64 vcc, exec, s[16:17]
	v_cmp_gt_i32_e64 s[4:5], s8, v8
	s_cbranch_vccnz .LBB13_7
; %bb.2:
	s_and_saveexec_b64 s[16:17], s[4:5]
	s_cbranch_execz .LBB13_6
; %bb.3:
	v_ashrrev_i32_e32 v0, 31, v8
	v_cmp_neq_f32_e64 s[4:5], s12, 0
	v_cmp_neq_f32_e64 s[18:19], s13, 0
	v_mul_lo_u32 v2, v8, s7
	v_mul_lo_u32 v3, v0, s6
	v_mad_u64_u32 v[0:1], s[20:21], v8, s6, 0
	v_add3_u32 v1, v1, v2, v3
	s_or_b64 s[4:5], s[4:5], s[18:19]
	s_andn2_b64 vcc, exec, s[4:5]
	v_mov_b32_e32 v2, 0
	v_lshl_add_u64 v[0:1], v[0:1], 3, s[10:11]
	v_mov_b32_e32 v3, 0
	s_cbranch_vccnz .LBB13_5
; %bb.4:
	global_load_dwordx2 v[4:5], v[0:1], off
	s_waitcnt vmcnt(0)
	v_pk_mul_f32 v[6:7], v[4:5], s[12:13] op_sel:[1,0]
	s_nop 0
	v_pk_fma_f32 v[2:3], v[4:5], s[12:13], v[6:7] op_sel:[0,0,1] op_sel_hi:[1,1,0] neg_lo:[0,0,1] neg_hi:[0,0,1]
	v_pk_fma_f32 v[4:5], v[4:5], s[12:13], v[6:7] op_sel:[0,0,1] op_sel_hi:[0,1,0]
	v_mov_b32_e32 v3, v5
.LBB13_5:
	global_store_dwordx2 v[0:1], v[2:3], off
.LBB13_6:
	s_or_b64 exec, exec, s[16:17]
	s_mov_b64 s[18:19], 0
.LBB13_7:
	s_andn2_b64 vcc, exec, s[18:19]
	s_cbranch_vccnz .LBB13_17
; %bb.8:
	v_cmp_gt_i32_e32 vcc, s8, v8
	s_and_saveexec_b64 s[4:5], vcc
	s_cbranch_execz .LBB13_17
; %bb.9:
	s_load_dword s4, s[0:1], 0x58
	v_mov_b32_e32 v1, 0
	v_mov_b32_e32 v0, v1
	s_waitcnt lgkmcnt(0)
	s_cmp_ge_i32 s2, s4
	s_cbranch_scc1 .LBB13_12
; %bb.10:
	s_ashr_i32 s9, s8, 31
	s_mul_i32 s5, s2, s8
	s_load_dwordx2 s[0:1], s[0:1], 0x48
	v_add_u32_e32 v0, s5, v8
	s_mul_hi_u32 s5, s8, s3
	s_mul_i32 s16, s9, s3
	s_add_i32 s5, s5, s16
	s_mul_i32 s3, s8, s3
	s_mul_i32 s5, s5, s4
	s_mul_hi_u32 s16, s3, s4
	s_add_i32 s17, s16, s5
	s_mul_i32 s16, s3, s4
	s_lshl_b64 s[16:17], s[16:17], 3
	s_waitcnt lgkmcnt(0)
	s_add_u32 s0, s0, s16
	v_ashrrev_i32_e32 v1, 31, v0
	s_addc_u32 s1, s1, s17
	v_lshl_add_u64 v[2:3], v[0:1], 3, s[0:1]
	v_mov_b32_e32 v0, 0
	s_lshl_b64 s[0:1], s[8:9], 3
	v_mov_b32_e32 v1, v0
.LBB13_11:                              ; =>This Inner Loop Header: Depth=1
	global_load_dwordx2 v[4:5], v[2:3], off
	s_add_i32 s2, s2, 1
	v_lshl_add_u64 v[2:3], v[2:3], 0, s[0:1]
	s_cmp_ge_i32 s2, s4
	s_waitcnt vmcnt(0)
	v_pk_add_f32 v[0:1], v[0:1], v[4:5]
	s_cbranch_scc0 .LBB13_11
.LBB13_12:
	v_cmp_neq_f32_e64 s[0:1], s12, 0
	v_cmp_neq_f32_e64 s[2:3], s13, 0
	s_or_b64 s[0:1], s[0:1], s[2:3]
	v_pk_mul_f32 v[6:7], v[0:1], s[14:15] op_sel:[1,0]
	v_ashrrev_i32_e32 v4, 31, v8
	s_andn2_b64 vcc, exec, s[0:1]
	v_pk_fma_f32 v[2:3], v[0:1], s[14:15], v[6:7] op_sel:[0,0,1] op_sel_hi:[0,1,0]
	v_mul_lo_u32 v9, v8, s7
	v_mul_lo_u32 v10, v4, s6
	s_cbranch_vccz .LBB13_14
; %bb.13:
	v_pk_mul_f32 v[12:13], v[0:1], s[14:15] op_sel_hi:[0,1]
	v_mad_u64_u32 v[4:5], s[0:1], v8, s6, 0
	v_add3_u32 v5, v5, v9, v10
	v_sub_f32_e32 v2, v12, v7
	s_cbranch_execz .LBB13_15
	s_branch .LBB13_16
.LBB13_14:
                                        ; implicit-def: $vgpr4_vgpr5
.LBB13_15:
	v_mad_u64_u32 v[4:5], s[0:1], v8, s6, 0
	v_add3_u32 v5, v5, v9, v10
	v_lshl_add_u64 v[8:9], v[4:5], 3, s[10:11]
	global_load_dwordx2 v[8:9], v[8:9], off
	v_pk_fma_f32 v[0:1], v[0:1], s[14:15], v[6:7] op_sel:[0,0,1] op_sel_hi:[1,1,0] neg_lo:[0,0,1] neg_hi:[0,0,1]
	s_waitcnt vmcnt(0)
	v_pk_mul_f32 v[6:7], v[8:9], s[12:13] op_sel:[1,0]
	s_nop 0
	v_pk_fma_f32 v[10:11], v[8:9], s[12:13], v[6:7] op_sel:[0,0,1] op_sel_hi:[1,1,0] neg_lo:[0,0,1] neg_hi:[0,0,1]
	v_pk_fma_f32 v[6:7], v[8:9], s[12:13], v[6:7] op_sel:[0,0,1] op_sel_hi:[0,1,0]
	v_mov_b32_e32 v11, v7
	v_mov_b32_e32 v1, v3
	v_pk_add_f32 v[2:3], v[0:1], v[10:11]
.LBB13_16:
	v_lshl_add_u64 v[0:1], v[4:5], 3, s[10:11]
	global_store_dwordx2 v[0:1], v[2:3], off
.LBB13_17:
	s_endpgm
	.section	.rodata,"a",@progbits
	.p2align	6, 0x0
	.amdhsa_kernel _ZL36rocblas_hemvn_kernel_lower_block_sumILi64El19rocblas_complex_numIfEPS1_S1_EviT1_lS3_lT2_lT0_lPT3_i
		.amdhsa_group_segment_fixed_size 0
		.amdhsa_private_segment_fixed_size 0
		.amdhsa_kernarg_size 344
		.amdhsa_user_sgpr_count 2
		.amdhsa_user_sgpr_dispatch_ptr 0
		.amdhsa_user_sgpr_queue_ptr 0
		.amdhsa_user_sgpr_kernarg_segment_ptr 1
		.amdhsa_user_sgpr_dispatch_id 0
		.amdhsa_user_sgpr_kernarg_preload_length 0
		.amdhsa_user_sgpr_kernarg_preload_offset 0
		.amdhsa_user_sgpr_private_segment_size 0
		.amdhsa_uses_dynamic_stack 0
		.amdhsa_enable_private_segment 0
		.amdhsa_system_sgpr_workgroup_id_x 1
		.amdhsa_system_sgpr_workgroup_id_y 0
		.amdhsa_system_sgpr_workgroup_id_z 1
		.amdhsa_system_sgpr_workgroup_info 0
		.amdhsa_system_vgpr_workitem_id 0
		.amdhsa_next_free_vgpr 14
		.amdhsa_next_free_sgpr 22
		.amdhsa_accum_offset 16
		.amdhsa_reserve_vcc 1
		.amdhsa_float_round_mode_32 0
		.amdhsa_float_round_mode_16_64 0
		.amdhsa_float_denorm_mode_32 3
		.amdhsa_float_denorm_mode_16_64 3
		.amdhsa_dx10_clamp 1
		.amdhsa_ieee_mode 1
		.amdhsa_fp16_overflow 0
		.amdhsa_tg_split 0
		.amdhsa_exception_fp_ieee_invalid_op 0
		.amdhsa_exception_fp_denorm_src 0
		.amdhsa_exception_fp_ieee_div_zero 0
		.amdhsa_exception_fp_ieee_overflow 0
		.amdhsa_exception_fp_ieee_underflow 0
		.amdhsa_exception_fp_ieee_inexact 0
		.amdhsa_exception_int_div_zero 0
	.end_amdhsa_kernel
	.section	.text._ZL36rocblas_hemvn_kernel_lower_block_sumILi64El19rocblas_complex_numIfEPS1_S1_EviT1_lS3_lT2_lT0_lPT3_i,"axG",@progbits,_ZL36rocblas_hemvn_kernel_lower_block_sumILi64El19rocblas_complex_numIfEPS1_S1_EviT1_lS3_lT2_lT0_lPT3_i,comdat
.Lfunc_end13:
	.size	_ZL36rocblas_hemvn_kernel_lower_block_sumILi64El19rocblas_complex_numIfEPS1_S1_EviT1_lS3_lT2_lT0_lPT3_i, .Lfunc_end13-_ZL36rocblas_hemvn_kernel_lower_block_sumILi64El19rocblas_complex_numIfEPS1_S1_EviT1_lS3_lT2_lT0_lPT3_i
                                        ; -- End function
	.section	.AMDGPU.csdata,"",@progbits
; Kernel info:
; codeLenInByte = 708
; NumSgprs: 28
; NumVgprs: 14
; NumAgprs: 0
; TotalNumVgprs: 14
; ScratchSize: 0
; MemoryBound: 0
; FloatMode: 240
; IeeeMode: 1
; LDSByteSize: 0 bytes/workgroup (compile time only)
; SGPRBlocks: 3
; VGPRBlocks: 1
; NumSGPRsForWavesPerEU: 28
; NumVGPRsForWavesPerEU: 14
; AccumOffset: 16
; Occupancy: 8
; WaveLimiterHint : 0
; COMPUTE_PGM_RSRC2:SCRATCH_EN: 0
; COMPUTE_PGM_RSRC2:USER_SGPR: 2
; COMPUTE_PGM_RSRC2:TRAP_HANDLER: 0
; COMPUTE_PGM_RSRC2:TGID_X_EN: 1
; COMPUTE_PGM_RSRC2:TGID_Y_EN: 0
; COMPUTE_PGM_RSRC2:TGID_Z_EN: 1
; COMPUTE_PGM_RSRC2:TIDIG_COMP_CNT: 0
; COMPUTE_PGM_RSRC3_GFX90A:ACCUM_OFFSET: 3
; COMPUTE_PGM_RSRC3_GFX90A:TG_SPLIT: 0
	.section	.text._ZL26rocblas_hemvn_kernel_lowerILb1ELi64ELi4ELi33ELi32ELi16Ei19rocblas_complex_numIfEPKS1_PS1_EviT6_lT7_lT5_lS6_lS7_lS5_lT8_i,"axG",@progbits,_ZL26rocblas_hemvn_kernel_lowerILb1ELi64ELi4ELi33ELi32ELi16Ei19rocblas_complex_numIfEPKS1_PS1_EviT6_lT7_lT5_lS6_lS7_lS5_lT8_i,comdat
	.globl	_ZL26rocblas_hemvn_kernel_lowerILb1ELi64ELi4ELi33ELi32ELi16Ei19rocblas_complex_numIfEPKS1_PS1_EviT6_lT7_lT5_lS6_lS7_lS5_lT8_i ; -- Begin function _ZL26rocblas_hemvn_kernel_lowerILb1ELi64ELi4ELi33ELi32ELi16Ei19rocblas_complex_numIfEPKS1_PS1_EviT6_lT7_lT5_lS6_lS7_lS5_lT8_i
	.p2align	8
	.type	_ZL26rocblas_hemvn_kernel_lowerILb1ELi64ELi4ELi33ELi32ELi16Ei19rocblas_complex_numIfEPKS1_PS1_EviT6_lT7_lT5_lS6_lS7_lS5_lT8_i,@function
_ZL26rocblas_hemvn_kernel_lowerILb1ELi64ELi4ELi33ELi32ELi16Ei19rocblas_complex_numIfEPKS1_PS1_EviT6_lT7_lT5_lS6_lS7_lS5_lT8_i: ; @_ZL26rocblas_hemvn_kernel_lowerILb1ELi64ELi4ELi33ELi32ELi16Ei19rocblas_complex_numIfEPKS1_PS1_EviT6_lT7_lT5_lS6_lS7_lS5_lT8_i
; %bb.0:
	s_load_dwordx2 s[6:7], s[0:1], 0x84
	s_add_u32 s4, s0, 0x78
	s_addc_u32 s5, s1, 0
	s_waitcnt lgkmcnt(0)
	s_lshr_b32 s8, s6, 16
	s_and_b32 s6, s6, 0xffff
	s_and_b32 s7, s7, 0xffff
	s_mul_i32 s6, s8, s6
	s_mul_i32 s6, s6, s7
	s_cmpk_lg_i32 s6, 0x100
	s_cbranch_scc1 .LBB14_129
; %bb.1:
	s_load_dwordx2 s[6:7], s[0:1], 0x4
	s_mov_b64 s[8:9], -1
	s_waitcnt lgkmcnt(0)
	s_or_b32 s6, s6, s7
	s_bitset0_b32 s6, 31
	s_cmp_lg_u32 s6, 0
	s_cselect_b64 s[6:7], -1, 0
	s_and_b64 vcc, exec, s[6:7]
	s_cbranch_vccnz .LBB14_3
; %bb.2:
	s_load_dwordx2 s[8:9], s[0:1], 0x58
	s_waitcnt lgkmcnt(0)
	v_cmp_neq_f32_e64 s[10:11], s8, 1.0
	v_cmp_neq_f32_e64 s[8:9], s9, 0
	s_or_b64 s[8:9], s[10:11], s[8:9]
.LBB14_3:
	s_andn2_b64 vcc, exec, s[8:9]
	s_cbranch_vccnz .LBB14_129
; %bb.4:
	s_andn2_b64 vcc, exec, s[6:7]
	s_cbranch_vccnz .LBB14_129
; %bb.5:
	s_load_dwordx2 s[6:7], s[0:1], 0x50
	s_load_dwordx2 s[12:13], s[0:1], 0x40
	s_load_dword s33, s[0:1], 0x48
	s_load_dword s39, s[4:5], 0x0
	;; [unrolled: 1-line block ×3, first 2 shown]
	s_load_dwordx4 s[8:11], s[0:1], 0x30
	s_waitcnt lgkmcnt(0)
	s_mul_i32 s4, s3, s7
	s_mul_hi_u32 s5, s3, s6
	s_add_i32 s5, s5, s4
	s_mul_i32 s4, s3, s6
	s_lshl_b64 s[4:5], s[4:5], 3
	s_add_u32 s6, s10, s4
	s_addc_u32 s7, s11, s5
	s_lshl_b64 s[4:5], s[12:13], 3
	s_add_u32 s4, s6, s4
	s_addc_u32 s5, s7, s5
	s_ashr_i32 s40, s38, 31
	s_lshr_b32 s7, s40, 26
	v_and_b32_e32 v26, 0x3ff, v0
	s_lshl_b32 s26, s2, 6
	s_add_i32 s7, s38, s7
	s_andn2_b32 s7, s7, 63
	v_add_u32_e32 v16, s26, v26
	v_bfe_u32 v17, v0, 10, 10
	s_add_i32 s6, s39, -1
	s_sub_i32 s7, s38, s7
	v_mul_lo_u32 v0, v16, s33
	s_cmp_eq_u32 s2, s6
	v_ashrrev_i32_e32 v1, 31, v0
	s_cselect_b32 s24, s7, 0
	v_lshl_add_u64 v[20:21], v[0:1], 3, s[4:5]
	v_cmp_ne_u32_e64 s[4:5], 0, v17
	v_cmp_eq_u32_e64 s[18:19], 0, v17
	s_and_saveexec_b64 s[6:7], s[18:19]
	s_cbranch_execz .LBB14_10
; %bb.6:
	s_cmp_lg_u32 s24, 0
	s_cselect_b64 s[10:11], -1, 0
	v_cmp_le_i32_e32 vcc, s24, v26
	v_mov_b32_e32 v0, 0x2380
	s_and_b64 s[10:11], s[10:11], vcc
	v_lshl_add_u32 v0, v26, 3, v0
	s_and_saveexec_b64 s[12:13], s[10:11]
	s_xor_b64 s[10:11], exec, s[12:13]
	s_cbranch_execz .LBB14_8
; %bb.7:
	v_mov_b32_e32 v2, 0
	v_mov_b32_e32 v3, v2
	ds_write_b64 v0, v[2:3]
                                        ; implicit-def: $vgpr0
.LBB14_8:
	s_andn2_saveexec_b64 s[10:11], s[10:11]
	s_cbranch_execz .LBB14_10
; %bb.9:
	global_load_dwordx2 v[2:3], v[20:21], off
	s_waitcnt vmcnt(0)
	ds_write_b64 v0, v[2:3]
.LBB14_10:
	s_or_b64 exec, exec, s[6:7]
	s_load_dwordx4 s[12:15], s[0:1], 0x18
	s_load_dword s22, s[0:1], 0x28
	s_mul_i32 s6, s3, s9
	s_mul_hi_u32 s7, s3, s8
	s_add_i32 s7, s7, s6
	s_mul_i32 s6, s3, s8
	s_lshl_b64 s[6:7], s[6:7], 3
	s_waitcnt lgkmcnt(0)
	s_add_u32 s8, s12, s6
	s_addc_u32 s9, s13, s7
	s_lshl_b64 s[6:7], s[14:15], 3
	s_add_u32 s8, s8, s6
	s_addc_u32 s9, s9, s7
	s_ashr_i32 s27, s26, 31
	v_lshl_add_u32 v27, v17, 6, v26
	s_lshl_b64 s[6:7], s[26:27], 3
	v_and_b32_e32 v0, 31, v26
	v_lshrrev_b32_e32 v1, 5, v27
	s_add_u32 s8, s8, s6
	s_addc_u32 s9, s9, s7
	v_mad_u64_u32 v[22:23], s[6:7], v1, s22, v[0:1]
	s_mul_i32 s6, s26, s22
	s_ashr_i32 s7, s6, 31
	s_lshl_b64 s[28:29], s[6:7], 3
	s_add_u32 s6, s28, s8
	s_addc_u32 s7, s29, s9
	s_cmp_lg_u32 s24, 0
	v_ashrrev_i32_e32 v23, 31, v22
	s_cselect_b64 s[30:31], -1, 0
	s_cmp_eq_u32 s24, 0
	v_lshl_add_u64 v[2:3], v[22:23], 3, s[6:7]
	s_cselect_b64 s[20:21], -1, 0
	s_and_b64 vcc, exec, s[30:31]
	s_cbranch_vccnz .LBB14_12
; %bb.11:
	s_lshl_b32 s6, s22, 3
	s_ashr_i32 s7, s6, 31
	s_ashr_i32 s23, s22, 31
	global_load_dwordx2 v[4:5], v[2:3], off
	v_lshl_add_u64 v[6:7], s[6:7], 3, v[2:3]
	global_load_dwordx2 v[8:9], v[6:7], off
	s_lshl_b64 s[6:7], s[22:23], 6
	v_lshl_add_u64 v[6:7], v[6:7], 0, s[6:7]
	global_load_dwordx2 v[10:11], v[6:7], off
	v_lshl_add_u64 v[6:7], v[6:7], 0, s[6:7]
	global_load_dwordx2 v[6:7], v[6:7], off
	v_mul_u32_u24_e32 v12, 33, v1
	v_add_lshl_u32 v12, v12, v0, 3
	s_waitcnt vmcnt(3)
	ds_write_b64 v12, v[4:5]
	s_waitcnt vmcnt(2)
	ds_write_b64 v12, v[8:9] offset:2112
	s_waitcnt vmcnt(1)
	ds_write_b64 v12, v[10:11] offset:4224
	s_waitcnt vmcnt(0)
	ds_write_b64 v12, v[6:7] offset:6336
	s_cbranch_execz .LBB14_13
	s_branch .LBB14_28
.LBB14_12:
.LBB14_13:
	v_lshlrev_b32_e32 v4, 3, v0
	v_sub_co_u32_e32 v6, vcc, v2, v4
	s_ashr_i32 s25, s24, 31
	s_nop 0
	v_subbrev_co_u32_e32 v7, vcc, 0, v3, vcc
	v_lshl_add_u64 v[6:7], s[24:25], 3, v[6:7]
	v_lshl_add_u64 v[6:7], v[6:7], 0, -8
	v_cmp_gt_i32_e32 vcc, s24, v0
	v_mov_b32_e32 v8, 0
	v_cmp_gt_i32_e64 s[6:7], s24, v1
	v_cndmask_b32_e32 v7, v7, v3, vcc
	v_cndmask_b32_e32 v6, v6, v2, vcc
	v_mov_b32_e32 v9, v8
	s_and_saveexec_b64 s[8:9], s[6:7]
	s_cbranch_execz .LBB14_15
; %bb.14:
	global_load_dwordx2 v[8:9], v[6:7], off
.LBB14_15:
	s_or_b64 exec, exec, s[8:9]
	v_mul_u32_u24_e32 v5, 33, v1
	v_add_lshl_u32 v5, v5, v0, 3
	s_waitcnt vmcnt(0)
	ds_write_b64 v5, v[8:9]
	v_add_u32_e32 v8, 8, v1
	v_cmp_le_i32_e64 s[6:7], s24, v8
	s_and_saveexec_b64 s[8:9], s[6:7]
	s_xor_b64 s[6:7], exec, s[8:9]
	s_cbranch_execz .LBB14_17
; %bb.16:
	v_mul_u32_u24_e32 v8, 33, v8
	v_add_lshl_u32 v10, v8, v0, 3
	v_mov_b32_e32 v8, 0
	v_mov_b32_e32 v9, v8
	ds_write_b64 v10, v[8:9]
.LBB14_17:
	s_andn2_saveexec_b64 s[6:7], s[6:7]
	s_cbranch_execz .LBB14_19
; %bb.18:
	s_lshl_b32 s8, s22, 3
	s_ashr_i32 s9, s8, 31
	v_lshl_add_u64 v[8:9], s[8:9], 3, v[6:7]
	global_load_dwordx2 v[8:9], v[8:9], off
	s_waitcnt vmcnt(0)
	ds_write_b64 v5, v[8:9] offset:2112
.LBB14_19:
	s_or_b64 exec, exec, s[6:7]
	v_add_u32_e32 v8, 16, v1
	v_cmp_le_i32_e64 s[6:7], s24, v8
	s_and_saveexec_b64 s[8:9], s[6:7]
	s_xor_b64 s[6:7], exec, s[8:9]
	s_cbranch_execz .LBB14_21
; %bb.20:
	v_mov_b32_e32 v8, 0
	v_mov_b32_e32 v9, v8
	ds_write_b64 v5, v[8:9] offset:4224
.LBB14_21:
	s_andn2_saveexec_b64 s[6:7], s[6:7]
	s_cbranch_execz .LBB14_23
; %bb.22:
	s_lshl_b32 s8, s22, 4
	s_ashr_i32 s9, s8, 31
	v_lshl_add_u64 v[8:9], s[8:9], 3, v[6:7]
	global_load_dwordx2 v[8:9], v[8:9], off
	s_waitcnt vmcnt(0)
	ds_write_b64 v5, v[8:9] offset:4224
.LBB14_23:
	s_or_b64 exec, exec, s[6:7]
	v_add_u32_e32 v8, 24, v1
	v_cmp_le_i32_e64 s[6:7], s24, v8
	s_and_saveexec_b64 s[8:9], s[6:7]
	s_xor_b64 s[6:7], exec, s[8:9]
	s_cbranch_execz .LBB14_25
; %bb.24:
	v_mov_b32_e32 v8, 0
	v_mov_b32_e32 v9, v8
	ds_write_b64 v5, v[8:9] offset:6336
                                        ; implicit-def: $vgpr5
.LBB14_25:
	s_andn2_saveexec_b64 s[6:7], s[6:7]
	s_cbranch_execz .LBB14_27
; %bb.26:
	s_mul_i32 s8, s22, 24
	s_ashr_i32 s9, s8, 31
	v_lshl_add_u64 v[8:9], s[8:9], 3, v[6:7]
	global_load_dwordx2 v[8:9], v[8:9], off
	s_waitcnt vmcnt(0)
	ds_write_b64 v5, v[8:9] offset:6336
.LBB14_27:
	s_or_b64 exec, exec, s[6:7]
	v_mov_b32_e32 v5, 0
	v_lshl_add_u64 v[4:5], v[6:7], 0, v[4:5]
	s_lshl_b64 s[6:7], s[24:25], 3
	v_mov_b32_e32 v6, s7
	v_subrev_co_u32_e64 v4, s[6:7], s6, v4
	s_nop 1
	v_subb_co_u32_e64 v5, s[6:7], v5, v6, s[6:7]
	v_lshl_add_u64 v[4:5], v[4:5], 0, 8
	v_cndmask_b32_e32 v3, v5, v3, vcc
	v_cndmask_b32_e32 v2, v4, v2, vcc
.LBB14_28:
	v_lshlrev_b32_e32 v10, 2, v1
	v_cmp_ge_u32_e64 s[8:9], v10, v0
	s_waitcnt lgkmcnt(0)
	s_barrier
	s_and_saveexec_b64 s[6:7], s[8:9]
	s_xor_b64 s[6:7], exec, s[6:7]
	s_cbranch_execz .LBB14_32
; %bb.29:
	v_cmp_eq_u32_e32 vcc, v10, v0
	s_and_saveexec_b64 s[10:11], vcc
	s_cbranch_execz .LBB14_31
; %bb.30:
	v_mul_u32_u24_e32 v4, 34, v0
	v_lshlrev_b32_e32 v4, 3, v4
	v_mov_b32_e32 v5, 0
	ds_write_b32 v4, v5 offset:4
.LBB14_31:
	s_or_b64 exec, exec, s[10:11]
.LBB14_32:
	s_or_saveexec_b64 s[6:7], s[6:7]
	v_mul_u32_u24_e32 v28, 33, v0
	v_add_lshl_u32 v12, v10, v28, 3
	s_xor_b64 exec, exec, s[6:7]
	s_cbranch_execz .LBB14_34
; %bb.33:
	v_mul_u32_u24_e32 v4, 0x84, v1
	v_add_lshl_u32 v4, v4, v0, 3
	ds_read_b64 v[4:5], v4
	s_waitcnt lgkmcnt(0)
	v_xor_b32_e32 v5, 0x80000000, v5
	ds_write_b64 v12, v[4:5]
.LBB14_34:
	s_or_b64 exec, exec, s[6:7]
	v_or_b32_e32 v11, 1, v10
	v_cmp_ge_u32_e64 s[10:11], v11, v0
	s_and_saveexec_b64 s[6:7], s[10:11]
	s_xor_b64 s[6:7], exec, s[6:7]
	s_cbranch_execz .LBB14_38
; %bb.35:
	v_cmp_eq_u32_e32 vcc, v11, v0
	s_and_saveexec_b64 s[12:13], vcc
	s_cbranch_execz .LBB14_37
; %bb.36:
	v_mul_u32_u24_e32 v4, 34, v0
	v_lshlrev_b32_e32 v4, 3, v4
	v_mov_b32_e32 v5, 0
	ds_write_b32 v4, v5 offset:4
.LBB14_37:
	s_or_b64 exec, exec, s[12:13]
.LBB14_38:
	s_or_saveexec_b64 s[6:7], s[6:7]
	v_mul_u32_u24_e32 v4, 33, v11
	s_xor_b64 exec, exec, s[6:7]
	s_cbranch_execz .LBB14_40
; %bb.39:
	v_add_lshl_u32 v5, v4, v0, 3
	ds_read_b64 v[6:7], v5
	s_waitcnt lgkmcnt(0)
	v_xor_b32_e32 v7, 0x80000000, v7
	ds_write_b64 v12, v[6:7] offset:8
.LBB14_40:
	s_or_b64 exec, exec, s[6:7]
	v_or_b32_e32 v13, 2, v10
	v_cmp_ge_u32_e64 s[12:13], v13, v0
	s_and_saveexec_b64 s[6:7], s[12:13]
	s_xor_b64 s[6:7], exec, s[6:7]
	s_cbranch_execz .LBB14_44
; %bb.41:
	v_cmp_eq_u32_e32 vcc, v13, v0
	s_and_saveexec_b64 s[14:15], vcc
	s_cbranch_execz .LBB14_43
; %bb.42:
	v_mul_u32_u24_e32 v5, 34, v0
	v_lshlrev_b32_e32 v5, 3, v5
	v_mov_b32_e32 v6, 0
	ds_write_b32 v5, v6 offset:4
.LBB14_43:
	s_or_b64 exec, exec, s[14:15]
.LBB14_44:
	s_andn2_saveexec_b64 s[6:7], s[6:7]
	s_cbranch_execz .LBB14_46
; %bb.45:
	v_mul_u32_u24_e32 v5, 33, v13
	v_add_lshl_u32 v5, v5, v0, 3
	ds_read_b64 v[6:7], v5
	s_waitcnt lgkmcnt(0)
	v_xor_b32_e32 v7, 0x80000000, v7
	ds_write_b64 v12, v[6:7] offset:16
.LBB14_46:
	s_or_b64 exec, exec, s[6:7]
	v_or_b32_e32 v14, 3, v10
	v_cmp_ge_u32_e64 s[14:15], v14, v0
	s_and_saveexec_b64 s[6:7], s[14:15]
	s_xor_b64 s[6:7], exec, s[6:7]
	s_cbranch_execz .LBB14_50
; %bb.47:
	v_cmp_eq_u32_e32 vcc, v14, v0
	s_and_saveexec_b64 s[16:17], vcc
	s_cbranch_execz .LBB14_49
; %bb.48:
	v_mul_u32_u24_e32 v5, 34, v0
	v_lshlrev_b32_e32 v5, 3, v5
	v_mov_b32_e32 v6, 0
	ds_write_b32 v5, v6 offset:4
.LBB14_49:
	s_or_b64 exec, exec, s[16:17]
.LBB14_50:
	s_andn2_saveexec_b64 s[6:7], s[6:7]
	s_cbranch_execz .LBB14_52
; %bb.51:
	v_mul_u32_u24_e32 v5, 33, v14
	v_add_lshl_u32 v5, v5, v0, 3
	ds_read_b64 v[6:7], v5
	s_waitcnt lgkmcnt(0)
	v_xor_b32_e32 v7, 0x80000000, v7
	ds_write_b64 v12, v[6:7] offset:24
.LBB14_52:
	s_or_b64 exec, exec, s[6:7]
	v_mul_u32_u24_e32 v5, 0x84, v1
	v_lshlrev_b32_e32 v25, 3, v10
	s_waitcnt lgkmcnt(0)
	s_barrier
	v_add_lshl_u32 v24, v5, v0, 3
	v_add_lshl_u32 v15, v4, v0, 3
	ds_read_b128 v[4:7], v25 offset:9088
	ds_read_b64 v[8:9], v24
	ds_read2_b64 v[30:33], v15 offset1:33
	ds_read_b64 v[18:19], v15 offset:528
	ds_read_b128 v[34:37], v25 offset:9104
	s_mov_b32 s16, 0
	s_waitcnt lgkmcnt(3)
	v_pk_mul_f32 v[38:39], v[4:5], v[8:9] op_sel:[0,1]
	s_mov_b32 s17, s16
	v_pk_fma_f32 v[40:41], v[4:5], v[8:9], v[38:39] op_sel:[0,0,1] op_sel_hi:[1,1,0] neg_lo:[0,0,1] neg_hi:[0,0,1]
	v_pk_fma_f32 v[4:5], v[4:5], v[8:9], v[38:39] op_sel:[0,0,1] op_sel_hi:[1,0,0]
	s_waitcnt lgkmcnt(2)
	v_pk_mul_f32 v[8:9], v[6:7], v[30:31] op_sel:[0,1]
	v_mov_b32_e32 v41, v5
	v_pk_fma_f32 v[38:39], v[6:7], v[30:31], v[8:9] op_sel:[0,0,1] op_sel_hi:[1,1,0] neg_lo:[0,0,1] neg_hi:[0,0,1]
	v_pk_fma_f32 v[6:7], v[6:7], v[30:31], v[8:9] op_sel:[0,0,1] op_sel_hi:[1,0,0]
	v_pk_add_f32 v[4:5], v[40:41], 0 op_sel_hi:[1,0]
	v_mov_b32_e32 v39, v7
	s_waitcnt lgkmcnt(0)
	v_pk_mul_f32 v[6:7], v[34:35], v[32:33] op_sel:[0,1]
	v_pk_add_f32 v[4:5], v[4:5], v[38:39]
	v_pk_fma_f32 v[8:9], v[34:35], v[32:33], v[6:7] op_sel:[0,0,1] op_sel_hi:[1,1,0] neg_lo:[0,0,1] neg_hi:[0,0,1]
	v_pk_fma_f32 v[6:7], v[34:35], v[32:33], v[6:7] op_sel:[0,0,1] op_sel_hi:[1,0,0]
	v_add_lshl_u32 v29, v1, v28, 3
	v_mov_b32_e32 v9, v7
	v_pk_mul_f32 v[6:7], v[36:37], v[18:19] op_sel:[0,1]
	v_pk_add_f32 v[4:5], v[4:5], v[8:9]
	v_pk_fma_f32 v[8:9], v[36:37], v[18:19], v[6:7] op_sel:[0,0,1] op_sel_hi:[1,1,0] neg_lo:[0,0,1] neg_hi:[0,0,1]
	v_pk_fma_f32 v[6:7], v[36:37], v[18:19], v[6:7] op_sel:[0,0,1] op_sel_hi:[1,0,0]
	v_cmp_gt_u32_e64 s[6:7], 32, v27
	v_mov_b32_e32 v9, v7
	v_pk_add_f32 v[4:5], v[4:5], v[8:9]
	v_mov_b64_e32 v[18:19], s[16:17]
	s_barrier
	ds_write_b64 v29, v[4:5]
	s_waitcnt lgkmcnt(0)
	s_barrier
	s_and_saveexec_b64 s[16:17], s[6:7]
	s_cbranch_execz .LBB14_54
; %bb.53:
	v_lshlrev_b32_e32 v8, 3, v28
	ds_read2_b64 v[4:7], v8 offset1:7
	ds_read2_b64 v[30:33], v8 offset0:1 offset1:2
	ds_read2_b64 v[34:37], v8 offset0:3 offset1:4
	s_waitcnt lgkmcnt(1)
	v_add_f32_e32 v4, v30, v4
	v_add_f32_e32 v5, v31, v5
	;; [unrolled: 1-line block ×4, first 2 shown]
	ds_read2_b64 v[30:33], v8 offset0:5 offset1:6
	s_waitcnt lgkmcnt(1)
	v_add_f32_e32 v4, v4, v34
	v_add_f32_e32 v5, v5, v35
	;; [unrolled: 1-line block ×4, first 2 shown]
	s_waitcnt lgkmcnt(0)
	v_add_f32_e32 v4, v4, v30
	v_add_f32_e32 v5, v5, v31
	;; [unrolled: 1-line block ×4, first 2 shown]
	v_pk_add_f32 v[18:19], v[4:5], v[6:7]
.LBB14_54:
	s_or_b64 exec, exec, s[16:17]
	s_lshl_b32 s34, s22, 5
	s_ashr_i32 s35, s34, 31
	v_lshl_add_u64 v[4:5], s[34:35], 3, v[2:3]
	s_mov_b64 s[36:37], 0x100
	v_cndmask_b32_e64 v2, 0, 1, s[20:21]
	v_cmp_ne_u32_e64 s[16:17], 1, v2
	s_andn2_b64 vcc, exec, s[20:21]
	v_lshl_add_u64 v[2:3], v[4:5], 0, s[36:37]
	s_barrier
	s_cbranch_vccnz .LBB14_56
; %bb.55:
	s_lshl_b32 s20, s22, 3
	s_ashr_i32 s21, s20, 31
	s_ashr_i32 s23, s22, 31
	v_lshl_add_u64 v[6:7], s[20:21], 3, v[4:5]
	s_lshl_b64 s[20:21], s[22:23], 6
	v_lshl_add_u64 v[8:9], v[6:7], 0, s[20:21]
	v_lshl_add_u64 v[30:31], v[8:9], 0, s[20:21]
	global_load_dwordx2 v[32:33], v[4:5], off offset:256
	global_load_dwordx2 v[34:35], v[6:7], off offset:256
	;; [unrolled: 1-line block ×4, first 2 shown]
	v_mul_u32_u24_e32 v4, 33, v1
	v_add_lshl_u32 v4, v4, v0, 3
	s_waitcnt vmcnt(3)
	ds_write_b64 v4, v[32:33]
	s_waitcnt vmcnt(2)
	ds_write_b64 v4, v[34:35] offset:2112
	s_waitcnt vmcnt(1)
	ds_write_b64 v4, v[36:37] offset:4224
	;; [unrolled: 2-line block ×3, first 2 shown]
	s_cbranch_execz .LBB14_57
	s_branch .LBB14_72
.LBB14_56:
.LBB14_57:
	v_lshlrev_b32_e32 v4, 3, v0
	v_sub_co_u32_e32 v6, vcc, v2, v4
	s_ashr_i32 s25, s24, 31
	s_nop 0
	v_subbrev_co_u32_e32 v7, vcc, 0, v3, vcc
	s_movk_i32 s20, 0xfef8
	v_or_b32_e32 v5, 32, v0
	v_lshl_add_u64 v[6:7], s[24:25], 3, v[6:7]
	s_mov_b32 s21, -1
	v_lshl_add_u64 v[6:7], v[6:7], 0, s[20:21]
	v_cmp_gt_i32_e32 vcc, s24, v5
	s_sub_i32 s23, s24, 32
	v_mov_b32_e32 v8, 0
	v_cndmask_b32_e32 v7, v7, v3, vcc
	v_cndmask_b32_e32 v6, v6, v2, vcc
	v_cmp_gt_i32_e64 s[20:21], s23, v1
	v_mov_b32_e32 v9, v8
	s_and_saveexec_b64 s[36:37], s[20:21]
	s_cbranch_execz .LBB14_59
; %bb.58:
	global_load_dwordx2 v[8:9], v[6:7], off
.LBB14_59:
	s_or_b64 exec, exec, s[36:37]
	v_mul_u32_u24_e32 v5, 33, v1
	v_add_lshl_u32 v5, v5, v0, 3
	s_waitcnt vmcnt(0)
	ds_write_b64 v5, v[8:9]
	v_add_u32_e32 v8, 8, v1
	v_cmp_le_i32_e64 s[20:21], s23, v8
	s_and_saveexec_b64 s[36:37], s[20:21]
	s_xor_b64 s[20:21], exec, s[36:37]
	s_cbranch_execz .LBB14_61
; %bb.60:
	v_mul_u32_u24_e32 v8, 33, v8
	v_add_lshl_u32 v30, v8, v0, 3
	v_mov_b32_e32 v8, 0
	v_mov_b32_e32 v9, v8
	ds_write_b64 v30, v[8:9]
.LBB14_61:
	s_andn2_saveexec_b64 s[20:21], s[20:21]
	s_cbranch_execz .LBB14_63
; %bb.62:
	s_lshl_b32 s36, s22, 3
	s_ashr_i32 s37, s36, 31
	v_lshl_add_u64 v[8:9], s[36:37], 3, v[6:7]
	global_load_dwordx2 v[8:9], v[8:9], off
	s_waitcnt vmcnt(0)
	ds_write_b64 v5, v[8:9] offset:2112
.LBB14_63:
	s_or_b64 exec, exec, s[20:21]
	v_add_u32_e32 v8, 16, v1
	v_cmp_le_i32_e64 s[20:21], s23, v8
	s_and_saveexec_b64 s[36:37], s[20:21]
	s_xor_b64 s[20:21], exec, s[36:37]
	s_cbranch_execz .LBB14_65
; %bb.64:
	v_mul_u32_u24_e32 v8, 33, v8
	v_add_lshl_u32 v30, v8, v0, 3
	v_mov_b32_e32 v8, 0
	v_mov_b32_e32 v9, v8
	ds_write_b64 v30, v[8:9]
.LBB14_65:
	s_andn2_saveexec_b64 s[20:21], s[20:21]
	s_cbranch_execz .LBB14_67
; %bb.66:
	s_lshl_b32 s36, s22, 4
	s_ashr_i32 s37, s36, 31
	v_lshl_add_u64 v[8:9], s[36:37], 3, v[6:7]
	global_load_dwordx2 v[8:9], v[8:9], off
	s_waitcnt vmcnt(0)
	ds_write_b64 v5, v[8:9] offset:4224
.LBB14_67:
	s_or_b64 exec, exec, s[20:21]
	v_add_u32_e32 v8, 24, v1
	v_cmp_le_i32_e64 s[20:21], s23, v8
	s_and_saveexec_b64 s[36:37], s[20:21]
	s_xor_b64 s[20:21], exec, s[36:37]
	s_cbranch_execz .LBB14_69
; %bb.68:
	v_mov_b32_e32 v8, 0
	v_mov_b32_e32 v9, v8
	ds_write_b64 v5, v[8:9] offset:6336
                                        ; implicit-def: $vgpr5
.LBB14_69:
	s_andn2_saveexec_b64 s[20:21], s[20:21]
	s_cbranch_execz .LBB14_71
; %bb.70:
	s_mul_i32 s36, s22, 24
	s_ashr_i32 s37, s36, 31
	v_lshl_add_u64 v[8:9], s[36:37], 3, v[6:7]
	global_load_dwordx2 v[8:9], v[8:9], off
	s_waitcnt vmcnt(0)
	ds_write_b64 v5, v[8:9] offset:6336
.LBB14_71:
	s_or_b64 exec, exec, s[20:21]
	v_mov_b32_e32 v5, 0
	v_lshl_add_u64 v[4:5], v[6:7], 0, v[4:5]
	s_lshl_b64 s[20:21], s[24:25], 3
	v_mov_b32_e32 v6, s21
	v_subrev_co_u32_e64 v4, s[20:21], s20, v4
	s_nop 1
	v_subb_co_u32_e64 v5, s[20:21], v5, v6, s[20:21]
	s_mov_b64 s[20:21], 0x108
	s_nop 0
	v_lshl_add_u64 v[4:5], v[4:5], 0, s[20:21]
	v_cndmask_b32_e32 v3, v5, v3, vcc
	v_cndmask_b32_e32 v2, v4, v2, vcc
.LBB14_72:
	v_add_u32_e32 v30, 0x2380, v25
	s_waitcnt lgkmcnt(0)
	s_barrier
	s_and_saveexec_b64 s[20:21], s[8:9]
	s_xor_b64 s[8:9], exec, s[20:21]
	s_cbranch_execnz .LBB14_85
; %bb.73:
	s_andn2_saveexec_b64 s[8:9], s[8:9]
	s_cbranch_execnz .LBB14_88
.LBB14_74:
	s_or_b64 exec, exec, s[8:9]
	s_and_saveexec_b64 s[8:9], s[10:11]
	s_xor_b64 s[8:9], exec, s[8:9]
	s_cbranch_execnz .LBB14_89
.LBB14_75:
	s_andn2_saveexec_b64 s[8:9], s[8:9]
	s_cbranch_execnz .LBB14_92
.LBB14_76:
	s_or_b64 exec, exec, s[8:9]
	s_and_saveexec_b64 s[8:9], s[12:13]
	s_xor_b64 s[8:9], exec, s[8:9]
	s_cbranch_execnz .LBB14_93
.LBB14_77:
	s_andn2_saveexec_b64 s[8:9], s[8:9]
	s_cbranch_execnz .LBB14_96
.LBB14_78:
	s_or_b64 exec, exec, s[8:9]
	s_and_saveexec_b64 s[8:9], s[14:15]
	s_xor_b64 s[8:9], exec, s[8:9]
	s_cbranch_execnz .LBB14_97
.LBB14_79:
	s_andn2_saveexec_b64 s[8:9], s[8:9]
	s_cbranch_execz .LBB14_81
.LBB14_80:
	ds_read_b64 v[4:5], v15 offset:528
	s_waitcnt lgkmcnt(0)
	v_xor_b32_e32 v5, 0x80000000, v5
	ds_write_b64 v12, v[4:5] offset:24
.LBB14_81:
	s_or_b64 exec, exec, s[8:9]
	s_waitcnt lgkmcnt(0)
	s_barrier
	ds_read_b64 v[24:25], v24
	ds_read_b128 v[4:7], v30 offset:256
	ds_read2_b64 v[8:11], v15 offset1:33
	ds_read_b64 v[14:15], v15 offset:528
	ds_read_b128 v[32:35], v30 offset:272
	v_cmp_eq_u32_e64 s[8:9], 1, v1
	s_waitcnt lgkmcnt(3)
	v_pk_mul_f32 v[36:37], v[4:5], v[24:25] op_sel:[0,1]
	s_waitcnt lgkmcnt(0)
	v_pk_fma_f32 v[38:39], v[4:5], v[24:25], v[36:37] op_sel:[0,0,1] op_sel_hi:[1,1,0] neg_lo:[0,0,1] neg_hi:[0,0,1]
	v_pk_fma_f32 v[4:5], v[4:5], v[24:25], v[36:37] op_sel:[0,0,1] op_sel_hi:[1,0,0]
	v_pk_mul_f32 v[24:25], v[6:7], v[8:9] op_sel:[0,1]
	v_mov_b32_e32 v39, v5
	v_pk_fma_f32 v[36:37], v[6:7], v[8:9], v[24:25] op_sel:[0,0,1] op_sel_hi:[1,1,0] neg_lo:[0,0,1] neg_hi:[0,0,1]
	v_pk_fma_f32 v[6:7], v[6:7], v[8:9], v[24:25] op_sel:[0,0,1] op_sel_hi:[1,0,0]
	v_pk_add_f32 v[4:5], v[38:39], 0 op_sel_hi:[1,0]
	v_mov_b32_e32 v37, v7
	v_pk_mul_f32 v[6:7], v[32:33], v[10:11] op_sel:[0,1]
	v_pk_add_f32 v[4:5], v[4:5], v[36:37]
	v_pk_fma_f32 v[8:9], v[32:33], v[10:11], v[6:7] op_sel:[0,0,1] op_sel_hi:[1,1,0] neg_lo:[0,0,1] neg_hi:[0,0,1]
	v_pk_fma_f32 v[6:7], v[32:33], v[10:11], v[6:7] op_sel:[0,0,1] op_sel_hi:[1,0,0]
	s_barrier
	v_mov_b32_e32 v9, v7
	v_pk_mul_f32 v[6:7], v[34:35], v[14:15] op_sel:[0,1]
	v_pk_add_f32 v[4:5], v[4:5], v[8:9]
	v_pk_fma_f32 v[8:9], v[34:35], v[14:15], v[6:7] op_sel:[0,0,1] op_sel_hi:[1,1,0] neg_lo:[0,0,1] neg_hi:[0,0,1]
	v_pk_fma_f32 v[6:7], v[34:35], v[14:15], v[6:7] op_sel:[0,0,1] op_sel_hi:[1,0,0]
	s_nop 0
	v_mov_b32_e32 v9, v7
	v_pk_add_f32 v[4:5], v[4:5], v[8:9]
	ds_write_b64 v29, v[4:5]
	s_waitcnt lgkmcnt(0)
	s_barrier
	s_and_saveexec_b64 s[10:11], s[8:9]
	s_cbranch_execz .LBB14_83
; %bb.82:
	v_lshlrev_b32_e32 v13, 3, v28
	ds_read2_b64 v[4:7], v13 offset1:7
	ds_read2_b64 v[8:11], v13 offset0:1 offset1:2
	ds_read2_b64 v[32:35], v13 offset0:3 offset1:4
	s_waitcnt lgkmcnt(1)
	v_add_f32_e32 v4, v8, v4
	v_add_f32_e32 v5, v9, v5
	;; [unrolled: 1-line block ×4, first 2 shown]
	ds_read2_b64 v[8:11], v13 offset0:5 offset1:6
	s_waitcnt lgkmcnt(1)
	v_add_f32_e32 v4, v4, v32
	v_add_f32_e32 v5, v5, v33
	;; [unrolled: 1-line block ×4, first 2 shown]
	s_waitcnt lgkmcnt(0)
	v_add_f32_e32 v4, v4, v8
	v_add_f32_e32 v5, v5, v9
	v_pk_add_f32 v[4:5], v[4:5], v[10:11]
	s_nop 0
	v_pk_add_f32 v[18:19], v[4:5], v[6:7]
.LBB14_83:
	s_or_b64 exec, exec, s[10:11]
	s_lshl_b64 s[10:11], s[34:35], 3
	v_mov_b32_e32 v4, s11
	v_subrev_co_u32_e64 v24, s[10:11], s10, v2
	s_and_b64 vcc, exec, s[16:17]
	s_nop 0
	v_subb_co_u32_e64 v25, s[10:11], v3, v4, s[10:11]
	s_barrier
	s_cbranch_vccnz .LBB14_100
; %bb.84:
	s_lshl_b32 s10, s22, 3
	s_ashr_i32 s11, s10, 31
	s_ashr_i32 s23, s22, 31
	v_lshl_add_u64 v[2:3], s[10:11], 3, v[24:25]
	s_lshl_b64 s[10:11], s[22:23], 6
	v_lshl_add_u64 v[4:5], v[2:3], 0, s[10:11]
	v_lshl_add_u64 v[6:7], v[4:5], 0, s[10:11]
	global_load_dwordx2 v[14:15], v[24:25], off
	global_load_dwordx2 v[32:33], v[2:3], off
	;; [unrolled: 1-line block ×4, first 2 shown]
	v_mad_u32_u24 v8, v1, 33, v0
	v_add_u32_e32 v6, 8, v1
	v_add_u32_e32 v7, 16, v1
	;; [unrolled: 1-line block ×3, first 2 shown]
	v_lshlrev_b32_e32 v4, 3, v8
	v_add_u32_e32 v2, 0x108, v8
	v_add_u32_e32 v3, 0x210, v8
	v_add_u32_e32 v10, 0x318, v8
	s_waitcnt vmcnt(3)
	ds_write_b64 v4, v[14:15]
	s_waitcnt vmcnt(2)
	ds_write_b64 v4, v[32:33] offset:2112
	s_waitcnt vmcnt(1)
	ds_write_b64 v4, v[34:35] offset:4224
	;; [unrolled: 2-line block ×3, first 2 shown]
	s_cbranch_execz .LBB14_101
	s_branch .LBB14_116
.LBB14_85:
	v_cmp_eq_u32_e32 vcc, v10, v0
	s_and_saveexec_b64 s[20:21], vcc
	s_cbranch_execz .LBB14_87
; %bb.86:
	v_mul_u32_u24_e32 v4, 34, v0
	v_lshlrev_b32_e32 v4, 3, v4
	v_mov_b32_e32 v5, 0
	ds_write_b32 v4, v5 offset:4
.LBB14_87:
	s_or_b64 exec, exec, s[20:21]
	s_andn2_saveexec_b64 s[8:9], s[8:9]
	s_cbranch_execz .LBB14_74
.LBB14_88:
	ds_read_b64 v[4:5], v24
	s_waitcnt lgkmcnt(0)
	v_xor_b32_e32 v5, 0x80000000, v5
	ds_write_b64 v12, v[4:5]
	s_or_b64 exec, exec, s[8:9]
	s_and_saveexec_b64 s[8:9], s[10:11]
	s_xor_b64 s[8:9], exec, s[8:9]
	s_cbranch_execz .LBB14_75
.LBB14_89:
	v_cmp_eq_u32_e32 vcc, v11, v0
	s_and_saveexec_b64 s[10:11], vcc
	s_cbranch_execz .LBB14_91
; %bb.90:
	v_mul_u32_u24_e32 v4, 34, v0
	v_lshlrev_b32_e32 v4, 3, v4
	v_mov_b32_e32 v5, 0
	ds_write_b32 v4, v5 offset:4
.LBB14_91:
	s_or_b64 exec, exec, s[10:11]
	s_andn2_saveexec_b64 s[8:9], s[8:9]
	s_cbranch_execz .LBB14_76
.LBB14_92:
	ds_read_b64 v[4:5], v15
	s_waitcnt lgkmcnt(0)
	v_xor_b32_e32 v5, 0x80000000, v5
	ds_write_b64 v12, v[4:5] offset:8
	s_or_b64 exec, exec, s[8:9]
	s_and_saveexec_b64 s[8:9], s[12:13]
	s_xor_b64 s[8:9], exec, s[8:9]
	s_cbranch_execz .LBB14_77
.LBB14_93:
	v_cmp_eq_u32_e32 vcc, v13, v0
	s_and_saveexec_b64 s[10:11], vcc
	s_cbranch_execz .LBB14_95
; %bb.94:
	v_mul_u32_u24_e32 v4, 34, v0
	v_lshlrev_b32_e32 v4, 3, v4
	v_mov_b32_e32 v5, 0
	ds_write_b32 v4, v5 offset:4
.LBB14_95:
	s_or_b64 exec, exec, s[10:11]
	s_andn2_saveexec_b64 s[8:9], s[8:9]
	s_cbranch_execz .LBB14_78
.LBB14_96:
	ds_read_b64 v[4:5], v15 offset:264
	s_waitcnt lgkmcnt(0)
	v_xor_b32_e32 v5, 0x80000000, v5
	ds_write_b64 v12, v[4:5] offset:16
	s_or_b64 exec, exec, s[8:9]
	s_and_saveexec_b64 s[8:9], s[14:15]
	s_xor_b64 s[8:9], exec, s[8:9]
	s_cbranch_execz .LBB14_79
.LBB14_97:
	v_cmp_eq_u32_e32 vcc, v14, v0
	s_and_saveexec_b64 s[10:11], vcc
	s_cbranch_execz .LBB14_99
; %bb.98:
	v_mul_u32_u24_e32 v4, 34, v0
	v_lshlrev_b32_e32 v4, 3, v4
	v_mov_b32_e32 v5, 0
	ds_write_b32 v4, v5 offset:4
.LBB14_99:
	s_or_b64 exec, exec, s[10:11]
	s_andn2_saveexec_b64 s[8:9], s[8:9]
	s_cbranch_execnz .LBB14_80
	s_branch .LBB14_81
.LBB14_100:
                                        ; implicit-def: $vgpr8
                                        ; implicit-def: $vgpr6
                                        ; implicit-def: $vgpr2
                                        ; implicit-def: $vgpr7
                                        ; implicit-def: $vgpr3
                                        ; implicit-def: $vgpr9
                                        ; implicit-def: $vgpr10
.LBB14_101:
	v_lshlrev_b32_e32 v2, 3, v0
	v_sub_co_u32_e32 v4, vcc, v24, v2
	s_ashr_i32 s25, s24, 31
	s_nop 0
	v_subbrev_co_u32_e32 v5, vcc, 0, v25, vcc
	s_movk_i32 s10, 0xfef8
	v_or_b32_e32 v3, 32, v0
	v_lshl_add_u64 v[4:5], s[24:25], 3, v[4:5]
	s_mov_b32 s11, -1
	v_lshl_add_u64 v[4:5], v[4:5], 0, s[10:11]
	v_cmp_gt_i32_e32 vcc, s24, v3
	v_mov_b32_e32 v6, 0
	v_cmp_gt_i32_e64 s[10:11], s24, v1
	v_cndmask_b32_e32 v5, v5, v25, vcc
	v_cndmask_b32_e32 v4, v4, v24, vcc
	v_mov_b32_e32 v7, v6
	s_and_saveexec_b64 s[12:13], s[10:11]
	s_cbranch_execz .LBB14_103
; %bb.102:
	global_load_dwordx2 v[6:7], v[4:5], off
.LBB14_103:
	s_or_b64 exec, exec, s[12:13]
	v_mad_u32_u24 v8, v1, 33, v0
	v_lshlrev_b32_e32 v3, 3, v8
	s_waitcnt vmcnt(0)
	ds_write_b64 v3, v[6:7]
	v_add_u32_e32 v6, 8, v1
	v_cmp_le_i32_e64 s[10:11], s24, v6
	s_and_saveexec_b64 s[12:13], s[10:11]
	s_xor_b64 s[10:11], exec, s[12:13]
	s_cbranch_execz .LBB14_105
; %bb.104:
	v_mul_u32_u24_e32 v7, 33, v6
	v_mov_b32_e32 v10, 0
	v_add_lshl_u32 v7, v7, v0, 3
	v_mov_b32_e32 v11, v10
	ds_write_b64 v7, v[10:11]
.LBB14_105:
	s_andn2_saveexec_b64 s[10:11], s[10:11]
	s_cbranch_execz .LBB14_107
; %bb.106:
	s_lshl_b32 s12, s22, 3
	s_ashr_i32 s13, s12, 31
	v_lshl_add_u64 v[10:11], s[12:13], 3, v[4:5]
	global_load_dwordx2 v[10:11], v[10:11], off
	s_waitcnt vmcnt(0)
	ds_write_b64 v3, v[10:11] offset:2112
.LBB14_107:
	s_or_b64 exec, exec, s[10:11]
	v_add_u32_e32 v7, 16, v1
	v_cmp_le_i32_e64 s[10:11], s24, v7
	s_and_saveexec_b64 s[12:13], s[10:11]
	s_xor_b64 s[10:11], exec, s[12:13]
	s_cbranch_execz .LBB14_109
; %bb.108:
	v_mul_u32_u24_e32 v9, 33, v7
	v_mov_b32_e32 v10, 0
	v_add_lshl_u32 v9, v9, v0, 3
	v_mov_b32_e32 v11, v10
	ds_write_b64 v9, v[10:11]
.LBB14_109:
	s_andn2_saveexec_b64 s[10:11], s[10:11]
	s_cbranch_execz .LBB14_111
; %bb.110:
	s_lshl_b32 s12, s22, 4
	s_ashr_i32 s13, s12, 31
	v_lshl_add_u64 v[10:11], s[12:13], 3, v[4:5]
	global_load_dwordx2 v[10:11], v[10:11], off
	s_waitcnt vmcnt(0)
	ds_write_b64 v3, v[10:11] offset:4224
.LBB14_111:
	s_or_b64 exec, exec, s[10:11]
	v_add_u32_e32 v9, 24, v1
	v_cmp_le_i32_e64 s[10:11], s24, v9
                                        ; implicit-def: $vgpr10
	s_and_saveexec_b64 s[12:13], s[10:11]
	s_xor_b64 s[10:11], exec, s[12:13]
	s_cbranch_execz .LBB14_113
; %bb.112:
	v_mad_u32_u24 v10, v9, 33, v0
	v_mov_b32_e32 v14, 0
	v_lshlrev_b32_e32 v0, 3, v10
	v_mov_b32_e32 v15, v14
	ds_write_b64 v0, v[14:15]
                                        ; implicit-def: $vgpr3
.LBB14_113:
	s_andn2_saveexec_b64 s[10:11], s[10:11]
	s_cbranch_execz .LBB14_115
; %bb.114:
	s_mul_i32 s12, s22, 24
	s_ashr_i32 s13, s12, 31
	v_lshl_add_u64 v[10:11], s[12:13], 3, v[4:5]
	global_load_dwordx2 v[14:15], v[10:11], off
	v_add_u32_e32 v10, 0x318, v8
	s_waitcnt vmcnt(0)
	ds_write_b64 v3, v[14:15] offset:6336
.LBB14_115:
	s_or_b64 exec, exec, s[10:11]
	v_mov_b32_e32 v3, 0
	v_lshl_add_u64 v[2:3], v[4:5], 0, v[2:3]
	s_lshl_b64 s[10:11], s[24:25], 3
	v_mov_b32_e32 v0, s11
	v_subrev_co_u32_e64 v2, s[10:11], s10, v2
	s_nop 1
	v_subb_co_u32_e64 v3, s[10:11], v3, v0, s[10:11]
	s_mov_b64 s[10:11], 0x108
	s_nop 0
	v_lshl_add_u64 v[2:3], v[2:3], 0, s[10:11]
	v_cndmask_b32_e32 v25, v3, v25, vcc
	v_cndmask_b32_e32 v24, v2, v24, vcc
	v_add_u32_e32 v2, 0x108, v8
	v_add_u32_e32 v3, 0x210, v8
.LBB14_116:
	v_lshlrev_b32_e32 v0, 3, v8
	s_waitcnt lgkmcnt(0)
	s_barrier
	ds_read_b64 v[32:33], v0
	v_lshlrev_b32_e32 v4, 3, v1
	v_lshlrev_b32_e32 v5, 3, v2
	;; [unrolled: 1-line block ×7, first 2 shown]
	ds_read_b64 v[34:35], v0
	ds_read2_b64 v[8:11], v12 offset1:1
	ds_read2_b64 v[0:3], v12 offset0:2 offset1:3
	ds_read_b64 v[36:37], v6 offset:9088
	ds_read_b64 v[38:39], v5
	ds_read_b64 v[40:41], v4 offset:9088
	ds_read_b128 v[12:15], v30 offset:256
	ds_read_b128 v[4:7], v30 offset:272
	ds_read_b64 v[30:31], v31 offset:9088
	ds_read_b64 v[42:43], v42
	ds_read_b64 v[44:45], v44 offset:9088
	s_waitcnt lgkmcnt(5)
	v_pk_mul_f32 v[46:47], v[40:41], v[32:33] op_sel:[0,1]
	s_waitcnt lgkmcnt(0)
	v_pk_fma_f32 v[48:49], v[40:41], v[32:33], v[46:47] op_sel:[0,0,1] op_sel_hi:[1,1,0] neg_lo:[0,0,1] neg_hi:[0,0,1]
	v_pk_fma_f32 v[32:33], v[40:41], v[32:33], v[46:47] op_sel:[0,0,1] op_sel_hi:[1,0,0]
	v_pk_mul_f32 v[40:41], v[36:37], v[38:39] op_sel:[0,1]
	v_mov_b32_e32 v49, v33
	v_pk_fma_f32 v[46:47], v[36:37], v[38:39], v[40:41] op_sel:[0,0,1] op_sel_hi:[1,1,0] neg_lo:[0,0,1] neg_hi:[0,0,1]
	v_pk_fma_f32 v[36:37], v[36:37], v[38:39], v[40:41] op_sel:[0,0,1] op_sel_hi:[1,0,0]
	v_pk_add_f32 v[32:33], v[48:49], 0 op_sel_hi:[1,0]
	v_mov_b32_e32 v47, v37
	v_pk_mul_f32 v[36:37], v[44:45], v[34:35] op_sel:[0,1]
	v_pk_add_f32 v[32:33], v[32:33], v[46:47]
	v_pk_fma_f32 v[38:39], v[44:45], v[34:35], v[36:37] op_sel:[0,0,1] op_sel_hi:[1,1,0] neg_lo:[0,0,1] neg_hi:[0,0,1]
	v_pk_fma_f32 v[34:35], v[44:45], v[34:35], v[36:37] op_sel:[0,0,1] op_sel_hi:[1,0,0]
	s_barrier
	v_mov_b32_e32 v39, v35
	v_pk_mul_f32 v[34:35], v[30:31], v[42:43] op_sel:[0,1]
	v_pk_add_f32 v[32:33], v[32:33], v[38:39]
	v_pk_fma_f32 v[36:37], v[30:31], v[42:43], v[34:35] op_sel:[0,0,1] op_sel_hi:[1,1,0] neg_lo:[0,0,1] neg_hi:[0,0,1]
	v_pk_fma_f32 v[30:31], v[30:31], v[42:43], v[34:35] op_sel:[0,0,1] op_sel_hi:[1,0,0]
	s_nop 0
	v_mov_b32_e32 v37, v31
	v_pk_add_f32 v[30:31], v[32:33], v[36:37]
	ds_write_b64 v29, v[30:31]
	s_waitcnt lgkmcnt(0)
	s_barrier
	s_and_saveexec_b64 s[10:11], s[8:9]
	s_cbranch_execz .LBB14_118
; %bb.117:
	v_lshlrev_b32_e32 v42, 3, v28
	ds_read2_b64 v[30:33], v42 offset1:1
	ds_read2_b64 v[34:37], v42 offset0:2 offset1:3
	ds_read2_b64 v[38:41], v42 offset0:4 offset1:5
	s_waitcnt lgkmcnt(2)
	v_pk_add_f32 v[18:19], v[18:19], v[30:31]
	s_nop 0
	v_pk_add_f32 v[18:19], v[18:19], v[32:33]
	ds_read2_b64 v[30:33], v42 offset0:6 offset1:7
	s_waitcnt lgkmcnt(2)
	v_pk_add_f32 v[18:19], v[18:19], v[34:35]
	s_nop 0
	v_pk_add_f32 v[18:19], v[18:19], v[36:37]
	s_waitcnt lgkmcnt(1)
	v_pk_add_f32 v[18:19], v[18:19], v[38:39]
	s_nop 0
	v_pk_add_f32 v[18:19], v[18:19], v[40:41]
	;; [unrolled: 4-line block ×3, first 2 shown]
.LBB14_118:
	s_or_b64 exec, exec, s[10:11]
	v_pk_mul_f32 v[30:31], v[8:9], v[12:13] op_sel:[1,0]
	s_nop 0
	v_pk_fma_f32 v[32:33], v[8:9], v[12:13], v[30:31] op_sel:[0,0,1] op_sel_hi:[1,1,0]
	v_pk_fma_f32 v[8:9], v[8:9], v[12:13], v[30:31] op_sel:[0,0,1] op_sel_hi:[0,1,0] neg_lo:[0,0,1] neg_hi:[0,0,1]
	v_mov_b32_e32 v12, v11
	v_pk_mul_f32 v[12:13], v[12:13], v[14:15] op_sel_hi:[0,1]
	v_pk_fma_f32 v[30:31], v[10:11], v[14:15], v[12:13] op_sel:[0,0,1] op_sel_hi:[1,1,0]
	v_pk_fma_f32 v[10:11], v[10:11], v[14:15], v[12:13] op_sel:[0,0,1] op_sel_hi:[0,1,0] neg_lo:[0,0,1] neg_hi:[0,0,1]
	v_mov_b32_e32 v33, v9
	v_mov_b32_e32 v31, v11
	v_pk_mul_f32 v[10:11], v[0:1], v[4:5] op_sel:[1,0]
	v_pk_add_f32 v[8:9], v[32:33], 0 op_sel_hi:[1,0]
	v_pk_fma_f32 v[12:13], v[0:1], v[4:5], v[10:11] op_sel:[0,0,1] op_sel_hi:[1,1,0]
	v_pk_fma_f32 v[0:1], v[0:1], v[4:5], v[10:11] op_sel:[0,0,1] op_sel_hi:[0,1,0] neg_lo:[0,0,1] neg_hi:[0,0,1]
	v_mov_b32_e32 v4, v3
	v_pk_add_f32 v[8:9], v[8:9], v[30:31]
	v_mov_b32_e32 v13, v1
	v_pk_mul_f32 v[4:5], v[4:5], v[6:7] op_sel_hi:[0,1]
	v_pk_add_f32 v[0:1], v[8:9], v[12:13]
	v_pk_fma_f32 v[8:9], v[2:3], v[6:7], v[4:5] op_sel:[0,0,1] op_sel_hi:[1,1,0]
	v_pk_fma_f32 v[2:3], v[2:3], v[6:7], v[4:5] op_sel:[0,0,1] op_sel_hi:[0,1,0] neg_lo:[0,0,1] neg_hi:[0,0,1]
	v_mov_b32_e32 v9, v3
	v_pk_add_f32 v[0:1], v[0:1], v[8:9]
	s_barrier
	ds_write_b64 v29, v[0:1]
	s_waitcnt lgkmcnt(0)
	s_barrier
	s_and_saveexec_b64 s[8:9], s[6:7]
	s_cbranch_execz .LBB14_120
; %bb.119:
	v_lshlrev_b32_e32 v14, 3, v28
	ds_read2_b64 v[0:3], v14 offset1:1
	ds_read2_b64 v[4:7], v14 offset0:2 offset1:3
	ds_read2_b64 v[8:11], v14 offset0:4 offset1:5
	s_waitcnt lgkmcnt(2)
	v_pk_add_f32 v[0:1], v[18:19], v[0:1]
	s_nop 0
	v_pk_add_f32 v[12:13], v[0:1], v[2:3]
	ds_read2_b64 v[0:3], v14 offset0:6 offset1:7
	s_waitcnt lgkmcnt(2)
	v_pk_add_f32 v[4:5], v[12:13], v[4:5]
	s_nop 0
	v_pk_add_f32 v[4:5], v[4:5], v[6:7]
	s_waitcnt lgkmcnt(1)
	v_pk_add_f32 v[4:5], v[4:5], v[8:9]
	s_nop 0
	v_pk_add_f32 v[4:5], v[4:5], v[10:11]
	;; [unrolled: 4-line block ×3, first 2 shown]
.LBB14_120:
	s_or_b64 exec, exec, s[8:9]
	s_load_dwordx2 s[0:1], s[0:1], 0x68
	s_mul_hi_u32 s6, s38, s3
	s_mul_i32 s40, s40, s3
	s_add_i32 s6, s6, s40
	s_mul_i32 s3, s38, s3
	s_mul_i32 s6, s6, s39
	s_mul_hi_u32 s7, s3, s39
	s_add_i32 s7, s7, s6
	s_mul_i32 s6, s3, s39
	s_lshl_b64 s[6:7], s[6:7], 3
	s_waitcnt lgkmcnt(0)
	s_add_u32 s3, s0, s6
	s_mul_i32 s0, s2, s38
	s_addc_u32 s7, s1, s7
	s_ashr_i32 s1, s0, 31
	s_lshl_b64 s[0:1], s[0:1], 3
	s_add_u32 s6, s3, s0
	v_cmp_le_i32_e32 vcc, s24, v26
	s_addc_u32 s7, s7, s1
	s_and_b64 vcc, s[30:31], vcc
	s_cmp_lt_i32 s2, 1
	v_lshlrev_b32_e32 v74, 3, v26
	s_barrier
	s_cbranch_scc1 .LBB14_127
; %bb.121:
	s_mul_i32 s0, s26, s33
	s_ashr_i32 s1, s0, 31
	s_lshl_b64 s[0:1], s[0:1], 3
	v_mov_b32_e32 v0, s1
	v_subrev_co_u32_e64 v4, s[0:1], s0, v20
	s_ashr_i32 s25, s24, 31
	s_nop 0
	v_subb_co_u32_e64 v5, s[0:1], v21, v0, s[0:1]
	v_mov_b32_e32 v0, s29
	v_subrev_co_u32_e64 v2, s[0:1], s28, v24
	v_and_b32_e32 v6, 15, v26
	s_nop 0
	v_subb_co_u32_e64 v3, s[0:1], v25, v0, s[0:1]
	v_lshlrev_b64 v[0:1], 3, v[22:23]
	v_sub_co_u32_e64 v0, s[0:1], v2, v0
	v_mul_lo_u32 v2, v17, s22
	s_nop 0
	v_subb_co_u32_e64 v1, s[0:1], v3, v1, s[0:1]
	v_lshl_add_u32 v2, v2, 2, v26
	v_ashrrev_i32_e32 v3, 31, v2
	s_movk_i32 s0, 0xff00
	v_lshl_add_u64 v[0:1], v[2:3], 3, v[0:1]
	s_mov_b32 s1, -1
	v_lshl_add_u64 v[2:3], v[0:1], 0, s[0:1]
	v_sub_co_u32_e64 v0, s[0:1], v0, v74
	s_movk_i32 s8, 0x218
	s_nop 0
	v_subbrev_co_u32_e64 v1, s[0:1], 0, v1, s[0:1]
	s_movk_i32 s0, 0xfef8
	v_lshl_add_u64 v[0:1], s[24:25], 3, v[0:1]
	s_mov_b32 s1, -1
	v_lshl_add_u64 v[0:1], v[0:1], 0, s[0:1]
	v_cndmask_b32_e32 v8, v2, v0, vcc
	v_and_b32_e32 v0, 48, v26
	v_cndmask_b32_e32 v9, v3, v1, vcc
	v_lshlrev_b32_e32 v1, 3, v0
	v_lshrrev_b32_e32 v10, 4, v27
	v_mad_u32_u24 v77, v6, s8, v1
	v_or_b32_e32 v1, 0x78, v74
	v_mad_u32_u24 v78, v6, s8, v1
	v_lshlrev_b32_e32 v1, 5, v10
	v_mad_u32_u24 v79, v6, s8, v1
	v_mov_b32_e32 v1, 0x2180
	s_ashr_i32 s23, s22, 31
	v_lshl_add_u32 v80, v17, 5, v1
	s_movk_i32 s9, 0x860
	v_lshlrev_b32_e32 v1, 3, v10
	v_mov_b32_e32 v7, 0
	s_lshl_b32 s3, s33, 6
	v_add_u32_e32 v75, 0x2180, v74
	v_add_u32_e32 v76, 0x2380, v74
	v_cmp_gt_u32_e64 s[0:1], 64, v27
	v_mad_u32_u24 v81, v17, s9, v74
	v_mad_u32_u24 v82, v6, s8, v1
	s_lshl_b64 s[8:9], s[22:23], 3
	s_lshl_b64 s[10:11], s[22:23], 9
	;; [unrolled: 1-line block ×3, first 2 shown]
	s_mul_hi_i32 s15, s22, 24
	s_mul_i32 s14, s22, 24
	s_mul_hi_i32 s17, s22, 0x90
	s_mul_i32 s16, s22, 0x90
	;; [unrolled: 2-line block ×10, first 2 shown]
	s_lshl_b64 s[40:41], s[22:23], 8
	s_mul_hi_i32 s43, s22, 0x88
	s_mul_i32 s42, s22, 0x88
	s_lshl_b64 s[22:23], s[22:23], 7
	v_or_b32_e32 v6, v0, v6
	s_mov_b32 s44, 0
	s_branch .LBB14_123
.LBB14_122:                             ;   in Loop: Header=BB14_123 Depth=1
	s_or_b64 exec, exec, s[46:47]
	v_mul_f32_e32 v83, v10, v22
	v_fma_f32 v83, -v11, v23, v83
	v_pk_mul_f32 v[10:11], v[10:11], v[22:23] op_sel:[1,0] op_sel_hi:[0,1]
	v_add_f32_e32 v10, v10, v11
	v_add_f32_e32 v19, v19, v10
	v_mul_f32_e32 v10, v12, v28
	v_add_f32_e32 v18, v18, v83
	v_fma_f32 v10, -v13, v29, v10
	v_add_f32_e32 v18, v18, v10
	v_pk_mul_f32 v[10:11], v[12:13], v[28:29] op_sel:[1,0] op_sel_hi:[0,1]
	v_add_f32_e32 v10, v10, v11
	v_add_f32_e32 v12, v19, v10
	v_mul_f32_e32 v10, v14, v26
	v_fma_f32 v10, -v15, v27, v10
	v_add_f32_e32 v13, v18, v10
	v_pk_mul_f32 v[10:11], v[14:15], v[26:27] op_sel:[1,0] op_sel_hi:[0,1]
	v_add_f32_e32 v10, v10, v11
	v_add_f32_e32 v12, v12, v10
	v_mul_f32_e32 v10, v20, v24
	;; [unrolled: 6-line block ×4, first 2 shown]
	v_fma_f32 v10, -v33, v51, v10
	v_add_f32_e32 v10, v13, v10
	v_pk_mul_f32 v[12:13], v[32:33], v[50:51] op_sel:[1,0] op_sel_hi:[0,1]
	v_add_f32_e32 v12, v12, v13
	v_add_f32_e32 v11, v11, v12
	v_mov_b32_e32 v12, v43
	v_pk_mul_f32 v[12:13], v[34:35], v[12:13] op_sel:[1,0] op_sel_hi:[0,1]
	v_pk_fma_f32 v[12:13], v[34:35], v[42:43], v[12:13] neg_lo:[0,0,1] neg_hi:[0,0,1]
	v_pk_mul_f32 v[14:15], v[34:35], v[42:43] op_sel:[1,0] op_sel_hi:[0,1]
	v_mov_b32_e32 v13, v14
	v_pk_fma_f32 v[14:15], v[34:35], v[42:43], v[12:13] op_sel:[1,0,0] op_sel_hi:[0,1,1]
	v_pk_mul_f32 v[20:21], v[36:37], v[40:41] op_sel:[1,0] op_sel_hi:[0,1]
	v_mov_b32_e32 v14, v41
	v_mov_b32_e32 v13, v20
	v_pk_mul_f32 v[18:19], v[36:37], v[14:15] op_sel:[1,0] op_sel_hi:[0,1]
	v_pk_fma_f32 v[20:21], v[36:37], v[40:41], v[12:13] op_sel:[1,0,0] op_sel_hi:[0,1,1]
	v_mov_b32_e32 v13, v15
	v_pk_fma_f32 v[18:19], v[36:37], v[40:41], v[18:19] neg_lo:[0,0,1] neg_hi:[0,0,1]
	v_pk_add_f32 v[10:11], v[10:11], v[12:13]
	v_pk_mul_f32 v[12:13], v[44:45], v[54:55] op_sel:[1,1] op_sel_hi:[0,1]
	v_mov_b32_e32 v19, v21
	v_pk_mul_f32 v[14:15], v[52:53], v[0:1] op_sel:[0,1]
	v_pk_fma_f32 v[22:23], v[44:45], v[54:55], v[12:13] neg_lo:[0,0,1] neg_hi:[0,0,1]
	v_pk_fma_f32 v[12:13], v[44:45], v[54:55], v[12:13] op_sel_hi:[1,0,1]
	v_pk_add_f32 v[10:11], v[10:11], v[18:19]
	v_mov_b32_e32 v18, v3
	v_mov_b32_e32 v23, v13
	v_pk_fma_f32 v[12:13], v[52:53], v[0:1], v[14:15] op_sel:[0,0,1] op_sel_hi:[1,1,0] neg_lo:[0,0,1] neg_hi:[0,0,1]
	v_pk_fma_f32 v[0:1], v[52:53], v[0:1], v[14:15] op_sel:[0,0,1] op_sel_hi:[1,0,0]
	v_pk_mul_f32 v[18:19], v[48:49], v[18:19] op_sel_hi:[1,0]
	v_pk_add_f32 v[10:11], v[10:11], v[22:23]
	v_mov_b32_e32 v13, v1
	v_pk_add_f32 v[0:1], v[10:11], v[12:13]
	v_pk_fma_f32 v[10:11], v[48:49], v[2:3], v[18:19] op_sel:[0,0,1] op_sel_hi:[1,1,0] neg_lo:[0,0,1] neg_hi:[0,0,1]
	v_pk_fma_f32 v[2:3], v[48:49], v[2:3], v[18:19] op_sel:[0,0,1] op_sel_hi:[1,0,0]
	v_pk_mul_f32 v[20:21], v[46:47], v[56:57] op_sel:[0,1]
	v_mov_b32_e32 v11, v3
	v_pk_add_f32 v[0:1], v[0:1], v[10:11]
	v_pk_fma_f32 v[2:3], v[46:47], v[56:57], v[20:21] op_sel:[0,0,1] op_sel_hi:[1,1,0] neg_lo:[0,0,1] neg_hi:[0,0,1]
	v_pk_fma_f32 v[10:11], v[46:47], v[56:57], v[20:21] op_sel:[0,0,1] op_sel_hi:[1,0,0]
	v_pk_mul_f32 v[12:13], v[62:63], v[70:71] op_sel:[0,1]
	v_mov_b32_e32 v3, v11
	v_pk_add_f32 v[0:1], v[0:1], v[2:3]
	v_pk_mul_f32 v[2:3], v[60:61], v[66:67] op_sel:[0,1]
	v_pk_mul_f32 v[10:11], v[64:65], v[72:73] op_sel:[0,1]
	v_pk_fma_f32 v[18:19], v[60:61], v[66:67], v[2:3] op_sel:[0,0,1] op_sel_hi:[1,1,0] neg_lo:[0,0,1] neg_hi:[0,0,1]
	v_pk_fma_f32 v[2:3], v[60:61], v[66:67], v[2:3] op_sel:[0,0,1] op_sel_hi:[1,0,0]
	v_pk_mul_f32 v[14:15], v[58:59], v[68:69] op_sel:[0,1]
	v_mov_b32_e32 v19, v3
	v_pk_fma_f32 v[2:3], v[64:65], v[72:73], v[10:11] op_sel:[0,0,1] op_sel_hi:[1,1,0] neg_lo:[0,0,1] neg_hi:[0,0,1]
	v_pk_fma_f32 v[10:11], v[64:65], v[72:73], v[10:11] op_sel:[0,0,1] op_sel_hi:[1,0,0]
	v_pk_add_f32 v[0:1], v[0:1], v[18:19]
	v_mov_b32_e32 v3, v11
	v_pk_fma_f32 v[10:11], v[62:63], v[70:71], v[12:13] op_sel:[0,0,1] op_sel_hi:[1,1,0] neg_lo:[0,0,1] neg_hi:[0,0,1]
	v_pk_fma_f32 v[12:13], v[62:63], v[70:71], v[12:13] op_sel:[0,0,1] op_sel_hi:[1,0,0]
	v_pk_add_f32 v[0:1], v[0:1], v[2:3]
	;; [unrolled: 4-line block ×3, first 2 shown]
	v_mov_b32_e32 v13, v15
	s_add_i32 s2, s2, -1
	s_add_i32 s44, s44, s3
	v_pk_add_f32 v[18:19], v[0:1], v[12:13]
	v_lshl_add_u64 v[8:9], v[8:9], 0, s[10:11]
	s_cmp_eq_u32 s2, 0
	v_add_u32_e32 v6, 64, v6
	s_barrier
	s_cbranch_scc1 .LBB14_127
.LBB14_123:                             ; =>This Inner Loop Header: Depth=1
	s_and_saveexec_b64 s[46:47], s[18:19]
	s_cbranch_execz .LBB14_125
; %bb.124:                              ;   in Loop: Header=BB14_123 Depth=1
	s_ashr_i32 s45, s44, 31
	v_lshl_add_u64 v[0:1], s[44:45], 3, v[4:5]
	global_load_dwordx2 v[0:1], v[0:1], off
	s_waitcnt vmcnt(0)
	ds_write_b64 v75, v[0:1]
.LBB14_125:                             ;   in Loop: Header=BB14_123 Depth=1
	s_or_b64 exec, exec, s[46:47]
	v_lshl_add_u64 v[0:1], v[8:9], 0, s[8:9]
	s_waitcnt lgkmcnt(0)
	s_barrier
	global_load_dwordx2 v[10:11], v[8:9], off
	global_load_dwordx2 v[12:13], v[0:1], off
	v_lshl_add_u64 v[0:1], v[8:9], 0, s[12:13]
	global_load_dwordx2 v[14:15], v[0:1], off
	v_lshl_add_u64 v[0:1], v[8:9], 0, s[14:15]
	global_load_dwordx2 v[20:21], v[0:1], off
	ds_read_b64 v[0:1], v76
	ds_read_b64 v[22:23], v80
	v_lshl_add_u64 v[2:3], v[8:9], 0, s[22:23]
	v_lshl_add_u64 v[58:59], v[8:9], 0, s[36:37]
	s_waitcnt vmcnt(3) lgkmcnt(1)
	v_mul_f32_e32 v24, v11, v1
	v_mul_f32_e32 v25, v11, v0
	v_fmac_f32_e32 v24, v10, v0
	v_fma_f32 v25, v10, v1, -v25
	s_waitcnt vmcnt(2)
	v_mul_f32_e32 v26, v13, v1
	v_mul_f32_e32 v27, v13, v0
	s_waitcnt vmcnt(1)
	v_mul_f32_e32 v30, v15, v1
	v_mul_f32_e32 v28, v15, v0
	s_waitcnt vmcnt(0)
	v_mul_f32_e32 v29, v21, v0
	ds_write_b64 v81, v[24:25]
	v_fmac_f32_e32 v26, v12, v0
	v_fma_f32 v27, v12, v1, -v27
	v_mul_f32_e32 v32, v21, v1
	v_fmac_f32_e32 v30, v14, v0
	v_fma_f32 v31, v14, v1, -v28
	v_fma_f32 v33, v20, v1, -v29
	ds_read_b64 v[28:29], v80 offset:8
	ds_write_b64 v81, v[26:27] offset:536
	v_fmac_f32_e32 v32, v20, v0
	ds_read_b64 v[26:27], v80 offset:16
	ds_write_b64 v81, v[30:31] offset:1072
	ds_read_b64 v[24:25], v80 offset:24
	ds_write_b64 v81, v[32:33] offset:1608
	s_waitcnt lgkmcnt(0)
	s_barrier
	ds_read2_b64 v[66:69], v79 offset1:1
	ds_read2_b64 v[70:73], v79 offset0:2 offset1:3
	s_waitcnt lgkmcnt(0)
	s_barrier
	global_load_dwordx2 v[30:31], v[2:3], off
	v_lshl_add_u64 v[0:1], v[8:9], 0, s[42:43]
	global_load_dwordx2 v[32:33], v[0:1], off
	v_lshl_add_u64 v[0:1], v[8:9], 0, s[16:17]
	;; [unrolled: 2-line block ×3, first 2 shown]
	global_load_dwordx2 v[36:37], v[0:1], off
	ds_read_b64 v[0:1], v76
	ds_read_b64 v[38:39], v80 offset:128
	v_lshl_add_u64 v[2:3], v[8:9], 0, s[40:41]
	v_pk_add_f32 v[66:67], v[66:67], 0 op_sel_hi:[1,0]
	s_waitcnt vmcnt(3) lgkmcnt(1)
	v_mul_f32_e32 v40, v31, v1
	v_mul_f32_e32 v41, v31, v0
	s_waitcnt vmcnt(2)
	v_mul_f32_e32 v42, v33, v1
	v_mul_f32_e32 v43, v33, v0
	v_fmac_f32_e32 v40, v30, v0
	v_fma_f32 v41, v30, v1, -v41
	s_waitcnt vmcnt(1)
	v_mul_f32_e32 v44, v35, v1
	v_mul_f32_e32 v45, v35, v0
	v_fmac_f32_e32 v42, v32, v0
	v_fma_f32 v43, v32, v1, -v43
	ds_write_b64 v81, v[40:41]
	s_waitcnt vmcnt(0)
	v_mul_f32_e32 v46, v37, v1
	v_mul_f32_e32 v47, v37, v0
	v_fmac_f32_e32 v44, v34, v0
	v_fma_f32 v45, v34, v1, -v45
	ds_read_b64 v[50:51], v80 offset:136
	ds_write_b64 v81, v[42:43] offset:536
	v_fmac_f32_e32 v46, v36, v0
	v_fma_f32 v47, v36, v1, -v47
	ds_read_b64 v[42:43], v80 offset:144
	ds_write_b64 v81, v[44:45] offset:1072
	v_lshl_add_u64 v[0:1], v[8:9], 0, s[38:39]
	ds_read_b64 v[40:41], v80 offset:152
	ds_write_b64 v81, v[46:47] offset:1608
	s_waitcnt lgkmcnt(0)
	s_barrier
	ds_read2_b64 v[84:87], v79 offset1:1
	ds_read2_b64 v[88:91], v79 offset0:2 offset1:3
	s_waitcnt lgkmcnt(0)
	s_barrier
	global_load_dwordx2 v[44:45], v[2:3], off
	global_load_dwordx2 v[52:53], v[0:1], off
	v_lshl_add_u64 v[0:1], v[8:9], 0, s[24:25]
	global_load_dwordx2 v[48:49], v[0:1], off
	v_lshl_add_u64 v[0:1], v[8:9], 0, s[26:27]
	global_load_dwordx2 v[46:47], v[0:1], off
	ds_read_b64 v[0:1], v76
	ds_read_b64 v[54:55], v80 offset:256
	v_pk_add_f32 v[66:67], v[66:67], v[68:69]
	s_waitcnt vmcnt(3) lgkmcnt(1)
	v_mul_f32_e32 v2, v45, v1
	v_mul_f32_e32 v3, v45, v0
	s_waitcnt vmcnt(2)
	v_mul_f32_e32 v60, v53, v1
	v_mul_f32_e32 v56, v53, v0
	s_waitcnt vmcnt(1)
	v_mul_f32_e32 v62, v49, v1
	v_mul_f32_e32 v57, v49, v0
	v_fmac_f32_e32 v2, v44, v0
	v_fma_f32 v3, v44, v1, -v3
	s_waitcnt vmcnt(0)
	v_mul_f32_e32 v64, v47, v1
	v_mul_f32_e32 v65, v47, v0
	v_fmac_f32_e32 v60, v52, v0
	v_fma_f32 v61, v52, v1, -v56
	v_fmac_f32_e32 v62, v48, v0
	v_fma_f32 v63, v48, v1, -v57
	ds_write_b64 v81, v[2:3]
	v_fmac_f32_e32 v64, v46, v0
	v_fma_f32 v65, v46, v1, -v65
	ds_read2_b64 v[0:3], v80 offset0:33 offset1:34
	ds_read_b64 v[56:57], v80 offset:280
	ds_write2_b64 v81, v[60:61], v[62:63] offset0:67 offset1:134
	ds_write_b64 v81, v[64:65] offset:1608
	s_waitcnt lgkmcnt(0)
	s_barrier
	ds_read2_b64 v[92:95], v79 offset1:1
	ds_read2_b64 v[96:99], v79 offset0:2 offset1:3
	s_waitcnt lgkmcnt(0)
	s_barrier
	global_load_dwordx2 v[60:61], v[58:59], off
	v_lshl_add_u64 v[58:59], v[8:9], 0, s[34:35]
	global_load_dwordx2 v[64:65], v[58:59], off
	v_lshl_add_u64 v[58:59], v[8:9], 0, s[28:29]
	global_load_dwordx2 v[62:63], v[58:59], off
	v_lshl_add_u64 v[58:59], v[8:9], 0, s[30:31]
	global_load_dwordx2 v[58:59], v[58:59], off
	v_pk_add_f32 v[66:67], v[66:67], v[70:71]
	v_pk_add_f32 v[70:71], v[92:93], 0 op_sel_hi:[1,0]
	v_pk_add_f32 v[100:101], v[66:67], v[72:73]
	v_pk_add_f32 v[66:67], v[84:85], 0 op_sel_hi:[1,0]
	v_pk_add_f32 v[70:71], v[70:71], v[94:95]
	v_pk_add_f32 v[66:67], v[66:67], v[86:87]
	;; [unrolled: 1-line block ×6, first 2 shown]
	ds_read_b64 v[68:69], v76
	ds_read_b64 v[66:67], v80 offset:384
	s_waitcnt vmcnt(3) lgkmcnt(1)
	v_mul_f32_e32 v70, v61, v69
	v_mul_f32_e32 v71, v61, v68
	s_waitcnt vmcnt(2)
	v_mul_f32_e32 v72, v65, v68
	v_mul_f32_e32 v84, v65, v69
	v_fma_f32 v71, v60, v69, -v71
	v_fmac_f32_e32 v70, v60, v68
	s_waitcnt vmcnt(1)
	v_mul_f32_e32 v73, v63, v68
	v_mul_f32_e32 v86, v63, v69
	v_fma_f32 v85, v64, v69, -v72
	v_fmac_f32_e32 v84, v64, v68
	ds_write_b64 v81, v[70:71]
	s_waitcnt vmcnt(0)
	v_mul_f32_e32 v83, v59, v68
	v_mul_f32_e32 v88, v59, v69
	v_fma_f32 v87, v62, v69, -v73
	v_fmac_f32_e32 v86, v62, v68
	ds_read_b64 v[72:73], v80 offset:392
	ds_write_b64 v81, v[84:85] offset:536
	v_fma_f32 v89, v58, v69, -v83
	v_fmac_f32_e32 v88, v58, v68
	ds_read_b64 v[70:71], v80 offset:400
	ds_write_b64 v81, v[86:87] offset:1072
	ds_read_b64 v[68:69], v80 offset:408
	ds_write_b64 v81, v[88:89] offset:1608
	s_waitcnt lgkmcnt(0)
	s_barrier
	ds_read2_b64 v[84:87], v79 offset1:1
	ds_read2_b64 v[88:91], v79 offset0:2 offset1:3
	s_waitcnt lgkmcnt(0)
	s_barrier
	v_pk_add_f32 v[84:85], v[84:85], 0 op_sel_hi:[1,0]
	ds_write2_b64 v82, v[100:101], v[102:103] offset1:16
	v_pk_add_f32 v[84:85], v[84:85], v[86:87]
	s_nop 0
	v_pk_add_f32 v[84:85], v[84:85], v[88:89]
	s_nop 0
	v_pk_add_f32 v[84:85], v[84:85], v[90:91]
	ds_write2_b64 v82, v[92:93], v[84:85] offset0:32 offset1:48
	s_waitcnt lgkmcnt(0)
	s_barrier
	s_and_saveexec_b64 s[46:47], s[0:1]
	s_cbranch_execz .LBB14_122
; %bb.126:                              ;   in Loop: Header=BB14_123 Depth=1
	ds_read_b64 v[92:93], v77
	ds_read2_b64 v[84:87], v77 offset0:1 offset1:2
	ds_read2_b64 v[88:91], v77 offset0:3 offset1:4
	v_lshl_add_u64 v[96:97], v[6:7], 3, s[6:7]
	s_waitcnt lgkmcnt(1)
	v_add_f32_e32 v83, v84, v92
	v_add_f32_e32 v84, v85, v93
	;; [unrolled: 1-line block ×4, first 2 shown]
	ds_read2_b64 v[84:87], v77 offset0:5 offset1:6
	s_waitcnt lgkmcnt(1)
	v_add_f32_e32 v83, v83, v88
	v_add_f32_e32 v88, v92, v89
	;; [unrolled: 1-line block ×4, first 2 shown]
	ds_read2_b64 v[88:91], v77 offset0:7 offset1:8
	s_waitcnt lgkmcnt(1)
	v_pk_add_f32 v[84:85], v[92:93], v[84:85]
	ds_read2_b64 v[92:95], v77 offset0:9 offset1:10
	v_pk_add_f32 v[84:85], v[84:85], v[86:87]
	s_waitcnt lgkmcnt(1)
	v_pk_add_f32 v[84:85], v[84:85], v[88:89]
	s_nop 0
	v_pk_add_f32 v[88:89], v[84:85], v[90:91]
	ds_read2_b64 v[84:87], v77 offset0:11 offset1:12
	s_waitcnt lgkmcnt(1)
	v_pk_add_f32 v[92:93], v[88:89], v[92:93]
	ds_read2_b64 v[88:91], v77 offset0:13 offset1:14
	v_pk_add_f32 v[92:93], v[92:93], v[94:95]
	ds_read_b64 v[94:95], v78
	s_waitcnt lgkmcnt(2)
	v_pk_add_f32 v[84:85], v[92:93], v[84:85]
	s_nop 0
	v_pk_add_f32 v[84:85], v[84:85], v[86:87]
	s_waitcnt lgkmcnt(1)
	v_pk_add_f32 v[84:85], v[84:85], v[88:89]
	s_nop 0
	v_pk_add_f32 v[84:85], v[84:85], v[90:91]
	s_waitcnt lgkmcnt(0)
	v_pk_add_f32 v[84:85], v[84:85], v[94:95]
	global_store_dwordx2 v[96:97], v[84:85], off
	s_branch .LBB14_122
.LBB14_127:
	s_movk_i32 s0, 0x218
	v_mad_u32_u24 v0, v17, s0, v74
	s_or_b64 s[0:1], s[4:5], vcc
	s_xor_b64 s[0:1], s[0:1], -1
	ds_write_b64 v0, v[18:19]
	s_waitcnt lgkmcnt(0)
	s_barrier
	s_and_saveexec_b64 s[2:3], s[0:1]
	s_cbranch_execz .LBB14_129
; %bb.128:
	ds_read2_b64 v[0:3], v74 offset1:67
	ds_read2_b64 v[4:7], v74 offset0:134 offset1:201
	v_ashrrev_i32_e32 v17, 31, v16
	v_lshl_add_u64 v[8:9], v[16:17], 3, s[6:7]
	s_waitcnt lgkmcnt(1)
	v_pk_add_f32 v[0:1], v[2:3], v[0:1]
	s_waitcnt lgkmcnt(0)
	v_pk_add_f32 v[0:1], v[0:1], v[4:5]
	s_nop 0
	v_pk_add_f32 v[0:1], v[0:1], v[6:7]
	global_store_dwordx2 v[8:9], v[0:1], off
.LBB14_129:
	s_endpgm
	.section	.rodata,"a",@progbits
	.p2align	6, 0x0
	.amdhsa_kernel _ZL26rocblas_hemvn_kernel_lowerILb1ELi64ELi4ELi33ELi32ELi16Ei19rocblas_complex_numIfEPKS1_PS1_EviT6_lT7_lT5_lS6_lS7_lS5_lT8_i
		.amdhsa_group_segment_fixed_size 9600
		.amdhsa_private_segment_fixed_size 0
		.amdhsa_kernarg_size 376
		.amdhsa_user_sgpr_count 2
		.amdhsa_user_sgpr_dispatch_ptr 0
		.amdhsa_user_sgpr_queue_ptr 0
		.amdhsa_user_sgpr_kernarg_segment_ptr 1
		.amdhsa_user_sgpr_dispatch_id 0
		.amdhsa_user_sgpr_kernarg_preload_length 0
		.amdhsa_user_sgpr_kernarg_preload_offset 0
		.amdhsa_user_sgpr_private_segment_size 0
		.amdhsa_uses_dynamic_stack 0
		.amdhsa_enable_private_segment 0
		.amdhsa_system_sgpr_workgroup_id_x 1
		.amdhsa_system_sgpr_workgroup_id_y 0
		.amdhsa_system_sgpr_workgroup_id_z 1
		.amdhsa_system_sgpr_workgroup_info 0
		.amdhsa_system_vgpr_workitem_id 1
		.amdhsa_next_free_vgpr 104
		.amdhsa_next_free_sgpr 48
		.amdhsa_accum_offset 104
		.amdhsa_reserve_vcc 1
		.amdhsa_float_round_mode_32 0
		.amdhsa_float_round_mode_16_64 0
		.amdhsa_float_denorm_mode_32 3
		.amdhsa_float_denorm_mode_16_64 3
		.amdhsa_dx10_clamp 1
		.amdhsa_ieee_mode 1
		.amdhsa_fp16_overflow 0
		.amdhsa_tg_split 0
		.amdhsa_exception_fp_ieee_invalid_op 0
		.amdhsa_exception_fp_denorm_src 0
		.amdhsa_exception_fp_ieee_div_zero 0
		.amdhsa_exception_fp_ieee_overflow 0
		.amdhsa_exception_fp_ieee_underflow 0
		.amdhsa_exception_fp_ieee_inexact 0
		.amdhsa_exception_int_div_zero 0
	.end_amdhsa_kernel
	.section	.text._ZL26rocblas_hemvn_kernel_lowerILb1ELi64ELi4ELi33ELi32ELi16Ei19rocblas_complex_numIfEPKS1_PS1_EviT6_lT7_lT5_lS6_lS7_lS5_lT8_i,"axG",@progbits,_ZL26rocblas_hemvn_kernel_lowerILb1ELi64ELi4ELi33ELi32ELi16Ei19rocblas_complex_numIfEPKS1_PS1_EviT6_lT7_lT5_lS6_lS7_lS5_lT8_i,comdat
.Lfunc_end14:
	.size	_ZL26rocblas_hemvn_kernel_lowerILb1ELi64ELi4ELi33ELi32ELi16Ei19rocblas_complex_numIfEPKS1_PS1_EviT6_lT7_lT5_lS6_lS7_lS5_lT8_i, .Lfunc_end14-_ZL26rocblas_hemvn_kernel_lowerILb1ELi64ELi4ELi33ELi32ELi16Ei19rocblas_complex_numIfEPKS1_PS1_EviT6_lT7_lT5_lS6_lS7_lS5_lT8_i
                                        ; -- End function
	.section	.AMDGPU.csdata,"",@progbits
; Kernel info:
; codeLenInByte = 7904
; NumSgprs: 54
; NumVgprs: 104
; NumAgprs: 0
; TotalNumVgprs: 104
; ScratchSize: 0
; MemoryBound: 1
; FloatMode: 240
; IeeeMode: 1
; LDSByteSize: 9600 bytes/workgroup (compile time only)
; SGPRBlocks: 6
; VGPRBlocks: 12
; NumSGPRsForWavesPerEU: 54
; NumVGPRsForWavesPerEU: 104
; AccumOffset: 104
; Occupancy: 4
; WaveLimiterHint : 1
; COMPUTE_PGM_RSRC2:SCRATCH_EN: 0
; COMPUTE_PGM_RSRC2:USER_SGPR: 2
; COMPUTE_PGM_RSRC2:TRAP_HANDLER: 0
; COMPUTE_PGM_RSRC2:TGID_X_EN: 1
; COMPUTE_PGM_RSRC2:TGID_Y_EN: 0
; COMPUTE_PGM_RSRC2:TGID_Z_EN: 1
; COMPUTE_PGM_RSRC2:TIDIG_COMP_CNT: 1
; COMPUTE_PGM_RSRC3_GFX90A:ACCUM_OFFSET: 25
; COMPUTE_PGM_RSRC3_GFX90A:TG_SPLIT: 0
	.section	.text._ZL36rocblas_hemvn_kernel_lower_block_sumILi64Ei19rocblas_complex_numIfEPS1_S1_EviT1_lS3_lT2_lT0_lPT3_i,"axG",@progbits,_ZL36rocblas_hemvn_kernel_lower_block_sumILi64Ei19rocblas_complex_numIfEPS1_S1_EviT1_lS3_lT2_lT0_lPT3_i,comdat
	.globl	_ZL36rocblas_hemvn_kernel_lower_block_sumILi64Ei19rocblas_complex_numIfEPS1_S1_EviT1_lS3_lT2_lT0_lPT3_i ; -- Begin function _ZL36rocblas_hemvn_kernel_lower_block_sumILi64Ei19rocblas_complex_numIfEPS1_S1_EviT1_lS3_lT2_lT0_lPT3_i
	.p2align	8
	.type	_ZL36rocblas_hemvn_kernel_lower_block_sumILi64Ei19rocblas_complex_numIfEPS1_S1_EviT1_lS3_lT2_lT0_lPT3_i,@function
_ZL36rocblas_hemvn_kernel_lower_block_sumILi64Ei19rocblas_complex_numIfEPS1_S1_EviT1_lS3_lT2_lT0_lPT3_i: ; @_ZL36rocblas_hemvn_kernel_lower_block_sumILi64Ei19rocblas_complex_numIfEPS1_S1_EviT1_lS3_lT2_lT0_lPT3_i
; %bb.0:
	s_load_dwordx4 s[8:11], s[0:1], 0x0
	s_load_dwordx2 s[6:7], s[0:1], 0x18
	s_waitcnt lgkmcnt(0)
	s_or_b32 s4, s9, s10
	s_bitset0_b32 s4, 31
	s_mov_b32 s13, s10
	s_cmp_eq_u32 s4, 0
	v_cmp_eq_f32_e64 s[10:11], s6, 1.0
	v_cmp_eq_f32_e64 s[14:15], s7, 0
	s_cselect_b64 s[4:5], -1, 0
	s_and_b64 s[10:11], s[10:11], s[14:15]
	s_and_b64 s[10:11], s[4:5], s[10:11]
	s_and_b64 vcc, exec, s[10:11]
	s_cbranch_vccnz .LBB15_17
; %bb.1:
	s_load_dwordx2 s[10:11], s[0:1], 0x40
	s_load_dwordx4 s[20:23], s[0:1], 0x28
	s_load_dword s16, s[0:1], 0x38
	s_mov_b32 s12, s9
	v_lshl_or_b32 v4, s2, 6, v0
	s_waitcnt lgkmcnt(0)
	s_mul_i32 s9, s3, s11
	s_mul_hi_u32 s11, s3, s10
	s_mul_i32 s10, s3, s10
	s_add_i32 s11, s11, s9
	s_lshl_b64 s[10:11], s[10:11], 3
	s_add_u32 s9, s20, s10
	s_addc_u32 s14, s21, s11
	s_lshl_b64 s[10:11], s[22:23], 3
	s_add_u32 s10, s9, s10
	s_addc_u32 s11, s14, s11
	s_mov_b64 s[14:15], -1
	s_andn2_b64 vcc, exec, s[4:5]
	v_cmp_gt_i32_e64 s[4:5], s8, v4
	s_cbranch_vccnz .LBB15_7
; %bb.2:
	s_and_saveexec_b64 s[14:15], s[4:5]
	s_cbranch_execz .LBB15_6
; %bb.3:
	v_cmp_neq_f32_e64 s[4:5], s6, 0
	v_cmp_neq_f32_e64 s[18:19], s7, 0
	v_mul_lo_u32 v0, v4, s16
	v_ashrrev_i32_e32 v1, 31, v0
	s_or_b64 s[4:5], s[4:5], s[18:19]
	s_andn2_b64 vcc, exec, s[4:5]
	v_mov_b32_e32 v2, 0
	v_lshl_add_u64 v[0:1], v[0:1], 3, s[10:11]
	v_mov_b32_e32 v3, 0
	s_cbranch_vccnz .LBB15_5
; %bb.4:
	global_load_dwordx2 v[6:7], v[0:1], off
	s_waitcnt vmcnt(0)
	v_pk_mul_f32 v[8:9], v[6:7], s[6:7] op_sel:[1,0]
	s_nop 0
	v_pk_fma_f32 v[2:3], v[6:7], s[6:7], v[8:9] op_sel:[0,0,1] op_sel_hi:[1,1,0] neg_lo:[0,0,1] neg_hi:[0,0,1]
	v_pk_fma_f32 v[6:7], v[6:7], s[6:7], v[8:9] op_sel:[0,0,1] op_sel_hi:[0,1,0]
	v_mov_b32_e32 v3, v7
.LBB15_5:
	global_store_dwordx2 v[0:1], v[2:3], off
.LBB15_6:
	s_or_b64 exec, exec, s[14:15]
	s_mov_b64 s[14:15], 0
.LBB15_7:
	s_andn2_b64 vcc, exec, s[14:15]
	s_cbranch_vccnz .LBB15_17
; %bb.8:
	v_cmp_gt_i32_e32 vcc, s8, v4
	s_and_saveexec_b64 s[4:5], vcc
	s_cbranch_execz .LBB15_17
; %bb.9:
	s_load_dword s4, s[0:1], 0x58
	v_mov_b32_e32 v1, 0
	v_mov_b32_e32 v0, v1
	s_waitcnt lgkmcnt(0)
	s_cmp_ge_i32 s2, s4
	s_cbranch_scc1 .LBB15_12
; %bb.10:
	s_ashr_i32 s9, s8, 31
	s_mul_i32 s5, s2, s8
	s_load_dwordx2 s[0:1], s[0:1], 0x48
	v_add_u32_e32 v0, s5, v4
	s_mul_hi_u32 s5, s8, s3
	s_mul_i32 s14, s9, s3
	s_add_i32 s5, s5, s14
	s_mul_i32 s3, s8, s3
	s_mul_i32 s5, s5, s4
	s_mul_hi_u32 s14, s3, s4
	s_add_i32 s15, s14, s5
	s_mul_i32 s14, s3, s4
	s_lshl_b64 s[14:15], s[14:15], 3
	s_waitcnt lgkmcnt(0)
	s_add_u32 s0, s0, s14
	v_ashrrev_i32_e32 v1, 31, v0
	s_addc_u32 s1, s1, s15
	v_lshl_add_u64 v[2:3], v[0:1], 3, s[0:1]
	v_mov_b32_e32 v0, 0
	s_lshl_b64 s[0:1], s[8:9], 3
	v_mov_b32_e32 v1, v0
.LBB15_11:                              ; =>This Inner Loop Header: Depth=1
	global_load_dwordx2 v[6:7], v[2:3], off
	s_add_i32 s2, s2, 1
	v_lshl_add_u64 v[2:3], v[2:3], 0, s[0:1]
	s_cmp_ge_i32 s2, s4
	s_waitcnt vmcnt(0)
	v_pk_add_f32 v[0:1], v[0:1], v[6:7]
	s_cbranch_scc0 .LBB15_11
.LBB15_12:
	v_cmp_neq_f32_e64 s[0:1], s6, 0
	v_cmp_neq_f32_e64 s[2:3], s7, 0
	s_or_b64 s[0:1], s[0:1], s[2:3]
	v_pk_mul_f32 v[6:7], v[0:1], s[12:13] op_sel:[1,0]
	v_mul_lo_u32 v4, v4, s16
	s_andn2_b64 vcc, exec, s[0:1]
	v_pk_fma_f32 v[2:3], v[0:1], s[12:13], v[6:7] op_sel:[0,0,1] op_sel_hi:[0,1,0]
	v_ashrrev_i32_e32 v5, 31, v4
	s_cbranch_vccz .LBB15_14
; %bb.13:
	v_pk_mul_f32 v[8:9], v[0:1], s[12:13] op_sel_hi:[0,1]
	v_sub_f32_e32 v2, v8, v7
	s_cbranch_execz .LBB15_15
	s_branch .LBB15_16
.LBB15_14:
.LBB15_15:
	v_lshl_add_u64 v[8:9], v[4:5], 3, s[10:11]
	global_load_dwordx2 v[8:9], v[8:9], off
	v_pk_fma_f32 v[0:1], v[0:1], s[12:13], v[6:7] op_sel:[0,0,1] op_sel_hi:[1,1,0] neg_lo:[0,0,1] neg_hi:[0,0,1]
	s_waitcnt vmcnt(0)
	v_pk_mul_f32 v[6:7], v[8:9], s[6:7] op_sel:[1,0]
	s_nop 0
	v_pk_fma_f32 v[10:11], v[8:9], s[6:7], v[6:7] op_sel:[0,0,1] op_sel_hi:[1,1,0] neg_lo:[0,0,1] neg_hi:[0,0,1]
	v_pk_fma_f32 v[6:7], v[8:9], s[6:7], v[6:7] op_sel:[0,0,1] op_sel_hi:[0,1,0]
	v_mov_b32_e32 v11, v7
	v_mov_b32_e32 v1, v3
	v_pk_add_f32 v[2:3], v[0:1], v[10:11]
.LBB15_16:
	v_lshl_add_u64 v[0:1], v[4:5], 3, s[10:11]
	global_store_dwordx2 v[0:1], v[2:3], off
.LBB15_17:
	s_endpgm
	.section	.rodata,"a",@progbits
	.p2align	6, 0x0
	.amdhsa_kernel _ZL36rocblas_hemvn_kernel_lower_block_sumILi64Ei19rocblas_complex_numIfEPS1_S1_EviT1_lS3_lT2_lT0_lPT3_i
		.amdhsa_group_segment_fixed_size 0
		.amdhsa_private_segment_fixed_size 0
		.amdhsa_kernarg_size 344
		.amdhsa_user_sgpr_count 2
		.amdhsa_user_sgpr_dispatch_ptr 0
		.amdhsa_user_sgpr_queue_ptr 0
		.amdhsa_user_sgpr_kernarg_segment_ptr 1
		.amdhsa_user_sgpr_dispatch_id 0
		.amdhsa_user_sgpr_kernarg_preload_length 0
		.amdhsa_user_sgpr_kernarg_preload_offset 0
		.amdhsa_user_sgpr_private_segment_size 0
		.amdhsa_uses_dynamic_stack 0
		.amdhsa_enable_private_segment 0
		.amdhsa_system_sgpr_workgroup_id_x 1
		.amdhsa_system_sgpr_workgroup_id_y 0
		.amdhsa_system_sgpr_workgroup_id_z 1
		.amdhsa_system_sgpr_workgroup_info 0
		.amdhsa_system_vgpr_workitem_id 0
		.amdhsa_next_free_vgpr 12
		.amdhsa_next_free_sgpr 24
		.amdhsa_accum_offset 12
		.amdhsa_reserve_vcc 1
		.amdhsa_float_round_mode_32 0
		.amdhsa_float_round_mode_16_64 0
		.amdhsa_float_denorm_mode_32 3
		.amdhsa_float_denorm_mode_16_64 3
		.amdhsa_dx10_clamp 1
		.amdhsa_ieee_mode 1
		.amdhsa_fp16_overflow 0
		.amdhsa_tg_split 0
		.amdhsa_exception_fp_ieee_invalid_op 0
		.amdhsa_exception_fp_denorm_src 0
		.amdhsa_exception_fp_ieee_div_zero 0
		.amdhsa_exception_fp_ieee_overflow 0
		.amdhsa_exception_fp_ieee_underflow 0
		.amdhsa_exception_fp_ieee_inexact 0
		.amdhsa_exception_int_div_zero 0
	.end_amdhsa_kernel
	.section	.text._ZL36rocblas_hemvn_kernel_lower_block_sumILi64Ei19rocblas_complex_numIfEPS1_S1_EviT1_lS3_lT2_lT0_lPT3_i,"axG",@progbits,_ZL36rocblas_hemvn_kernel_lower_block_sumILi64Ei19rocblas_complex_numIfEPS1_S1_EviT1_lS3_lT2_lT0_lPT3_i,comdat
.Lfunc_end15:
	.size	_ZL36rocblas_hemvn_kernel_lower_block_sumILi64Ei19rocblas_complex_numIfEPS1_S1_EviT1_lS3_lT2_lT0_lPT3_i, .Lfunc_end15-_ZL36rocblas_hemvn_kernel_lower_block_sumILi64Ei19rocblas_complex_numIfEPS1_S1_EviT1_lS3_lT2_lT0_lPT3_i
                                        ; -- End function
	.section	.AMDGPU.csdata,"",@progbits
; Kernel info:
; codeLenInByte = 644
; NumSgprs: 30
; NumVgprs: 12
; NumAgprs: 0
; TotalNumVgprs: 12
; ScratchSize: 0
; MemoryBound: 0
; FloatMode: 240
; IeeeMode: 1
; LDSByteSize: 0 bytes/workgroup (compile time only)
; SGPRBlocks: 3
; VGPRBlocks: 1
; NumSGPRsForWavesPerEU: 30
; NumVGPRsForWavesPerEU: 12
; AccumOffset: 12
; Occupancy: 8
; WaveLimiterHint : 0
; COMPUTE_PGM_RSRC2:SCRATCH_EN: 0
; COMPUTE_PGM_RSRC2:USER_SGPR: 2
; COMPUTE_PGM_RSRC2:TRAP_HANDLER: 0
; COMPUTE_PGM_RSRC2:TGID_X_EN: 1
; COMPUTE_PGM_RSRC2:TGID_Y_EN: 0
; COMPUTE_PGM_RSRC2:TGID_Z_EN: 1
; COMPUTE_PGM_RSRC2:TIDIG_COMP_CNT: 0
; COMPUTE_PGM_RSRC3_GFX90A:ACCUM_OFFSET: 2
; COMPUTE_PGM_RSRC3_GFX90A:TG_SPLIT: 0
	.section	.text._ZL26rocblas_hemvn_kernel_upperILb1ELi64ELi4ELi33ELi32ELi16ElPK19rocblas_complex_numIdES3_PS1_EviT6_lT7_lT5_lS6_lS7_lS5_lT8_i,"axG",@progbits,_ZL26rocblas_hemvn_kernel_upperILb1ELi64ELi4ELi33ELi32ELi16ElPK19rocblas_complex_numIdES3_PS1_EviT6_lT7_lT5_lS6_lS7_lS5_lT8_i,comdat
	.globl	_ZL26rocblas_hemvn_kernel_upperILb1ELi64ELi4ELi33ELi32ELi16ElPK19rocblas_complex_numIdES3_PS1_EviT6_lT7_lT5_lS6_lS7_lS5_lT8_i ; -- Begin function _ZL26rocblas_hemvn_kernel_upperILb1ELi64ELi4ELi33ELi32ELi16ElPK19rocblas_complex_numIdES3_PS1_EviT6_lT7_lT5_lS6_lS7_lS5_lT8_i
	.p2align	8
	.type	_ZL26rocblas_hemvn_kernel_upperILb1ELi64ELi4ELi33ELi32ELi16ElPK19rocblas_complex_numIdES3_PS1_EviT6_lT7_lT5_lS6_lS7_lS5_lT8_i,@function
_ZL26rocblas_hemvn_kernel_upperILb1ELi64ELi4ELi33ELi32ELi16ElPK19rocblas_complex_numIdES3_PS1_EviT6_lT7_lT5_lS6_lS7_lS5_lT8_i: ; @_ZL26rocblas_hemvn_kernel_upperILb1ELi64ELi4ELi33ELi32ELi16ElPK19rocblas_complex_numIdES3_PS1_EviT6_lT7_lT5_lS6_lS7_lS5_lT8_i
; %bb.0:
	s_load_dwordx2 s[6:7], s[0:1], 0x84
	s_add_u32 s4, s0, 0x78
	s_addc_u32 s5, s1, 0
	s_waitcnt lgkmcnt(0)
	s_lshr_b32 s8, s6, 16
	s_and_b32 s6, s6, 0xffff
	s_and_b32 s7, s7, 0xffff
	s_mul_i32 s6, s8, s6
	s_mul_i32 s6, s6, s7
	s_cmpk_lg_i32 s6, 0x100
	s_cbranch_scc1 .LBB16_186
; %bb.1:
	s_load_dwordx16 s[8:23], s[0:1], 0x8
	s_waitcnt lgkmcnt(0)
	s_mul_i32 s7, s3, s11
	s_mul_hi_u32 s11, s3, s10
	s_mul_i32 s6, s3, s10
	s_add_i32 s7, s11, s7
	s_lshl_b64 s[6:7], s[6:7], 4
	s_add_u32 s6, s8, s6
	s_addc_u32 s7, s9, s7
	s_load_dwordx4 s[8:11], s[6:7], 0x0
	s_load_dwordx2 s[34:35], s[0:1], 0x68
	s_load_dwordx8 s[24:31], s[0:1], 0x48
	s_waitcnt lgkmcnt(0)
	v_cmp_neq_f64_e64 s[6:7], s[8:9], 0
	v_cmp_neq_f64_e64 s[8:9], s[10:11], 0
	s_or_b64 s[6:7], s[6:7], s[8:9]
	s_mov_b64 s[8:9], -1
	s_and_b64 vcc, exec, s[6:7]
	s_cbranch_vccnz .LBB16_3
; %bb.2:
	s_mul_i32 s8, s3, s31
	s_mul_hi_u32 s9, s3, s30
	s_add_i32 s9, s9, s8
	s_mul_i32 s8, s3, s30
	s_lshl_b64 s[8:9], s[8:9], 4
	s_add_u32 s8, s28, s8
	s_addc_u32 s9, s29, s9
	s_load_dwordx4 s[8:11], s[8:9], 0x0
	s_waitcnt lgkmcnt(0)
	v_cmp_neq_f64_e64 s[8:9], s[8:9], 1.0
	v_cmp_neq_f64_e64 s[10:11], s[10:11], 0
	s_or_b64 s[8:9], s[8:9], s[10:11]
.LBB16_3:
	s_andn2_b64 vcc, exec, s[8:9]
	s_cbranch_vccnz .LBB16_186
; %bb.4:
	s_andn2_b64 vcc, exec, s[6:7]
	s_cbranch_vccnz .LBB16_186
; %bb.5:
	s_load_dword s28, s[4:5], 0x0
	s_load_dword s30, s[0:1], 0x0
	s_mul_i32 s0, s3, s27
	s_mul_hi_u32 s1, s3, s26
	s_add_i32 s1, s1, s0
	s_mul_i32 s0, s3, s26
	s_lshl_b64 s[0:1], s[0:1], 4
	s_add_u32 s4, s20, s0
	s_addc_u32 s5, s21, s1
	s_lshl_b64 s[0:1], s[22:23], 4
	s_add_u32 s0, s4, s0
	s_addc_u32 s1, s5, s1
	s_waitcnt lgkmcnt(0)
	s_ashr_i32 s31, s30, 31
	s_lshr_b32 s5, s31, 26
	v_and_b32_e32 v204, 0x3ff, v0
	s_lshl_b32 s22, s2, 6
	s_add_i32 s5, s30, s5
	s_andn2_b32 s5, s5, 63
	v_add_u32_e32 v166, s22, v204
	s_add_i32 s4, s28, -1
	s_sub_i32 s29, s30, s5
	v_ashrrev_i32_e32 v167, 31, v166
	v_bfe_u32 v205, v0, 10, 10
	s_cmp_eq_u32 s2, s4
	v_mul_lo_u32 v2, v167, s24
	v_mul_lo_u32 v3, v166, s25
	v_mad_u64_u32 v[0:1], s[4:5], v166, s24, 0
	v_add3_u32 v1, v1, v3, v2
	s_cselect_b32 s20, s29, 0
	v_lshl_add_u64 v[36:37], v[0:1], 4, s[0:1]
	v_cmp_eq_u32_e64 s[0:1], 0, v205
	s_and_saveexec_b64 s[4:5], s[0:1]
	s_cbranch_execz .LBB16_10
; %bb.6:
	s_cmp_lg_u32 s20, 0
	s_cselect_b64 s[6:7], -1, 0
	v_cmp_le_i32_e32 vcc, s20, v204
	v_mov_b32_e32 v0, 0x4700
	s_and_b64 s[6:7], s[6:7], vcc
	v_lshl_add_u32 v0, v204, 4, v0
	s_and_saveexec_b64 s[8:9], s[6:7]
	s_xor_b64 s[6:7], exec, s[8:9]
	s_cbranch_execz .LBB16_8
; %bb.7:
	v_mov_b32_e32 v2, 0
	v_mov_b32_e32 v3, v2
	;; [unrolled: 1-line block ×4, first 2 shown]
	ds_write_b128 v0, v[2:5]
                                        ; implicit-def: $vgpr0
.LBB16_8:
	s_andn2_saveexec_b64 s[6:7], s[6:7]
	s_cbranch_execz .LBB16_10
; %bb.9:
	global_load_dwordx4 v[2:5], v[36:37], off
	s_waitcnt vmcnt(0)
	ds_write2_b64 v0, v[2:3], v[4:5] offset1:1
.LBB16_10:
	s_or_b64 exec, exec, s[4:5]
	s_mul_i32 s4, s3, s19
	s_mul_hi_u32 s5, s3, s18
	s_add_i32 s5, s5, s4
	s_mul_i32 s4, s3, s18
	s_lshl_b64 s[4:5], s[4:5], 4
	s_add_u32 s6, s12, s4
	s_addc_u32 s7, s13, s5
	s_lshl_b64 s[4:5], s[14:15], 4
	s_add_u32 s6, s6, s4
	s_addc_u32 s7, s7, s5
	s_ashr_i32 s23, s22, 31
	v_lshl_add_u32 v42, v205, 6, v204
	s_lshl_b64 s[4:5], s[22:23], 4
	v_and_b32_e32 v4, 31, v204
	v_lshrrev_b32_e32 v14, 5, v42
	s_add_u32 s6, s6, s4
	v_mov_b32_e32 v5, 0
	s_addc_u32 s7, s7, s5
	v_mad_u64_u32 v[38:39], s[4:5], v14, s16, v[4:5]
	v_mov_b32_e32 v0, v39
	v_mad_u64_u32 v[0:1], s[4:5], v14, s17, v[0:1]
	s_mul_i32 s4, s22, s17
	s_mul_hi_u32 s5, s22, s16
	s_add_i32 s4, s5, s4
	s_mul_i32 s5, s23, s16
	s_add_i32 s5, s4, s5
	s_mul_i32 s4, s22, s16
	s_lshl_b64 s[4:5], s[4:5], 4
	s_add_u32 s4, s4, s6
	s_addc_u32 s5, s5, s7
	s_cmp_eq_u32 s20, 0
	s_cselect_b64 s[18:19], -1, 0
	s_cmp_lg_u32 s20, 0
	v_mov_b32_e32 v39, v0
	s_cselect_b64 s[26:27], -1, 0
	v_lshl_add_u64 v[0:1], v[38:39], 4, s[4:5]
	s_and_b64 vcc, exec, s[26:27]
	v_cmp_gt_i32_e64 s[4:5], s20, v4
	v_lshlrev_b32_e32 v6, 4, v4
	v_mul_u32_u24_e32 v5, 33, v14
	s_mul_i32 s33, s17, 0x180
	s_cbranch_vccz .LBB16_28
; %bb.11:
	v_sub_co_u32_e32 v2, vcc, v0, v6
	s_ashr_i32 s21, s20, 31
	s_nop 0
	v_subbrev_co_u32_e32 v3, vcc, 0, v1, vcc
	v_lshl_add_u64 v[2:3], s[20:21], 4, v[2:3]
	v_lshl_add_u64 v[2:3], v[2:3], 0, -16
	v_cndmask_b32_e64 v3, v3, v1, s[4:5]
	v_cndmask_b32_e64 v2, v2, v0, s[4:5]
	v_cmp_le_i32_e32 vcc, s20, v14
	v_add_lshl_u32 v7, v5, v4, 4
	s_and_saveexec_b64 s[6:7], vcc
	s_xor_b64 s[6:7], exec, s[6:7]
	s_cbranch_execz .LBB16_13
; %bb.12:
	v_mov_b32_e32 v8, 0
	v_mov_b32_e32 v9, v8
	;; [unrolled: 1-line block ×4, first 2 shown]
	ds_write_b128 v7, v[8:11]
.LBB16_13:
	s_andn2_saveexec_b64 s[6:7], s[6:7]
	s_cbranch_execz .LBB16_15
; %bb.14:
	global_load_dwordx4 v[8:11], v[2:3], off
	s_waitcnt vmcnt(0)
	ds_write2_b64 v7, v[8:9], v[10:11] offset1:1
.LBB16_15:
	s_or_b64 exec, exec, s[6:7]
	v_add_u32_e32 v8, 8, v14
	v_cmp_le_i32_e32 vcc, s20, v8
	s_and_saveexec_b64 s[6:7], vcc
	s_xor_b64 s[6:7], exec, s[6:7]
	s_cbranch_execz .LBB16_17
; %bb.16:
	v_mul_u32_u24_e32 v8, 33, v8
	v_add_lshl_u32 v12, v8, v4, 4
	v_mov_b32_e32 v8, 0
	v_mov_b32_e32 v9, v8
	;; [unrolled: 1-line block ×4, first 2 shown]
	ds_write_b128 v12, v[8:11]
.LBB16_17:
	s_andn2_saveexec_b64 s[6:7], s[6:7]
	s_cbranch_execz .LBB16_19
; %bb.18:
	s_lshl_b64 s[8:9], s[16:17], 7
	v_lshl_add_u64 v[8:9], v[2:3], 0, s[8:9]
	global_load_dwordx4 v[8:11], v[8:9], off
	v_add_u32_e32 v12, 0x1080, v7
	s_waitcnt vmcnt(0)
	ds_write2_b64 v12, v[8:9], v[10:11] offset1:1
.LBB16_19:
	s_or_b64 exec, exec, s[6:7]
	v_add_u32_e32 v8, 16, v14
	v_cmp_le_i32_e32 vcc, s20, v8
	s_and_saveexec_b64 s[6:7], vcc
	s_xor_b64 s[6:7], exec, s[6:7]
	s_cbranch_execz .LBB16_21
; %bb.20:
	v_mov_b32_e32 v8, 0
	v_mov_b32_e32 v9, v8
	;; [unrolled: 1-line block ×4, first 2 shown]
	ds_write_b128 v7, v[8:11] offset:8448
.LBB16_21:
	s_andn2_saveexec_b64 s[6:7], s[6:7]
	s_cbranch_execz .LBB16_23
; %bb.22:
	s_lshl_b64 s[8:9], s[16:17], 8
	v_lshl_add_u64 v[8:9], v[2:3], 0, s[8:9]
	global_load_dwordx4 v[8:11], v[8:9], off
	v_add_u32_e32 v12, 0x2100, v7
	s_waitcnt vmcnt(0)
	ds_write2_b64 v12, v[8:9], v[10:11] offset1:1
.LBB16_23:
	s_or_b64 exec, exec, s[6:7]
	v_add_u32_e32 v8, 24, v14
	v_cmp_le_i32_e32 vcc, s20, v8
	s_and_saveexec_b64 s[6:7], vcc
	s_xor_b64 s[6:7], exec, s[6:7]
	s_cbranch_execz .LBB16_25
; %bb.24:
	v_mov_b32_e32 v8, 0
	v_mov_b32_e32 v9, v8
	v_mov_b32_e32 v10, v8
	v_mov_b32_e32 v11, v8
	ds_write_b128 v7, v[8:11] offset:12672
                                        ; implicit-def: $vgpr7
.LBB16_25:
	s_andn2_saveexec_b64 s[6:7], s[6:7]
	s_cbranch_execz .LBB16_27
; %bb.26:
	v_mov_b32_e32 v8, 0x180
	v_mad_u64_u32 v[8:9], s[8:9], s16, v8, v[2:3]
	v_add_u32_e32 v9, s33, v9
	global_load_dwordx4 v[8:11], v[8:9], off
	v_add_u32_e32 v7, 0x3180, v7
	s_waitcnt vmcnt(0)
	ds_write2_b64 v7, v[8:9], v[10:11] offset1:1
.LBB16_27:
	s_or_b64 exec, exec, s[6:7]
	v_mov_b32_e32 v7, 0
	v_lshl_add_u64 v[2:3], v[2:3], 0, v[6:7]
	s_lshl_b64 s[6:7], s[20:21], 4
	v_mov_b32_e32 v7, s7
	v_subrev_co_u32_e32 v2, vcc, s6, v2
	s_nop 1
	v_subb_co_u32_e32 v3, vcc, v3, v7, vcc
	v_lshl_add_u64 v[2:3], v[2:3], 0, 16
	v_cndmask_b32_e64 v9, v3, v1, s[4:5]
	v_cndmask_b32_e64 v8, v2, v0, s[4:5]
	s_branch .LBB16_30
.LBB16_28:
                                        ; implicit-def: $vgpr8_vgpr9
	s_cbranch_execz .LBB16_30
; %bb.29:
	s_lshl_b64 s[4:5], s[16:17], 7
	v_lshl_add_u64 v[2:3], v[0:1], 0, s[4:5]
	global_load_dwordx4 v[8:11], v[0:1], off
	global_load_dwordx4 v[16:19], v[2:3], off
	v_lshl_add_u64 v[2:3], v[2:3], 0, s[4:5]
	global_load_dwordx4 v[20:23], v[2:3], off
	v_mov_b32_e32 v2, 0x180
	v_mad_u64_u32 v[2:3], s[4:5], s16, v2, v[0:1]
	v_add_u32_e32 v3, s33, v3
	global_load_dwordx4 v[24:27], v[2:3], off
	v_add_lshl_u32 v2, v5, v4, 4
	v_add_u32_e32 v3, 0x1080, v2
	v_add_u32_e32 v7, 0x2100, v2
	;; [unrolled: 1-line block ×3, first 2 shown]
	s_waitcnt vmcnt(3)
	ds_write2_b64 v2, v[8:9], v[10:11] offset1:1
	s_waitcnt vmcnt(2)
	ds_write2_b64 v3, v[16:17], v[18:19] offset1:1
	;; [unrolled: 2-line block ×4, first 2 shown]
	v_mov_b64_e32 v[8:9], v[0:1]
.LBB16_30:
	v_lshlrev_b32_e32 v19, 2, v14
	v_cmp_le_u32_e64 s[4:5], v19, v4
	s_waitcnt lgkmcnt(0)
	s_barrier
	s_and_saveexec_b64 s[6:7], s[4:5]
	s_xor_b64 s[6:7], exec, s[6:7]
	s_cbranch_execz .LBB16_34
; %bb.31:
	v_cmp_eq_u32_e32 vcc, v19, v4
	s_and_saveexec_b64 s[8:9], vcc
	s_cbranch_execz .LBB16_33
; %bb.32:
	v_mul_u32_u24_e32 v0, 34, v4
	v_lshlrev_b32_e32 v2, 4, v0
	v_mov_b32_e32 v0, 0
	v_mov_b32_e32 v1, v0
	ds_write_b64 v2, v[0:1] offset:8
.LBB16_33:
	s_or_b64 exec, exec, s[8:9]
.LBB16_34:
	s_or_saveexec_b64 s[6:7], s[6:7]
	v_mul_u32_u24_e32 v15, 33, v4
	v_add_lshl_u32 v17, v19, v15, 4
	s_xor_b64 exec, exec, s[6:7]
	s_cbranch_execz .LBB16_36
; %bb.35:
	v_mul_u32_u24_e32 v0, 0x84, v14
	v_add_lshl_u32 v0, v0, v4, 4
	ds_read_b128 v[0:3], v0
	s_waitcnt lgkmcnt(0)
	v_xor_b32_e32 v3, 0x80000000, v3
	ds_write_b128 v17, v[0:3]
.LBB16_36:
	s_or_b64 exec, exec, s[6:7]
	v_or_b32_e32 v18, 1, v19
	v_cmp_ge_u32_e64 s[6:7], v19, v4
	v_mul_u32_u24_e32 v0, 33, v18
	s_and_saveexec_b64 s[8:9], s[6:7]
	s_xor_b64 s[8:9], exec, s[8:9]
	s_cbranch_execz .LBB16_38
; %bb.37:
	v_add_lshl_u32 v1, v0, v4, 4
	ds_read_b128 v[10:13], v1
	s_waitcnt lgkmcnt(0)
	v_xor_b32_e32 v13, 0x80000000, v13
	ds_write_b128 v17, v[10:13] offset:16
.LBB16_38:
	s_andn2_saveexec_b64 s[8:9], s[8:9]
	s_cbranch_execz .LBB16_42
; %bb.39:
	v_cmp_eq_u32_e32 vcc, v18, v4
	s_and_saveexec_b64 s[10:11], vcc
	s_cbranch_execz .LBB16_41
; %bb.40:
	v_mul_u32_u24_e32 v1, 34, v4
	v_mov_b32_e32 v2, 0
	v_lshlrev_b32_e32 v1, 4, v1
	v_mov_b32_e32 v3, v2
	ds_write_b64 v1, v[2:3] offset:8
.LBB16_41:
	s_or_b64 exec, exec, s[10:11]
.LBB16_42:
	s_or_b64 exec, exec, s[8:9]
	v_or_b32_e32 v20, 2, v19
	v_cmp_le_u32_e64 s[8:9], v20, v4
	s_and_saveexec_b64 s[10:11], s[8:9]
	s_xor_b64 s[10:11], exec, s[10:11]
	s_cbranch_execz .LBB16_46
; %bb.43:
	v_cmp_eq_u32_e32 vcc, v20, v4
	s_and_saveexec_b64 s[12:13], vcc
	s_cbranch_execz .LBB16_45
; %bb.44:
	v_mul_u32_u24_e32 v1, 34, v4
	v_mov_b32_e32 v2, 0
	v_lshlrev_b32_e32 v1, 4, v1
	v_mov_b32_e32 v3, v2
	ds_write_b64 v1, v[2:3] offset:8
.LBB16_45:
	s_or_b64 exec, exec, s[12:13]
.LBB16_46:
	s_andn2_saveexec_b64 s[10:11], s[10:11]
	s_cbranch_execz .LBB16_48
; %bb.47:
	v_mul_u32_u24_e32 v1, 33, v20
	v_add_lshl_u32 v1, v1, v4, 4
	ds_read_b128 v[10:13], v1
	s_waitcnt lgkmcnt(0)
	v_xor_b32_e32 v13, 0x80000000, v13
	ds_write_b128 v17, v[10:13] offset:32
.LBB16_48:
	s_or_b64 exec, exec, s[10:11]
	v_or_b32_e32 v21, 3, v19
	v_cmp_le_u32_e64 s[10:11], v21, v4
	s_and_saveexec_b64 s[12:13], s[10:11]
	s_xor_b64 s[12:13], exec, s[12:13]
	s_cbranch_execz .LBB16_52
; %bb.49:
	v_cmp_eq_u32_e32 vcc, v21, v4
	s_and_saveexec_b64 s[14:15], vcc
	s_cbranch_execz .LBB16_51
; %bb.50:
	v_mul_u32_u24_e32 v1, 34, v4
	v_mov_b32_e32 v2, 0
	v_lshlrev_b32_e32 v1, 4, v1
	v_mov_b32_e32 v3, v2
	ds_write_b64 v1, v[2:3] offset:8
.LBB16_51:
	s_or_b64 exec, exec, s[14:15]
.LBB16_52:
	s_andn2_saveexec_b64 s[12:13], s[12:13]
	s_cbranch_execz .LBB16_54
; %bb.53:
	v_mul_u32_u24_e32 v1, 33, v21
	v_add_lshl_u32 v1, v1, v4, 4
	ds_read_b128 v[10:13], v1
	s_waitcnt lgkmcnt(0)
	v_xor_b32_e32 v13, 0x80000000, v13
	ds_write_b128 v17, v[10:13] offset:48
.LBB16_54:
	s_or_b64 exec, exec, s[12:13]
	v_mul_u32_u24_e32 v1, 0x84, v14
	v_lshlrev_b32_e32 v22, 4, v19
	s_waitcnt lgkmcnt(0)
	s_barrier
	v_add_lshl_u32 v16, v1, v4, 4
	ds_read_b128 v[10:13], v22 offset:18176
	ds_read_b128 v[24:27], v22 offset:18192
	ds_read_b128 v[28:31], v16
	ds_read_b128 v[32:35], v22 offset:18208
	ds_read_b128 v[46:49], v22 offset:18224
	v_add_lshl_u32 v45, v0, v4, 4
	ds_read_b128 v[0:3], v45
	s_waitcnt lgkmcnt(3)
	v_mul_f64 v[40:41], v[12:13], v[30:31]
	v_fma_f64 v[40:41], v[10:11], v[28:29], -v[40:41]
	v_mul_f64 v[10:11], v[10:11], v[30:31]
	v_fmac_f64_e32 v[10:11], v[12:13], v[28:29]
	v_add_f64 v[30:31], v[10:11], 0
	s_waitcnt lgkmcnt(0)
	v_mul_f64 v[10:11], v[26:27], v[2:3]
	v_add_f64 v[28:29], v[40:41], 0
	v_fma_f64 v[40:41], v[24:25], v[0:1], -v[10:11]
	v_mul_f64 v[2:3], v[24:25], v[2:3]
	ds_read_b128 v[10:13], v45 offset:528
	v_fmac_f64_e32 v[2:3], v[26:27], v[0:1]
	v_add_f64 v[26:27], v[30:31], v[2:3]
	ds_read_b128 v[0:3], v45 offset:1056
	v_add_f64 v[24:25], v[28:29], v[40:41]
	s_waitcnt lgkmcnt(1)
	v_mul_f64 v[28:29], v[34:35], v[12:13]
	v_fma_f64 v[28:29], v[32:33], v[10:11], -v[28:29]
	v_mul_f64 v[12:13], v[32:33], v[12:13]
	v_fmac_f64_e32 v[12:13], v[34:35], v[10:11]
	v_add_f64 v[10:11], v[24:25], v[28:29]
	s_waitcnt lgkmcnt(0)
	v_mul_f64 v[24:25], v[48:49], v[2:3]
	v_mul_f64 v[2:3], v[46:47], v[2:3]
	v_add_f64 v[12:13], v[26:27], v[12:13]
	v_fma_f64 v[24:25], v[46:47], v[0:1], -v[24:25]
	v_fmac_f64_e32 v[2:3], v[48:49], v[0:1]
	v_add_f64 v[0:1], v[10:11], v[24:25]
	v_add_f64 v[2:3], v[12:13], v[2:3]
	v_add_lshl_u32 v44, v14, v15, 4
	s_barrier
	ds_write_b128 v44, v[0:3]
	v_mov_b64_e32 v[0:1], 0
	v_cmp_gt_u32_e64 s[12:13], 32, v42
	v_lshlrev_b32_e32 v43, 4, v15
	v_mov_b64_e32 v[2:3], v[0:1]
	s_waitcnt lgkmcnt(0)
	s_barrier
	s_and_saveexec_b64 s[14:15], s[12:13]
	s_cbranch_execz .LBB16_56
; %bb.55:
	ds_read_b128 v[0:3], v43
	ds_read_b128 v[10:13], v43 offset:16
	ds_read_b128 v[24:27], v43 offset:32
	;; [unrolled: 1-line block ×3, first 2 shown]
	s_waitcnt lgkmcnt(2)
	v_add_f64 v[0:1], v[10:11], v[0:1]
	v_add_f64 v[10:11], v[12:13], v[2:3]
	s_waitcnt lgkmcnt(1)
	v_add_f64 v[12:13], v[0:1], v[24:25]
	ds_read_b128 v[0:3], v43 offset:64
	v_add_f64 v[10:11], v[10:11], v[26:27]
	s_waitcnt lgkmcnt(1)
	v_add_f64 v[24:25], v[12:13], v[28:29]
	v_add_f64 v[28:29], v[10:11], v[30:31]
	ds_read_b128 v[10:13], v43 offset:80
	s_waitcnt lgkmcnt(1)
	v_add_f64 v[30:31], v[24:25], v[0:1]
	ds_read_b128 v[24:27], v43 offset:96
	v_add_f64 v[28:29], v[28:29], v[2:3]
	ds_read_b128 v[0:3], v43 offset:112
	s_waitcnt lgkmcnt(2)
	v_add_f64 v[10:11], v[30:31], v[10:11]
	v_add_f64 v[12:13], v[28:29], v[12:13]
	s_waitcnt lgkmcnt(1)
	v_add_f64 v[10:11], v[10:11], v[24:25]
	v_add_f64 v[12:13], v[12:13], v[26:27]
	;; [unrolled: 3-line block ×3, first 2 shown]
.LBB16_56:
	s_or_b64 exec, exec, s[14:15]
	s_lshl_b64 s[14:15], s[16:17], 9
	v_lshl_add_u64 v[12:13], v[8:9], 0, s[14:15]
	s_mov_b64 s[14:15], 0x200
	v_lshl_add_u64 v[10:11], v[12:13], 0, s[14:15]
	s_and_b64 vcc, exec, s[26:27]
	s_barrier
	s_cbranch_vccz .LBB16_74
; %bb.57:
	v_sub_co_u32_e32 v8, vcc, v10, v6
	s_ashr_i32 s21, s20, 31
	s_nop 0
	v_subbrev_co_u32_e32 v9, vcc, 0, v11, vcc
	s_movk_i32 s14, 0xfdf0
	v_or_b32_e32 v7, 32, v4
	v_lshl_add_u64 v[8:9], s[20:21], 4, v[8:9]
	s_mov_b32 s15, -1
	v_lshl_add_u64 v[8:9], v[8:9], 0, s[14:15]
	v_cmp_gt_i32_e32 vcc, s20, v7
	s_sub_i32 s36, s20, 32
	v_cmp_le_i32_e64 s[14:15], s36, v14
	v_cndmask_b32_e32 v9, v9, v11, vcc
	v_cndmask_b32_e32 v8, v8, v10, vcc
	v_add_lshl_u32 v7, v5, v4, 4
	s_and_saveexec_b64 s[38:39], s[14:15]
	s_xor_b64 s[14:15], exec, s[38:39]
	s_cbranch_execz .LBB16_59
; %bb.58:
	v_mov_b32_e32 v24, 0
	v_mov_b32_e32 v25, v24
	;; [unrolled: 1-line block ×4, first 2 shown]
	ds_write_b128 v7, v[24:27]
.LBB16_59:
	s_andn2_saveexec_b64 s[14:15], s[14:15]
	s_cbranch_execz .LBB16_61
; %bb.60:
	global_load_dwordx4 v[24:27], v[8:9], off
	s_waitcnt vmcnt(0)
	ds_write2_b64 v7, v[24:25], v[26:27] offset1:1
.LBB16_61:
	s_or_b64 exec, exec, s[14:15]
	v_add_u32_e32 v23, 8, v14
	v_cmp_le_i32_e64 s[14:15], s36, v23
	s_and_saveexec_b64 s[38:39], s[14:15]
	s_xor_b64 s[14:15], exec, s[38:39]
	s_cbranch_execz .LBB16_63
; %bb.62:
	v_mul_u32_u24_e32 v23, 33, v23
	v_mov_b32_e32 v24, 0
	v_add_lshl_u32 v23, v23, v4, 4
	v_mov_b32_e32 v25, v24
	v_mov_b32_e32 v26, v24
	;; [unrolled: 1-line block ×3, first 2 shown]
	ds_write_b128 v23, v[24:27]
.LBB16_63:
	s_andn2_saveexec_b64 s[14:15], s[14:15]
	s_cbranch_execz .LBB16_65
; %bb.64:
	s_lshl_b64 s[38:39], s[16:17], 7
	v_lshl_add_u64 v[24:25], v[8:9], 0, s[38:39]
	global_load_dwordx4 v[24:27], v[24:25], off
	v_add_u32_e32 v23, 0x1080, v7
	s_waitcnt vmcnt(0)
	ds_write2_b64 v23, v[24:25], v[26:27] offset1:1
.LBB16_65:
	s_or_b64 exec, exec, s[14:15]
	v_add_u32_e32 v23, 16, v14
	v_cmp_le_i32_e64 s[14:15], s36, v23
	s_and_saveexec_b64 s[38:39], s[14:15]
	s_xor_b64 s[14:15], exec, s[38:39]
	s_cbranch_execz .LBB16_67
; %bb.66:
	v_mov_b32_e32 v24, 0
	v_mov_b32_e32 v25, v24
	;; [unrolled: 1-line block ×4, first 2 shown]
	ds_write_b128 v7, v[24:27] offset:8448
.LBB16_67:
	s_andn2_saveexec_b64 s[14:15], s[14:15]
	s_cbranch_execz .LBB16_69
; %bb.68:
	s_lshl_b64 s[38:39], s[16:17], 8
	v_lshl_add_u64 v[24:25], v[8:9], 0, s[38:39]
	global_load_dwordx4 v[24:27], v[24:25], off
	v_add_u32_e32 v23, 0x2100, v7
	s_waitcnt vmcnt(0)
	ds_write2_b64 v23, v[24:25], v[26:27] offset1:1
.LBB16_69:
	s_or_b64 exec, exec, s[14:15]
	v_add_u32_e32 v23, 24, v14
	v_cmp_le_i32_e64 s[14:15], s36, v23
	s_and_saveexec_b64 s[36:37], s[14:15]
	s_xor_b64 s[14:15], exec, s[36:37]
	s_cbranch_execz .LBB16_71
; %bb.70:
	v_mov_b32_e32 v24, 0
	v_mov_b32_e32 v25, v24
	;; [unrolled: 1-line block ×4, first 2 shown]
	ds_write_b128 v7, v[24:27] offset:12672
                                        ; implicit-def: $vgpr7
.LBB16_71:
	s_andn2_saveexec_b64 s[14:15], s[14:15]
	s_cbranch_execz .LBB16_73
; %bb.72:
	v_mov_b32_e32 v23, 0x180
	v_mad_u64_u32 v[24:25], s[36:37], s16, v23, v[8:9]
	v_add_u32_e32 v25, s33, v25
	global_load_dwordx4 v[24:27], v[24:25], off
	v_add_u32_e32 v7, 0x3180, v7
	s_waitcnt vmcnt(0)
	ds_write2_b64 v7, v[24:25], v[26:27] offset1:1
.LBB16_73:
	s_or_b64 exec, exec, s[14:15]
	v_mov_b32_e32 v7, 0
	v_lshl_add_u64 v[8:9], v[8:9], 0, v[6:7]
	s_lshl_b64 s[14:15], s[20:21], 4
	v_mov_b32_e32 v7, s15
	v_subrev_co_u32_e64 v8, s[14:15], s14, v8
	s_nop 1
	v_subb_co_u32_e64 v9, s[14:15], v9, v7, s[14:15]
	s_mov_b64 s[14:15], 0x210
	s_nop 0
	v_lshl_add_u64 v[8:9], v[8:9], 0, s[14:15]
	v_cndmask_b32_e32 v9, v9, v11, vcc
	v_cndmask_b32_e32 v8, v8, v10, vcc
	s_branch .LBB16_76
.LBB16_74:
                                        ; implicit-def: $vgpr8_vgpr9
	s_cbranch_execz .LBB16_76
; %bb.75:
	s_lshl_b64 s[14:15], s[16:17], 7
	v_lshl_add_u64 v[8:9], v[12:13], 0, s[14:15]
	v_mov_b32_e32 v7, 0x180
	global_load_dwordx4 v[24:27], v[10:11], off
	global_load_dwordx4 v[28:31], v[8:9], off offset:512
	v_lshl_add_u64 v[8:9], v[8:9], 0, s[14:15]
	v_mad_u64_u32 v[12:13], s[14:15], s16, v7, v[12:13]
	v_add_u32_e32 v13, s33, v13
	global_load_dwordx4 v[32:35], v[8:9], off offset:512
	global_load_dwordx4 v[46:49], v[12:13], off offset:512
	v_add_lshl_u32 v7, v5, v4, 4
	v_add_u32_e32 v8, 0x1080, v7
	v_add_u32_e32 v9, 0x2100, v7
	;; [unrolled: 1-line block ×3, first 2 shown]
	s_waitcnt vmcnt(3)
	ds_write2_b64 v7, v[24:25], v[26:27] offset1:1
	s_waitcnt vmcnt(2)
	ds_write2_b64 v8, v[28:29], v[30:31] offset1:1
	;; [unrolled: 2-line block ×4, first 2 shown]
	v_mov_b64_e32 v[8:9], v[10:11]
.LBB16_76:
	s_waitcnt lgkmcnt(0)
	s_barrier
	s_and_saveexec_b64 s[14:15], s[4:5]
	s_xor_b64 s[4:5], exec, s[14:15]
	s_cbranch_execnz .LBB16_105
; %bb.77:
	s_andn2_saveexec_b64 s[4:5], s[4:5]
	s_cbranch_execnz .LBB16_108
.LBB16_78:
	s_or_b64 exec, exec, s[4:5]
	s_and_saveexec_b64 s[4:5], s[6:7]
	s_xor_b64 s[4:5], exec, s[4:5]
	s_cbranch_execnz .LBB16_109
.LBB16_79:
	s_andn2_saveexec_b64 s[4:5], s[4:5]
	s_cbranch_execnz .LBB16_110
.LBB16_80:
	s_or_b64 exec, exec, s[4:5]
	s_and_saveexec_b64 s[4:5], s[8:9]
	s_xor_b64 s[4:5], exec, s[4:5]
	s_cbranch_execnz .LBB16_113
.LBB16_81:
	s_andn2_saveexec_b64 s[4:5], s[4:5]
	s_cbranch_execnz .LBB16_116
.LBB16_82:
	s_or_b64 exec, exec, s[4:5]
	s_and_saveexec_b64 s[4:5], s[10:11]
	s_xor_b64 s[4:5], exec, s[4:5]
	s_cbranch_execnz .LBB16_117
.LBB16_83:
	s_or_saveexec_b64 s[4:5], s[4:5]
	v_add_u32_e32 v18, 0x4700, v22
	s_xor_b64 exec, exec, s[4:5]
	s_cbranch_execz .LBB16_85
.LBB16_84:
	ds_read_b128 v[10:13], v45 offset:1056
	s_waitcnt lgkmcnt(0)
	v_xor_b32_e32 v13, 0x80000000, v13
	ds_write_b128 v17, v[10:13] offset:48
.LBB16_85:
	s_or_b64 exec, exec, s[4:5]
	s_waitcnt lgkmcnt(0)
	s_barrier
	ds_read_b128 v[10:13], v18 offset:512
	ds_read_b128 v[20:23], v16
	ds_read_b128 v[24:27], v18 offset:528
	ds_read_b128 v[28:31], v18 offset:544
	v_cmp_eq_u32_e64 s[4:5], 1, v14
	s_waitcnt lgkmcnt(2)
	v_mul_f64 v[32:33], v[12:13], v[22:23]
	v_fma_f64 v[40:41], v[10:11], v[20:21], -v[32:33]
	ds_read_b128 v[32:35], v18 offset:560
	ds_read_b128 v[46:49], v45
	v_mul_f64 v[10:11], v[10:11], v[22:23]
	v_fmac_f64_e32 v[10:11], v[12:13], v[20:21]
	v_add_f64 v[22:23], v[10:11], 0
	v_add_f64 v[20:21], v[40:41], 0
	s_waitcnt lgkmcnt(0)
	v_mul_f64 v[10:11], v[26:27], v[48:49]
	v_fma_f64 v[40:41], v[24:25], v[46:47], -v[10:11]
	v_mul_f64 v[24:25], v[24:25], v[48:49]
	ds_read_b128 v[10:13], v45 offset:528
	v_fmac_f64_e32 v[24:25], v[26:27], v[46:47]
	v_add_f64 v[26:27], v[20:21], v[40:41]
	v_add_f64 v[24:25], v[22:23], v[24:25]
	ds_read_b128 v[20:23], v45 offset:1056
	s_waitcnt lgkmcnt(1)
	v_mul_f64 v[40:41], v[30:31], v[12:13]
	v_mul_f64 v[12:13], v[28:29], v[12:13]
	v_fmac_f64_e32 v[12:13], v[30:31], v[10:11]
	v_fma_f64 v[40:41], v[28:29], v[10:11], -v[40:41]
	v_add_f64 v[12:13], v[24:25], v[12:13]
	s_waitcnt lgkmcnt(0)
	v_mul_f64 v[24:25], v[34:35], v[22:23]
	v_mul_f64 v[22:23], v[32:33], v[22:23]
	v_add_f64 v[10:11], v[26:27], v[40:41]
	v_fma_f64 v[24:25], v[32:33], v[20:21], -v[24:25]
	v_fmac_f64_e32 v[22:23], v[34:35], v[20:21]
	v_add_f64 v[10:11], v[10:11], v[24:25]
	v_add_f64 v[12:13], v[12:13], v[22:23]
	s_barrier
	ds_write_b128 v44, v[10:13]
	s_waitcnt lgkmcnt(0)
	s_barrier
	s_and_saveexec_b64 s[6:7], s[4:5]
	s_cbranch_execz .LBB16_87
; %bb.86:
	ds_read_b128 v[0:3], v43
	ds_read_b128 v[10:13], v43 offset:16
	ds_read_b128 v[20:23], v43 offset:32
	;; [unrolled: 1-line block ×3, first 2 shown]
	s_waitcnt lgkmcnt(2)
	v_add_f64 v[0:1], v[10:11], v[0:1]
	v_add_f64 v[10:11], v[12:13], v[2:3]
	s_waitcnt lgkmcnt(1)
	v_add_f64 v[12:13], v[0:1], v[20:21]
	ds_read_b128 v[0:3], v43 offset:64
	v_add_f64 v[10:11], v[10:11], v[22:23]
	s_waitcnt lgkmcnt(1)
	v_add_f64 v[20:21], v[12:13], v[24:25]
	v_add_f64 v[24:25], v[10:11], v[26:27]
	ds_read_b128 v[10:13], v43 offset:80
	s_waitcnt lgkmcnt(1)
	v_add_f64 v[26:27], v[20:21], v[0:1]
	ds_read_b128 v[20:23], v43 offset:96
	v_add_f64 v[24:25], v[24:25], v[2:3]
	ds_read_b128 v[0:3], v43 offset:112
	s_waitcnt lgkmcnt(2)
	v_add_f64 v[10:11], v[26:27], v[10:11]
	v_add_f64 v[12:13], v[24:25], v[12:13]
	s_waitcnt lgkmcnt(1)
	v_add_f64 v[10:11], v[10:11], v[20:21]
	v_add_f64 v[12:13], v[12:13], v[22:23]
	s_waitcnt lgkmcnt(0)
	v_add_f64 v[0:1], v[10:11], v[0:1]
	v_add_f64 v[2:3], v[12:13], v[2:3]
.LBB16_87:
	s_or_b64 exec, exec, s[6:7]
	s_movk_i32 s6, 0xfe00
	s_mov_b32 s7, -1
	v_lshl_add_u64 v[10:11], v[8:9], 0, s[6:7]
	s_and_b64 vcc, exec, s[26:27]
	s_barrier
	s_cbranch_vccz .LBB16_120
; %bb.88:
	v_sub_co_u32_e32 v12, vcc, v8, v6
	s_ashr_i32 s21, s20, 31
	s_nop 0
	v_subbrev_co_u32_e32 v13, vcc, 0, v9, vcc
	s_movk_i32 s6, 0xfdf0
	v_lshl_add_u64 v[12:13], s[20:21], 4, v[12:13]
	s_mov_b32 s7, -1
	v_lshl_add_u64 v[12:13], v[12:13], 0, s[6:7]
	v_cmp_gt_i32_e32 vcc, s20, v4
	s_sub_i32 s8, s20, 32
	v_cmp_le_i32_e64 s[6:7], s8, v14
	v_cndmask_b32_e32 v13, v13, v11, vcc
	v_cndmask_b32_e32 v12, v12, v10, vcc
	v_add_lshl_u32 v7, v5, v4, 4
	s_and_saveexec_b64 s[10:11], s[6:7]
	s_xor_b64 s[6:7], exec, s[10:11]
	s_cbranch_execz .LBB16_90
; %bb.89:
	v_mov_b32_e32 v20, 0
	v_mov_b32_e32 v21, v20
	;; [unrolled: 1-line block ×4, first 2 shown]
	ds_write_b128 v7, v[20:23]
.LBB16_90:
	s_andn2_saveexec_b64 s[6:7], s[6:7]
	s_cbranch_execz .LBB16_92
; %bb.91:
	global_load_dwordx4 v[20:23], v[12:13], off
	s_waitcnt vmcnt(0)
	ds_write2_b64 v7, v[20:21], v[22:23] offset1:1
.LBB16_92:
	s_or_b64 exec, exec, s[6:7]
	v_add_u32_e32 v17, 8, v14
	v_cmp_le_i32_e64 s[6:7], s8, v17
	s_and_saveexec_b64 s[10:11], s[6:7]
	s_xor_b64 s[6:7], exec, s[10:11]
	s_cbranch_execz .LBB16_94
; %bb.93:
	v_mul_u32_u24_e32 v19, 33, v17
	v_mov_b32_e32 v20, 0
	v_add_lshl_u32 v19, v19, v4, 4
	v_mov_b32_e32 v21, v20
	v_mov_b32_e32 v22, v20
	;; [unrolled: 1-line block ×3, first 2 shown]
	ds_write_b128 v19, v[20:23]
.LBB16_94:
	s_andn2_saveexec_b64 s[6:7], s[6:7]
	s_cbranch_execz .LBB16_96
; %bb.95:
	s_lshl_b64 s[10:11], s[16:17], 7
	v_lshl_add_u64 v[20:21], v[12:13], 0, s[10:11]
	global_load_dwordx4 v[20:23], v[20:21], off
	v_add_u32_e32 v19, 0x1080, v7
	s_waitcnt vmcnt(0)
	ds_write2_b64 v19, v[20:21], v[22:23] offset1:1
.LBB16_96:
	s_or_b64 exec, exec, s[6:7]
	v_add_u32_e32 v19, 16, v14
	v_cmp_le_i32_e64 s[6:7], s8, v19
	s_and_saveexec_b64 s[10:11], s[6:7]
	s_xor_b64 s[6:7], exec, s[10:11]
	s_cbranch_execz .LBB16_98
; %bb.97:
	v_mov_b32_e32 v20, 0
	v_mov_b32_e32 v21, v20
	;; [unrolled: 1-line block ×4, first 2 shown]
	ds_write_b128 v7, v[20:23] offset:8448
.LBB16_98:
	s_andn2_saveexec_b64 s[6:7], s[6:7]
	s_cbranch_execz .LBB16_100
; %bb.99:
	s_lshl_b64 s[10:11], s[16:17], 8
	v_lshl_add_u64 v[20:21], v[12:13], 0, s[10:11]
	global_load_dwordx4 v[20:23], v[20:21], off
	v_add_u32_e32 v24, 0x2100, v7
	s_waitcnt vmcnt(0)
	ds_write2_b64 v24, v[20:21], v[22:23] offset1:1
.LBB16_100:
	s_or_b64 exec, exec, s[6:7]
	v_add_u32_e32 v20, 24, v14
	v_cmp_le_i32_e64 s[6:7], s8, v20
	s_and_saveexec_b64 s[8:9], s[6:7]
	s_xor_b64 s[6:7], exec, s[8:9]
	s_cbranch_execz .LBB16_102
; %bb.101:
	v_mov_b32_e32 v22, 0
	v_mov_b32_e32 v23, v22
	;; [unrolled: 1-line block ×4, first 2 shown]
	ds_write_b128 v7, v[22:25] offset:12672
                                        ; implicit-def: $vgpr7
.LBB16_102:
	s_andn2_saveexec_b64 s[6:7], s[6:7]
	s_cbranch_execz .LBB16_104
; %bb.103:
	v_mov_b32_e32 v21, 0x180
	v_mad_u64_u32 v[22:23], s[8:9], s16, v21, v[12:13]
	v_add_u32_e32 v23, s33, v23
	global_load_dwordx4 v[22:25], v[22:23], off
	v_add_u32_e32 v7, 0x3180, v7
	s_waitcnt vmcnt(0)
	ds_write2_b64 v7, v[22:23], v[24:25] offset1:1
.LBB16_104:
	s_or_b64 exec, exec, s[6:7]
	v_mov_b32_e32 v7, 0
	v_lshl_add_u64 v[6:7], v[12:13], 0, v[6:7]
	s_lshl_b64 s[6:7], s[20:21], 4
	v_mov_b32_e32 v12, s7
	v_subrev_co_u32_e64 v6, s[6:7], s6, v6
	s_nop 1
	v_subb_co_u32_e64 v7, s[6:7], v7, v12, s[6:7]
	v_lshl_add_u64 v[6:7], v[6:7], 0, 16
	v_cndmask_b32_e32 v41, v7, v11, vcc
	v_cndmask_b32_e32 v40, v6, v10, vcc
	s_branch .LBB16_122
.LBB16_105:
	v_cmp_eq_u32_e32 vcc, v19, v4
	s_and_saveexec_b64 s[14:15], vcc
	s_cbranch_execz .LBB16_107
; %bb.106:
	v_mul_u32_u24_e32 v7, 34, v4
	v_mov_b32_e32 v10, 0
	v_lshlrev_b32_e32 v7, 4, v7
	v_mov_b32_e32 v11, v10
	ds_write_b64 v7, v[10:11] offset:8
.LBB16_107:
	s_or_b64 exec, exec, s[14:15]
	s_andn2_saveexec_b64 s[4:5], s[4:5]
	s_cbranch_execz .LBB16_78
.LBB16_108:
	ds_read_b128 v[10:13], v16
	s_waitcnt lgkmcnt(0)
	v_xor_b32_e32 v13, 0x80000000, v13
	ds_write_b128 v17, v[10:13]
	s_or_b64 exec, exec, s[4:5]
	s_and_saveexec_b64 s[4:5], s[6:7]
	s_xor_b64 s[4:5], exec, s[4:5]
	s_cbranch_execz .LBB16_79
.LBB16_109:
	ds_read_b128 v[10:13], v45
                                        ; implicit-def: $vgpr18
	s_waitcnt lgkmcnt(0)
	v_xor_b32_e32 v13, 0x80000000, v13
	ds_write_b128 v17, v[10:13] offset:16
	s_andn2_saveexec_b64 s[4:5], s[4:5]
	s_cbranch_execz .LBB16_80
.LBB16_110:
	v_cmp_eq_u32_e32 vcc, v18, v4
	s_and_saveexec_b64 s[6:7], vcc
	s_cbranch_execz .LBB16_112
; %bb.111:
	v_mul_u32_u24_e32 v7, 34, v4
	v_mov_b32_e32 v10, 0
	v_lshlrev_b32_e32 v7, 4, v7
	v_mov_b32_e32 v11, v10
	ds_write_b64 v7, v[10:11] offset:8
.LBB16_112:
	s_or_b64 exec, exec, s[6:7]
	s_or_b64 exec, exec, s[4:5]
	s_and_saveexec_b64 s[4:5], s[8:9]
	s_xor_b64 s[4:5], exec, s[4:5]
	s_cbranch_execz .LBB16_81
.LBB16_113:
	v_cmp_eq_u32_e32 vcc, v20, v4
	s_and_saveexec_b64 s[6:7], vcc
	s_cbranch_execz .LBB16_115
; %bb.114:
	v_mul_u32_u24_e32 v7, 34, v4
	v_mov_b32_e32 v10, 0
	v_lshlrev_b32_e32 v7, 4, v7
	v_mov_b32_e32 v11, v10
	ds_write_b64 v7, v[10:11] offset:8
.LBB16_115:
	s_or_b64 exec, exec, s[6:7]
	s_andn2_saveexec_b64 s[4:5], s[4:5]
	s_cbranch_execz .LBB16_82
.LBB16_116:
	ds_read_b128 v[10:13], v45 offset:528
	s_waitcnt lgkmcnt(0)
	v_xor_b32_e32 v13, 0x80000000, v13
	ds_write_b128 v17, v[10:13] offset:32
	s_or_b64 exec, exec, s[4:5]
	s_and_saveexec_b64 s[4:5], s[10:11]
	s_xor_b64 s[4:5], exec, s[4:5]
	s_cbranch_execz .LBB16_83
.LBB16_117:
	v_cmp_eq_u32_e32 vcc, v21, v4
	s_and_saveexec_b64 s[6:7], vcc
	s_cbranch_execz .LBB16_119
; %bb.118:
	v_mul_u32_u24_e32 v7, 34, v4
	v_mov_b32_e32 v10, 0
	v_lshlrev_b32_e32 v7, 4, v7
	v_mov_b32_e32 v11, v10
	ds_write_b64 v7, v[10:11] offset:8
.LBB16_119:
	s_or_b64 exec, exec, s[6:7]
                                        ; implicit-def: $vgpr17
	s_or_saveexec_b64 s[4:5], s[4:5]
	v_add_u32_e32 v18, 0x4700, v22
	s_xor_b64 exec, exec, s[4:5]
	s_cbranch_execnz .LBB16_84
	s_branch .LBB16_85
.LBB16_120:
                                        ; implicit-def: $vgpr40_vgpr41
                                        ; implicit-def: $vgpr17
                                        ; implicit-def: $vgpr19
                                        ; implicit-def: $vgpr20
	s_cbranch_execz .LBB16_122
; %bb.121:
	s_lshl_b64 s[6:7], s[16:17], 7
	v_lshl_add_u64 v[6:7], v[8:9], 0, s[6:7]
	global_load_dwordx4 v[22:25], v[10:11], off
	global_load_dwordx4 v[26:29], v[6:7], off offset:-512
	v_lshl_add_u64 v[12:13], v[6:7], 0, s[6:7]
	v_mov_b32_e32 v6, 0x180
	v_mad_u64_u32 v[20:21], s[6:7], s16, v6, v[8:9]
	v_add_u32_e32 v21, s33, v21
	global_load_dwordx4 v[6:9], v[12:13], off offset:-512
	global_load_dwordx4 v[30:33], v[20:21], off offset:-512
	v_add_lshl_u32 v4, v5, v4, 4
	v_add_u32_e32 v17, 8, v14
	v_add_u32_e32 v19, 16, v14
	;; [unrolled: 1-line block ×3, first 2 shown]
	v_mov_b64_e32 v[40:41], v[10:11]
	v_add_u32_e32 v5, 0x1080, v4
	v_add_u32_e32 v12, 0x2100, v4
	v_add_u32_e32 v13, 0x3180, v4
	s_waitcnt vmcnt(3)
	ds_write2_b64 v4, v[22:23], v[24:25] offset1:1
	s_waitcnt vmcnt(2)
	ds_write2_b64 v5, v[26:27], v[28:29] offset1:1
	;; [unrolled: 2-line block ×4, first 2 shown]
.LBB16_122:
	v_lshlrev_b32_e32 v4, 4, v14
	s_waitcnt lgkmcnt(0)
	s_barrier
	ds_read_b128 v[46:49], v44
	ds_read_b128 v[50:53], v4 offset:18176
	v_add_lshl_u32 v4, v17, v15, 4
	v_lshlrev_b32_e32 v5, 4, v17
	ds_read_b128 v[54:57], v4
	ds_read_b128 v[58:61], v5 offset:18176
	s_waitcnt lgkmcnt(2)
	v_mul_f64 v[4:5], v[48:49], v[52:53]
	v_fmac_f64_e32 v[4:5], v[46:47], v[50:51]
	v_add_f64 v[4:5], v[4:5], 0
	s_waitcnt lgkmcnt(0)
	v_mul_f64 v[6:7], v[56:57], v[60:61]
	v_fmac_f64_e32 v[6:7], v[54:55], v[58:59]
	v_add_f64 v[4:5], v[4:5], v[6:7]
	v_add_lshl_u32 v6, v19, v15, 4
	v_mul_f64 v[70:71], v[48:49], v[50:51]
	v_mul_f64 v[72:73], v[56:57], v[58:59]
	v_lshlrev_b32_e32 v7, 4, v19
	ds_read_b128 v[48:51], v6
	ds_read_b128 v[56:59], v7 offset:18176
	v_add_lshl_u32 v6, v20, v15, 4
	v_lshlrev_b32_e32 v7, 4, v20
	ds_read_b128 v[62:65], v6
	ds_read_b128 v[66:69], v7 offset:18176
	v_fma_f64 v[46:47], v[46:47], v[52:53], -v[70:71]
	s_waitcnt lgkmcnt(2)
	v_mul_f64 v[6:7], v[50:51], v[58:59]
	v_fmac_f64_e32 v[6:7], v[48:49], v[56:57]
	v_add_f64 v[4:5], v[4:5], v[6:7]
	s_waitcnt lgkmcnt(0)
	v_mul_f64 v[6:7], v[64:65], v[68:69]
	v_fmac_f64_e32 v[6:7], v[62:63], v[66:67]
	v_mul_f64 v[56:57], v[50:51], v[56:57]
	v_add_f64 v[50:51], v[4:5], v[6:7]
	ds_read_b128 v[20:23], v18 offset:528
	ds_read_b128 v[12:15], v18 offset:544
	;; [unrolled: 1-line block ×3, first 2 shown]
	ds_read_b128 v[32:35], v16
	ds_read_b128 v[4:7], v18 offset:560
	ds_read_b128 v[24:27], v45
	ds_read_b128 v[16:19], v45 offset:528
	ds_read_b128 v[8:11], v45 offset:1056
	v_add_f64 v[46:47], v[46:47], 0
	v_fma_f64 v[52:53], v[54:55], v[60:61], -v[72:73]
	v_mul_f64 v[64:65], v[64:65], v[66:67]
	v_add_f64 v[46:47], v[46:47], v[52:53]
	v_fma_f64 v[48:49], v[48:49], v[58:59], -v[56:57]
	v_add_f64 v[46:47], v[46:47], v[48:49]
	v_fma_f64 v[48:49], v[62:63], v[68:69], -v[64:65]
	v_add_f64 v[52:53], v[46:47], v[48:49]
	s_waitcnt lgkmcnt(0)
	s_barrier
	ds_write_b128 v44, v[50:53]
	s_waitcnt lgkmcnt(0)
	s_barrier
	s_and_saveexec_b64 s[6:7], s[4:5]
	s_cbranch_execz .LBB16_124
; %bb.123:
	ds_read_b128 v[46:49], v43
	ds_read_b128 v[50:53], v43 offset:16
	ds_read_b128 v[54:57], v43 offset:32
	;; [unrolled: 1-line block ×3, first 2 shown]
	s_waitcnt lgkmcnt(3)
	v_add_f64 v[0:1], v[0:1], v[46:47]
	v_add_f64 v[2:3], v[2:3], v[48:49]
	s_waitcnt lgkmcnt(2)
	v_add_f64 v[0:1], v[0:1], v[50:51]
	v_add_f64 v[46:47], v[2:3], v[52:53]
	s_waitcnt lgkmcnt(1)
	v_add_f64 v[48:49], v[0:1], v[54:55]
	ds_read_b128 v[0:3], v43 offset:64
	v_add_f64 v[46:47], v[46:47], v[56:57]
	s_waitcnt lgkmcnt(1)
	v_add_f64 v[50:51], v[48:49], v[58:59]
	v_add_f64 v[54:55], v[46:47], v[60:61]
	ds_read_b128 v[46:49], v43 offset:80
	s_waitcnt lgkmcnt(1)
	v_add_f64 v[56:57], v[50:51], v[0:1]
	ds_read_b128 v[50:53], v43 offset:96
	v_add_f64 v[54:55], v[54:55], v[2:3]
	ds_read_b128 v[0:3], v43 offset:112
	s_waitcnt lgkmcnt(2)
	v_add_f64 v[46:47], v[56:57], v[46:47]
	v_add_f64 v[48:49], v[54:55], v[48:49]
	s_waitcnt lgkmcnt(1)
	v_add_f64 v[46:47], v[46:47], v[50:51]
	v_add_f64 v[48:49], v[48:49], v[52:53]
	;; [unrolled: 3-line block ×3, first 2 shown]
.LBB16_124:
	s_or_b64 exec, exec, s[6:7]
	v_mul_f64 v[46:47], v[30:31], v[34:35]
	v_fma_f64 v[46:47], v[28:29], v[32:33], -v[46:47]
	v_mul_f64 v[28:29], v[28:29], v[34:35]
	v_fmac_f64_e32 v[28:29], v[30:31], v[32:33]
	v_mul_f64 v[32:33], v[22:23], v[26:27]
	v_fma_f64 v[32:33], v[20:21], v[24:25], -v[32:33]
	v_mul_f64 v[20:21], v[20:21], v[26:27]
	v_fmac_f64_e32 v[20:21], v[22:23], v[24:25]
	v_mul_f64 v[24:25], v[14:15], v[18:19]
	v_add_f64 v[30:31], v[46:47], 0
	v_add_f64 v[28:29], v[28:29], 0
	v_fma_f64 v[24:25], v[12:13], v[16:17], -v[24:25]
	v_mul_f64 v[12:13], v[12:13], v[18:19]
	v_add_f64 v[22:23], v[30:31], v[32:33]
	v_add_f64 v[20:21], v[28:29], v[20:21]
	v_fmac_f64_e32 v[12:13], v[14:15], v[16:17]
	v_mul_f64 v[16:17], v[6:7], v[10:11]
	v_mul_f64 v[10:11], v[4:5], v[10:11]
	v_add_f64 v[14:15], v[22:23], v[24:25]
	v_add_f64 v[12:13], v[20:21], v[12:13]
	v_fma_f64 v[16:17], v[4:5], v[8:9], -v[16:17]
	v_fmac_f64_e32 v[10:11], v[6:7], v[8:9]
	v_add_f64 v[4:5], v[14:15], v[16:17]
	v_add_f64 v[6:7], v[12:13], v[10:11]
	s_barrier
	ds_write_b128 v44, v[4:7]
	s_waitcnt lgkmcnt(0)
	s_barrier
	s_and_saveexec_b64 s[4:5], s[12:13]
	s_cbranch_execz .LBB16_126
; %bb.125:
	ds_read_b128 v[4:7], v43
	ds_read_b128 v[8:11], v43 offset:16
	ds_read_b128 v[12:15], v43 offset:32
	;; [unrolled: 1-line block ×3, first 2 shown]
	s_waitcnt lgkmcnt(3)
	v_add_f64 v[0:1], v[0:1], v[4:5]
	v_add_f64 v[2:3], v[2:3], v[6:7]
	s_waitcnt lgkmcnt(2)
	v_add_f64 v[0:1], v[0:1], v[8:9]
	v_add_f64 v[4:5], v[2:3], v[10:11]
	s_waitcnt lgkmcnt(1)
	v_add_f64 v[6:7], v[0:1], v[12:13]
	ds_read_b128 v[0:3], v43 offset:64
	v_add_f64 v[4:5], v[4:5], v[14:15]
	s_waitcnt lgkmcnt(1)
	v_add_f64 v[8:9], v[6:7], v[16:17]
	v_add_f64 v[12:13], v[4:5], v[18:19]
	ds_read_b128 v[4:7], v43 offset:80
	s_waitcnt lgkmcnt(1)
	v_add_f64 v[14:15], v[8:9], v[0:1]
	ds_read_b128 v[8:11], v43 offset:96
	v_add_f64 v[12:13], v[12:13], v[2:3]
	ds_read_b128 v[0:3], v43 offset:112
	s_waitcnt lgkmcnt(2)
	v_add_f64 v[4:5], v[14:15], v[4:5]
	v_add_f64 v[6:7], v[12:13], v[6:7]
	s_waitcnt lgkmcnt(1)
	v_add_f64 v[4:5], v[4:5], v[8:9]
	v_add_f64 v[6:7], v[6:7], v[10:11]
	;; [unrolled: 3-line block ×3, first 2 shown]
.LBB16_126:
	s_or_b64 exec, exec, s[4:5]
	s_mul_hi_u32 s4, s30, s3
	s_mul_i32 s31, s31, s3
	s_add_i32 s4, s4, s31
	s_mul_i32 s3, s30, s3
	s_mul_i32 s4, s4, s28
	s_mul_hi_u32 s5, s3, s28
	s_add_i32 s5, s5, s4
	s_mul_i32 s4, s3, s28
	s_lshl_b64 s[4:5], s[4:5], 4
	s_add_u32 s3, s34, s4
	s_addc_u32 s6, s35, s5
	s_mul_hi_i32 s5, s30, s2
	s_mul_i32 s4, s30, s2
	s_lshl_b64 s[4:5], s[4:5], 4
	s_add_u32 s8, s3, s4
	s_addc_u32 s9, s6, s5
	s_add_i32 s3, s2, 1
	s_cmp_ge_u32 s3, s28
	v_lshlrev_b32_e32 v168, 4, v204
	s_barrier
	s_cbranch_scc1 .LBB16_184
; %bb.127:
	s_mul_i32 s3, s22, s25
	s_mul_hi_u32 s4, s22, s24
	s_add_i32 s3, s4, s3
	s_mul_i32 s4, s23, s24
	s_add_i32 s5, s3, s4
	s_mul_i32 s4, s22, s24
	s_lshl_b64 s[4:5], s[4:5], 4
	v_mov_b32_e32 v4, s5
	v_subrev_co_u32_e32 v170, vcc, s4, v36
	v_and_b32_e32 v6, 48, v204
	s_nop 0
	v_subb_co_u32_e32 v171, vcc, v37, v4, vcc
	v_and_b32_e32 v4, 15, v204
	v_lshlrev_b32_e32 v7, 4, v6
	s_movk_i32 s4, 0x430
	v_lshrrev_b32_e32 v5, 4, v42
	v_mad_u32_u24 v209, v4, s4, v7
	v_or_b32_e32 v7, 0xf0, v168
	v_mad_u32_u24 v210, v4, s4, v7
	v_lshlrev_b32_e32 v7, 6, v5
	v_lshlrev_b32_e32 v12, 6, v205
	v_mad_u32_u24 v211, v4, s4, v7
	s_movk_i32 s4, 0x10c0
	v_mul_i32_i24_e32 v13, 0xffffffd0, v5
	v_add_u32_e32 v5, 0x200, v12
	v_mad_u32_u24 v216, v205, s4, v168
	v_or_b32_e32 v229, v6, v4
	v_mad_u64_u32 v[6:7], s[4:5], s16, v5, 0
	v_mov_b32_e32 v8, v7
	v_mad_u64_u32 v[8:9], s[4:5], s17, v5, v[8:9]
	v_mov_b32_e32 v5, v8
	v_lshlrev_b64 v[8:9], 4, v[38:39]
	v_sub_co_u32_e32 v6, vcc, v6, v8
	v_lshlrev_b32_e32 v206, 2, v205
	s_nop 0
	v_subb_co_u32_e32 v7, vcc, v5, v9, vcc
	v_lshl_add_u64 v[6:7], v[40:41], 0, v[6:7]
	v_add_u32_e32 v5, 0x530, v12
	v_lshl_add_u64 v[172:173], v[6:7], 0, 8
	v_mad_u64_u32 v[6:7], s[4:5], s16, v5, 0
	v_mov_b32_e32 v10, v7
	v_mad_u64_u32 v[10:11], s[4:5], s17, v5, v[10:11]
	v_mov_b32_e32 v5, v10
	v_sub_co_u32_e32 v6, vcc, v6, v8
	v_mov_b32_e32 v4, 0
	s_nop 0
	v_subb_co_u32_e32 v7, vcc, v5, v9, vcc
	v_add_u32_e32 v5, 0x220, v12
	v_lshl_add_u64 v[174:175], v[40:41], 0, v[6:7]
	v_mad_u64_u32 v[6:7], s[4:5], s16, v5, 0
	v_mov_b32_e32 v10, v7
	v_mad_u64_u32 v[10:11], s[4:5], s17, v5, v[10:11]
	v_mov_b32_e32 v5, v10
	v_sub_co_u32_e32 v6, vcc, v6, v8
	s_add_i32 s3, s28, -2
	s_nop 0
	v_subb_co_u32_e32 v7, vcc, v5, v9, vcc
	v_add_u32_e32 v5, 0x520, v12
	v_lshl_add_u64 v[176:177], v[40:41], 0, v[6:7]
	v_mad_u64_u32 v[6:7], s[4:5], s16, v5, 0
	v_mov_b32_e32 v10, v7
	v_mad_u64_u32 v[10:11], s[4:5], s17, v5, v[10:11]
	v_mov_b32_e32 v5, v10
	v_sub_co_u32_e32 v6, vcc, v6, v8
	v_add_u32_e32 v207, 0x4300, v168
	s_nop 0
	v_subb_co_u32_e32 v7, vcc, v5, v9, vcc
	v_add_u32_e32 v5, 0x210, v12
	v_lshl_add_u64 v[178:179], v[40:41], 0, v[6:7]
	v_mad_u64_u32 v[6:7], s[4:5], s16, v5, 0
	v_mov_b32_e32 v10, v7
	v_mad_u64_u32 v[10:11], s[4:5], s17, v5, v[10:11]
	v_mov_b32_e32 v5, v10
	v_sub_co_u32_e32 v6, vcc, v6, v8
	v_add_u32_e32 v208, 0x4700, v168
	s_nop 0
	v_subb_co_u32_e32 v7, vcc, v5, v9, vcc
	v_lshl_add_u64 v[6:7], v[40:41], 0, v[6:7]
	v_add_u32_e32 v5, 0x510, v12
	v_lshl_add_u64 v[180:181], v[6:7], 0, 8
	v_mad_u64_u32 v[6:7], s[4:5], s16, v5, 0
	v_mov_b32_e32 v10, v7
	v_mad_u64_u32 v[10:11], s[4:5], s17, v5, v[10:11]
	v_mov_b32_e32 v5, v10
	v_sub_co_u32_e32 v6, vcc, v6, v8
	v_cmp_gt_u32_e64 s[6:7], 64, v42
	s_nop 0
	v_subb_co_u32_e32 v7, vcc, v5, v9, vcc
	v_add_u32_e32 v5, 0x230, v12
	v_lshl_add_u64 v[182:183], v[40:41], 0, v[6:7]
	v_mad_u64_u32 v[6:7], s[4:5], s16, v5, 0
	v_mov_b32_e32 v10, v7
	v_mad_u64_u32 v[10:11], s[4:5], s17, v5, v[10:11]
	v_mov_b32_e32 v5, v10
	v_sub_co_u32_e32 v6, vcc, v6, v8
	v_or_b32_e32 v212, 1, v206
	s_nop 0
	v_subb_co_u32_e32 v7, vcc, v5, v9, vcc
	v_lshl_add_u64 v[6:7], v[40:41], 0, v[6:7]
	v_add_u32_e32 v5, 0x500, v12
	v_lshl_add_u64 v[184:185], v[6:7], 0, 8
	v_mad_u64_u32 v[6:7], s[4:5], s16, v5, 0
	v_mov_b32_e32 v10, v7
	v_mad_u64_u32 v[10:11], s[4:5], s17, v5, v[10:11]
	v_mov_b32_e32 v5, v10
	v_sub_co_u32_e32 v6, vcc, v6, v8
	v_or_b32_e32 v213, 2, v206
	s_nop 0
	v_subb_co_u32_e32 v7, vcc, v5, v9, vcc
	v_add_u32_e32 v5, 0x300, v12
	v_lshl_add_u64 v[186:187], v[40:41], 0, v[6:7]
	v_mad_u64_u32 v[6:7], s[4:5], s16, v5, 0
	v_mov_b32_e32 v10, v7
	v_mad_u64_u32 v[10:11], s[4:5], s17, v5, v[10:11]
	v_mov_b32_e32 v5, v10
	v_sub_co_u32_e32 v6, vcc, v6, v8
	v_or_b32_e32 v214, 3, v206
	s_nop 0
	v_subb_co_u32_e32 v7, vcc, v5, v9, vcc
	v_lshl_add_u64 v[6:7], v[40:41], 0, v[6:7]
	v_add_u32_e32 v5, 0x430, v12
	v_lshl_add_u64 v[188:189], v[6:7], 0, 8
	v_mad_u64_u32 v[6:7], s[4:5], s16, v5, 0
	v_mov_b32_e32 v10, v7
	v_mad_u64_u32 v[10:11], s[4:5], s17, v5, v[10:11]
	v_mov_b32_e32 v5, v10
	v_sub_co_u32_e32 v6, vcc, v6, v8
	v_add_u32_e32 v215, 0x4300, v12
	s_nop 0
	v_subb_co_u32_e32 v7, vcc, v5, v9, vcc
	v_add_u32_e32 v5, 0x310, v12
	v_lshl_add_u64 v[190:191], v[40:41], 0, v[6:7]
	v_mad_u64_u32 v[6:7], s[4:5], s16, v5, 0
	v_mov_b32_e32 v10, v7
	v_mad_u64_u32 v[10:11], s[4:5], s17, v5, v[10:11]
	v_mov_b32_e32 v5, v10
	v_sub_co_u32_e32 v6, vcc, v6, v8
	v_add_u32_e32 v217, 16, v206
	s_nop 0
	v_subb_co_u32_e32 v7, vcc, v5, v9, vcc
	v_lshl_add_u64 v[6:7], v[40:41], 0, v[6:7]
	v_add_u32_e32 v5, 0x420, v12
	v_lshl_add_u64 v[192:193], v[6:7], 0, 8
	v_mad_u64_u32 v[6:7], s[4:5], s16, v5, 0
	v_mov_b32_e32 v10, v7
	v_mad_u64_u32 v[10:11], s[4:5], s17, v5, v[10:11]
	v_mov_b32_e32 v5, v10
	v_sub_co_u32_e32 v6, vcc, v6, v8
	v_add_u32_e32 v218, 17, v206
	s_nop 0
	v_subb_co_u32_e32 v7, vcc, v5, v9, vcc
	v_add_u32_e32 v5, 0x320, v12
	v_lshl_add_u64 v[194:195], v[40:41], 0, v[6:7]
	v_mad_u64_u32 v[6:7], s[4:5], s16, v5, 0
	v_mov_b32_e32 v10, v7
	v_mad_u64_u32 v[10:11], s[4:5], s17, v5, v[10:11]
	v_mov_b32_e32 v5, v10
	v_sub_co_u32_e32 v6, vcc, v6, v8
	v_add_u32_e32 v219, 18, v206
	;; [unrolled: 21-line block ×3, first 2 shown]
	s_nop 0
	v_subb_co_u32_e32 v7, vcc, v5, v9, vcc
	v_lshl_add_u64 v[6:7], v[40:41], 0, v[6:7]
	v_add_u32_e32 v5, 0x400, v12
	v_lshl_add_u64 v[200:201], v[6:7], 0, 8
	v_mad_u64_u32 v[6:7], s[4:5], s16, v5, 0
	v_mov_b32_e32 v10, v7
	v_mad_u64_u32 v[10:11], s[4:5], s17, v5, v[10:11]
	v_mov_b32_e32 v5, v10
	v_sub_co_u32_e32 v6, vcc, v6, v8
	v_add_u32_e32 v222, 33, v206
	s_nop 0
	v_subb_co_u32_e32 v7, vcc, v5, v9, vcc
	v_lshl_add_u64 v[6:7], v[40:41], 0, v[6:7]
	v_add_u32_e32 v223, 34, v206
	v_add_u32_e32 v224, 35, v206
	;; [unrolled: 1-line block ×6, first 2 shown]
	s_add_i32 s21, s22, 64
	v_mov_b32_e32 v169, v4
	s_lshl_b64 s[10:11], s[16:17], 10
	v_lshl_add_u64 v[202:203], v[6:7], 0, 8
	v_add_u32_e32 v230, v211, v13
	s_cmp_eq_u32 s3, s2
	s_cselect_b32 s26, s29, 0
	s_and_saveexec_b64 s[4:5], s[0:1]
	s_cbranch_execz .LBB16_132
.LBB16_128:
	s_cmp_lg_u32 s26, 0
	s_cselect_b64 s[12:13], -1, 0
	v_cmp_le_i32_e32 vcc, s26, v204
	s_and_b64 s[12:13], s[12:13], vcc
	s_and_saveexec_b64 s[14:15], s[12:13]
	s_xor_b64 s[12:13], exec, s[14:15]
	s_cbranch_execz .LBB16_130
; %bb.129:
	v_mov_b32_e32 v5, v4
	v_mov_b32_e32 v6, v4
	;; [unrolled: 1-line block ×3, first 2 shown]
	ds_write_b128 v207, v[4:7]
.LBB16_130:
	s_andn2_saveexec_b64 s[12:13], s[12:13]
	s_cbranch_execz .LBB16_132
; %bb.131:
	s_ashr_i32 s12, s21, 31
	s_mul_i32 s13, s21, s25
	s_mul_hi_u32 s14, s21, s24
	s_add_i32 s13, s14, s13
	s_mul_i32 s12, s12, s24
	s_add_i32 s13, s13, s12
	s_mul_i32 s12, s21, s24
	v_lshl_add_u64 v[6:7], s[12:13], 4, v[170:171]
	global_load_dwordx4 v[6:9], v[6:7], off
	s_waitcnt vmcnt(0)
	ds_write2_b64 v207, v[6:7], v[8:9] offset1:1
.LBB16_132:                             ; =>This Inner Loop Header: Depth=1
	s_or_b64 exec, exec, s[4:5]
	s_cmp_eq_u32 s26, 0
	s_cselect_b64 s[12:13], -1, 0
	s_cmp_lg_u32 s26, 0
	s_cselect_b64 s[14:15], -1, 0
	v_lshl_add_u64 v[18:19], v[172:173], 0, v[168:169]
	s_and_b64 vcc, exec, s[14:15]
	s_waitcnt lgkmcnt(0)
	s_barrier
	s_cbranch_vccz .LBB16_140
; %bb.133:                              ;   in Loop: Header=BB16_132 Depth=1
	v_mov_b64_e32 v[10:11], 0
	v_cmp_gt_i32_e32 vcc, s26, v206
	v_mov_b64_e32 v[6:7], v[10:11]
	v_mov_b64_e32 v[8:9], v[10:11]
	s_and_saveexec_b64 s[4:5], vcc
	s_cbranch_execz .LBB16_135
; %bb.134:                              ;   in Loop: Header=BB16_132 Depth=1
	global_load_dwordx4 v[6:9], v[18:19], off offset:-8
.LBB16_135:                             ;   in Loop: Header=BB16_132 Depth=1
	s_or_b64 exec, exec, s[4:5]
	v_cmp_gt_i32_e32 vcc, s26, v212
	v_mov_b64_e32 v[12:13], v[10:11]
	s_and_saveexec_b64 s[4:5], vcc
	s_cbranch_execz .LBB16_137
; %bb.136:                              ;   in Loop: Header=BB16_132 Depth=1
	v_lshl_add_u64 v[10:11], v[180:181], 0, v[168:169]
	global_load_dwordx4 v[10:13], v[10:11], off offset:-8
.LBB16_137:                             ;   in Loop: Header=BB16_132 Depth=1
	s_or_b64 exec, exec, s[4:5]
	v_mov_b64_e32 v[14:15], 0
	v_cmp_gt_i32_e32 vcc, s26, v213
	s_mov_b64 s[22:23], 0
	v_mov_b64_e32 v[16:17], v[14:15]
	s_and_saveexec_b64 s[4:5], vcc
	s_cbranch_execz .LBB16_139
; %bb.138:                              ;   in Loop: Header=BB16_132 Depth=1
	v_lshl_add_u64 v[14:15], v[176:177], 0, v[168:169]
	global_load_dwordx4 v[14:17], v[14:15], off
.LBB16_139:                             ;   in Loop: Header=BB16_132 Depth=1
	s_or_b64 exec, exec, s[4:5]
	v_cmp_gt_i32_e64 s[4:5], s26, v214
	s_mov_b64 s[16:17], 0
	s_and_b64 vcc, exec, s[22:23]
	s_cbranch_vccnz .LBB16_141
	s_branch .LBB16_142
.LBB16_140:                             ;   in Loop: Header=BB16_132 Depth=1
	s_mov_b64 s[4:5], 0
                                        ; implicit-def: $sgpr16_sgpr17
                                        ; implicit-def: $vgpr16_vgpr17
                                        ; implicit-def: $vgpr12_vgpr13
                                        ; implicit-def: $vgpr8_vgpr9
	s_cbranch_execz .LBB16_142
.LBB16_141:                             ;   in Loop: Header=BB16_132 Depth=1
	s_waitcnt vmcnt(0)
	v_lshl_add_u64 v[10:11], v[180:181], 0, v[168:169]
	v_lshl_add_u64 v[14:15], v[176:177], 0, v[168:169]
	global_load_dwordx4 v[6:9], v[18:19], off offset:-8
	s_or_b64 s[4:5], s[4:5], exec
	global_load_dwordx4 v[10:13], v[10:11], off offset:-8
                                        ; implicit-def: $sgpr16_sgpr17
	s_nop 0
	global_load_dwordx4 v[14:17], v[14:15], off
.LBB16_142:                             ;   in Loop: Header=BB16_132 Depth=1
	v_mov_b64_e32 v[18:19], s[16:17]
	v_mov_b64_e32 v[20:21], s[16:17]
	s_and_saveexec_b64 s[16:17], s[4:5]
	s_cbranch_execz .LBB16_144
; %bb.143:                              ;   in Loop: Header=BB16_132 Depth=1
	v_lshl_add_u64 v[18:19], v[184:185], 0, v[168:169]
	global_load_dwordx4 v[18:21], v[18:19], off offset:-8
.LBB16_144:                             ;   in Loop: Header=BB16_132 Depth=1
	s_or_b64 exec, exec, s[16:17]
	ds_read_b128 v[34:37], v208
	ds_read_b128 v[22:25], v215
	v_cndmask_b32_e64 v5, 0, 1, s[14:15]
	v_cmp_ne_u32_e64 s[4:5], 1, v5
	s_andn2_b64 vcc, exec, s[14:15]
	s_waitcnt vmcnt(0) lgkmcnt(1)
	v_mul_f64 v[26:27], v[8:9], v[36:37]
	v_mul_f64 v[28:29], v[8:9], v[34:35]
	;; [unrolled: 1-line block ×3, first 2 shown]
	v_fmac_f64_e32 v[26:27], v[6:7], v[34:35]
	v_fma_f64 v[28:29], v[6:7], v[36:37], -v[28:29]
	v_mul_f64 v[32:33], v[12:13], v[34:35]
	ds_write_b128 v216, v[26:29]
	v_fmac_f64_e32 v[30:31], v[10:11], v[34:35]
	v_fma_f64 v[32:33], v[10:11], v[36:37], -v[32:33]
	v_mul_f64 v[38:39], v[16:17], v[36:37]
	v_mul_f64 v[40:41], v[16:17], v[34:35]
	;; [unrolled: 1-line block ×3, first 2 shown]
	ds_read_b128 v[26:29], v215 offset:16
	ds_write_b128 v216, v[30:33] offset:1072
	v_fmac_f64_e32 v[38:39], v[14:15], v[34:35]
	v_fma_f64 v[40:41], v[14:15], v[36:37], -v[40:41]
	v_fmac_f64_e32 v[42:43], v[18:19], v[34:35]
	v_mul_f64 v[34:35], v[20:21], v[34:35]
	ds_read_b128 v[30:33], v215 offset:32
	ds_write_b128 v216, v[38:41] offset:2144
	v_fma_f64 v[44:45], v[18:19], v[36:37], -v[34:35]
	ds_read_b128 v[38:41], v215 offset:48
	ds_write_b128 v216, v[42:45] offset:3216
	s_waitcnt lgkmcnt(0)
	s_barrier
	ds_read_b128 v[98:101], v211
	ds_read_b128 v[94:97], v211 offset:16
	ds_read_b128 v[86:89], v211 offset:32
	;; [unrolled: 1-line block ×3, first 2 shown]
	v_lshl_add_u64 v[50:51], v[188:189], 0, v[168:169]
	s_waitcnt lgkmcnt(0)
	s_barrier
	s_cbranch_vccnz .LBB16_152
; %bb.145:                              ;   in Loop: Header=BB16_132 Depth=1
	v_mov_b64_e32 v[42:43], 0
	v_cmp_gt_i32_e32 vcc, s26, v217
	v_mov_b64_e32 v[34:35], v[42:43]
	v_mov_b64_e32 v[36:37], v[42:43]
	s_and_saveexec_b64 s[14:15], vcc
	s_cbranch_execz .LBB16_147
; %bb.146:                              ;   in Loop: Header=BB16_132 Depth=1
	global_load_dwordx4 v[34:37], v[50:51], off offset:-8
.LBB16_147:                             ;   in Loop: Header=BB16_132 Depth=1
	s_or_b64 exec, exec, s[14:15]
	v_cmp_gt_i32_e32 vcc, s26, v218
	v_mov_b64_e32 v[44:45], v[42:43]
	s_and_saveexec_b64 s[14:15], vcc
	s_cbranch_execz .LBB16_149
; %bb.148:                              ;   in Loop: Header=BB16_132 Depth=1
	v_lshl_add_u64 v[42:43], v[192:193], 0, v[168:169]
	global_load_dwordx4 v[42:45], v[42:43], off offset:-8
.LBB16_149:                             ;   in Loop: Header=BB16_132 Depth=1
	s_or_b64 exec, exec, s[14:15]
	v_mov_b64_e32 v[46:47], 0
	v_cmp_gt_i32_e32 vcc, s26, v219
	s_mov_b64 s[22:23], 0
	v_mov_b64_e32 v[48:49], v[46:47]
	s_and_saveexec_b64 s[14:15], vcc
	s_cbranch_execz .LBB16_151
; %bb.150:                              ;   in Loop: Header=BB16_132 Depth=1
	v_lshl_add_u64 v[46:47], v[196:197], 0, v[168:169]
	global_load_dwordx4 v[46:49], v[46:47], off offset:-8
.LBB16_151:                             ;   in Loop: Header=BB16_132 Depth=1
	s_or_b64 exec, exec, s[14:15]
	v_cmp_gt_i32_e64 s[14:15], s26, v220
	s_mov_b64 s[16:17], 0
	s_and_b64 vcc, exec, s[22:23]
	s_cbranch_vccnz .LBB16_153
	s_branch .LBB16_154
.LBB16_152:                             ;   in Loop: Header=BB16_132 Depth=1
	s_mov_b64 s[14:15], 0
                                        ; implicit-def: $sgpr16_sgpr17
                                        ; implicit-def: $vgpr48_vgpr49
                                        ; implicit-def: $vgpr44_vgpr45
                                        ; implicit-def: $vgpr36_vgpr37
	s_cbranch_execz .LBB16_154
.LBB16_153:                             ;   in Loop: Header=BB16_132 Depth=1
	s_waitcnt vmcnt(0)
	v_lshl_add_u64 v[42:43], v[192:193], 0, v[168:169]
	v_lshl_add_u64 v[46:47], v[196:197], 0, v[168:169]
	global_load_dwordx4 v[34:37], v[50:51], off offset:-8
	s_or_b64 s[14:15], s[14:15], exec
	global_load_dwordx4 v[42:45], v[42:43], off offset:-8
                                        ; implicit-def: $sgpr16_sgpr17
	s_nop 0
	global_load_dwordx4 v[46:49], v[46:47], off offset:-8
.LBB16_154:                             ;   in Loop: Header=BB16_132 Depth=1
	v_mov_b64_e32 v[50:51], s[16:17]
	v_mov_b64_e32 v[52:53], s[16:17]
	s_and_saveexec_b64 s[16:17], s[14:15]
	s_cbranch_execz .LBB16_156
; %bb.155:                              ;   in Loop: Header=BB16_132 Depth=1
	v_lshl_add_u64 v[50:51], v[200:201], 0, v[168:169]
	global_load_dwordx4 v[50:53], v[50:51], off offset:-8
.LBB16_156:                             ;   in Loop: Header=BB16_132 Depth=1
	s_or_b64 exec, exec, s[16:17]
	ds_read_b128 v[66:69], v208
	ds_read_b128 v[54:57], v215 offset:256
	s_and_b64 vcc, exec, s[4:5]
	v_lshl_add_u64 v[90:91], v[202:203], 0, v[168:169]
	s_waitcnt vmcnt(0) lgkmcnt(1)
	v_mul_f64 v[58:59], v[36:37], v[68:69]
	v_mul_f64 v[60:61], v[36:37], v[66:67]
	;; [unrolled: 1-line block ×3, first 2 shown]
	v_fmac_f64_e32 v[58:59], v[34:35], v[66:67]
	v_fma_f64 v[60:61], v[34:35], v[68:69], -v[60:61]
	v_mul_f64 v[64:65], v[44:45], v[66:67]
	ds_write_b128 v216, v[58:61]
	v_fmac_f64_e32 v[62:63], v[42:43], v[66:67]
	v_fma_f64 v[64:65], v[42:43], v[68:69], -v[64:65]
	v_mul_f64 v[70:71], v[48:49], v[68:69]
	v_mul_f64 v[72:73], v[48:49], v[66:67]
	ds_read_b128 v[58:61], v215 offset:272
	ds_write_b128 v216, v[62:65] offset:1072
	v_fmac_f64_e32 v[70:71], v[46:47], v[66:67]
	v_fma_f64 v[72:73], v[46:47], v[68:69], -v[72:73]
	ds_read_b128 v[62:65], v215 offset:288
	ds_write_b128 v216, v[70:73] offset:2144
	v_mul_f64 v[70:71], v[52:53], v[68:69]
	v_fmac_f64_e32 v[70:71], v[50:51], v[66:67]
	v_mul_f64 v[66:67], v[52:53], v[66:67]
	v_fma_f64 v[72:73], v[50:51], v[68:69], -v[66:67]
	ds_read_b128 v[74:77], v215 offset:304
	ds_write_b128 v216, v[70:73] offset:3216
	s_waitcnt lgkmcnt(0)
	s_barrier
	ds_read_b128 v[146:149], v211
	ds_read_b128 v[142:145], v211 offset:16
	ds_read_b128 v[138:141], v211 offset:32
	ds_read_b128 v[134:137], v211 offset:48
	s_waitcnt lgkmcnt(0)
	s_barrier
	s_cbranch_vccnz .LBB16_164
; %bb.157:                              ;   in Loop: Header=BB16_132 Depth=1
	v_mov_b64_e32 v[70:71], 0
	v_cmp_gt_i32_e32 vcc, s26, v221
	v_mov_b64_e32 v[66:67], v[70:71]
	v_mov_b64_e32 v[68:69], v[70:71]
	s_and_saveexec_b64 s[14:15], vcc
	s_cbranch_execz .LBB16_159
; %bb.158:                              ;   in Loop: Header=BB16_132 Depth=1
	global_load_dwordx4 v[66:69], v[90:91], off offset:-8
.LBB16_159:                             ;   in Loop: Header=BB16_132 Depth=1
	s_or_b64 exec, exec, s[14:15]
	v_cmp_gt_i32_e32 vcc, s26, v222
	v_mov_b64_e32 v[72:73], v[70:71]
	s_and_saveexec_b64 s[14:15], vcc
	s_cbranch_execz .LBB16_161
; %bb.160:                              ;   in Loop: Header=BB16_132 Depth=1
	v_lshl_add_u64 v[70:71], v[198:199], 0, v[168:169]
	global_load_dwordx4 v[70:73], v[70:71], off
.LBB16_161:                             ;   in Loop: Header=BB16_132 Depth=1
	s_or_b64 exec, exec, s[14:15]
	v_mov_b64_e32 v[78:79], 0
	v_cmp_gt_i32_e32 vcc, s26, v223
	s_mov_b64 s[22:23], 0
	v_mov_b64_e32 v[80:81], v[78:79]
	s_and_saveexec_b64 s[14:15], vcc
	s_cbranch_execz .LBB16_163
; %bb.162:                              ;   in Loop: Header=BB16_132 Depth=1
	v_lshl_add_u64 v[78:79], v[194:195], 0, v[168:169]
	global_load_dwordx4 v[78:81], v[78:79], off
.LBB16_163:                             ;   in Loop: Header=BB16_132 Depth=1
	s_or_b64 exec, exec, s[14:15]
	v_cmp_gt_i32_e64 s[14:15], s26, v224
	s_mov_b64 s[16:17], 0
	s_and_b64 vcc, exec, s[22:23]
	s_cbranch_vccnz .LBB16_165
	s_branch .LBB16_166
.LBB16_164:                             ;   in Loop: Header=BB16_132 Depth=1
	s_mov_b64 s[14:15], 0
                                        ; implicit-def: $sgpr16_sgpr17
                                        ; implicit-def: $vgpr80_vgpr81
                                        ; implicit-def: $vgpr72_vgpr73
                                        ; implicit-def: $vgpr68_vgpr69
	s_cbranch_execz .LBB16_166
.LBB16_165:                             ;   in Loop: Header=BB16_132 Depth=1
	s_waitcnt vmcnt(0)
	v_lshl_add_u64 v[70:71], v[198:199], 0, v[168:169]
	v_lshl_add_u64 v[78:79], v[194:195], 0, v[168:169]
	global_load_dwordx4 v[66:69], v[90:91], off offset:-8
	s_or_b64 s[14:15], s[14:15], exec
	global_load_dwordx4 v[70:73], v[70:71], off
                                        ; implicit-def: $sgpr16_sgpr17
	s_nop 0
	global_load_dwordx4 v[78:81], v[78:79], off
.LBB16_166:                             ;   in Loop: Header=BB16_132 Depth=1
	v_mov_b64_e32 v[90:91], s[16:17]
	v_mov_b64_e32 v[92:93], s[16:17]
	s_and_saveexec_b64 s[16:17], s[14:15]
	s_cbranch_execz .LBB16_168
; %bb.167:                              ;   in Loop: Header=BB16_132 Depth=1
	v_lshl_add_u64 v[90:91], v[190:191], 0, v[168:169]
	global_load_dwordx4 v[90:93], v[90:91], off
.LBB16_168:                             ;   in Loop: Header=BB16_132 Depth=1
	s_or_b64 exec, exec, s[16:17]
	ds_read_b128 v[114:117], v208
	ds_read_b128 v[102:105], v215 offset:512
	s_and_b64 vcc, exec, s[4:5]
	v_lshl_add_u64 v[130:131], v[186:187], 0, v[168:169]
	s_waitcnt vmcnt(0) lgkmcnt(1)
	v_mul_f64 v[106:107], v[68:69], v[116:117]
	v_mul_f64 v[108:109], v[68:69], v[114:115]
	;; [unrolled: 1-line block ×3, first 2 shown]
	v_fmac_f64_e32 v[106:107], v[66:67], v[114:115]
	v_fma_f64 v[108:109], v[66:67], v[116:117], -v[108:109]
	v_mul_f64 v[112:113], v[72:73], v[114:115]
	ds_write_b128 v216, v[106:109]
	v_fmac_f64_e32 v[110:111], v[70:71], v[114:115]
	v_fma_f64 v[112:113], v[70:71], v[116:117], -v[112:113]
	v_mul_f64 v[118:119], v[80:81], v[116:117]
	v_mul_f64 v[120:121], v[80:81], v[114:115]
	;; [unrolled: 1-line block ×3, first 2 shown]
	ds_read_b128 v[106:109], v215 offset:528
	ds_write_b128 v216, v[110:113] offset:1072
	v_fmac_f64_e32 v[118:119], v[78:79], v[114:115]
	v_fma_f64 v[120:121], v[78:79], v[116:117], -v[120:121]
	v_fmac_f64_e32 v[122:123], v[90:91], v[114:115]
	v_mul_f64 v[114:115], v[92:93], v[114:115]
	ds_read_b128 v[110:113], v215 offset:544
	ds_write_b128 v216, v[118:121] offset:2144
	v_fma_f64 v[124:125], v[90:91], v[116:117], -v[114:115]
	ds_read_b128 v[118:121], v215 offset:560
	ds_write_b128 v216, v[122:125] offset:3216
	s_waitcnt lgkmcnt(0)
	s_barrier
	ds_read_b128 v[162:165], v211
	ds_read_b128 v[158:161], v211 offset:16
	ds_read_b128 v[154:157], v211 offset:32
	;; [unrolled: 1-line block ×3, first 2 shown]
	s_waitcnt lgkmcnt(0)
	s_barrier
	s_cbranch_vccnz .LBB16_176
; %bb.169:                              ;   in Loop: Header=BB16_132 Depth=1
	v_mov_b64_e32 v[122:123], 0
	v_cmp_gt_i32_e32 vcc, s26, v225
	v_mov_b64_e32 v[114:115], v[122:123]
	v_mov_b64_e32 v[116:117], v[122:123]
	s_and_saveexec_b64 s[4:5], vcc
	s_cbranch_execz .LBB16_171
; %bb.170:                              ;   in Loop: Header=BB16_132 Depth=1
	global_load_dwordx4 v[114:117], v[130:131], off
.LBB16_171:                             ;   in Loop: Header=BB16_132 Depth=1
	s_or_b64 exec, exec, s[4:5]
	v_cmp_gt_i32_e32 vcc, s26, v226
	v_mov_b64_e32 v[124:125], v[122:123]
	s_and_saveexec_b64 s[4:5], vcc
	s_cbranch_execz .LBB16_173
; %bb.172:                              ;   in Loop: Header=BB16_132 Depth=1
	v_lshl_add_u64 v[122:123], v[182:183], 0, v[168:169]
	global_load_dwordx4 v[122:125], v[122:123], off
.LBB16_173:                             ;   in Loop: Header=BB16_132 Depth=1
	s_or_b64 exec, exec, s[4:5]
	v_mov_b64_e32 v[126:127], 0
	v_cmp_gt_i32_e32 vcc, s26, v227
	s_mov_b64 s[16:17], 0
	v_mov_b64_e32 v[128:129], v[126:127]
	s_and_saveexec_b64 s[4:5], vcc
	s_cbranch_execz .LBB16_175
; %bb.174:                              ;   in Loop: Header=BB16_132 Depth=1
	v_lshl_add_u64 v[126:127], v[178:179], 0, v[168:169]
	global_load_dwordx4 v[126:129], v[126:127], off
.LBB16_175:                             ;   in Loop: Header=BB16_132 Depth=1
	s_or_b64 exec, exec, s[4:5]
	v_cmp_gt_i32_e64 s[4:5], s26, v228
	s_mov_b64 s[14:15], 0
	s_and_b64 vcc, exec, s[16:17]
	s_cbranch_vccnz .LBB16_177
	s_branch .LBB16_178
.LBB16_176:                             ;   in Loop: Header=BB16_132 Depth=1
	s_mov_b64 s[4:5], 0
                                        ; implicit-def: $sgpr14_sgpr15
                                        ; implicit-def: $vgpr128_vgpr129
                                        ; implicit-def: $vgpr124_vgpr125
                                        ; implicit-def: $vgpr116_vgpr117
	s_cbranch_execz .LBB16_178
.LBB16_177:                             ;   in Loop: Header=BB16_132 Depth=1
	s_waitcnt vmcnt(0)
	v_lshl_add_u64 v[122:123], v[182:183], 0, v[168:169]
	v_lshl_add_u64 v[126:127], v[178:179], 0, v[168:169]
	global_load_dwordx4 v[114:117], v[130:131], off
	s_or_b64 s[4:5], s[4:5], exec
	global_load_dwordx4 v[122:125], v[122:123], off
                                        ; implicit-def: $sgpr14_sgpr15
	s_nop 0
	global_load_dwordx4 v[126:129], v[126:127], off
.LBB16_178:                             ;   in Loop: Header=BB16_132 Depth=1
	v_mov_b64_e32 v[130:131], s[14:15]
	v_mov_b64_e32 v[132:133], s[14:15]
	s_and_saveexec_b64 s[14:15], s[4:5]
	s_cbranch_execz .LBB16_180
; %bb.179:                              ;   in Loop: Header=BB16_132 Depth=1
	v_lshl_add_u64 v[130:131], v[174:175], 0, v[168:169]
	global_load_dwordx4 v[130:133], v[130:131], off
.LBB16_180:                             ;   in Loop: Header=BB16_132 Depth=1
	s_or_b64 exec, exec, s[14:15]
	v_add_f64 v[146:147], v[146:147], 0
	v_add_f64 v[148:149], v[148:149], 0
	;; [unrolled: 1-line block ×6, first 2 shown]
	ds_read_b128 v[142:145], v208
	v_add_f64 v[162:163], v[162:163], 0
	v_add_f64 v[98:99], v[98:99], 0
	;; [unrolled: 1-line block ×11, first 2 shown]
	ds_read_b128 v[86:89], v215 offset:768
	s_waitcnt vmcnt(0) lgkmcnt(1)
	v_mul_f64 v[94:95], v[116:117], v[144:145]
	v_mul_f64 v[96:97], v[116:117], v[142:143]
	v_fmac_f64_e32 v[94:95], v[114:115], v[142:143]
	v_fma_f64 v[96:97], v[114:115], v[144:145], -v[96:97]
	v_mul_f64 v[98:99], v[124:125], v[144:145]
	v_mul_f64 v[100:101], v[124:125], v[142:143]
	v_add_f64 v[138:139], v[138:139], v[134:135]
	v_add_f64 v[140:141], v[140:141], v[136:137]
	ds_write_b128 v216, v[94:97]
	v_fmac_f64_e32 v[98:99], v[122:123], v[142:143]
	v_fma_f64 v[100:101], v[122:123], v[144:145], -v[100:101]
	v_mul_f64 v[134:135], v[128:129], v[144:145]
	v_mul_f64 v[136:137], v[128:129], v[142:143]
	;; [unrolled: 1-line block ×3, first 2 shown]
	ds_read_b128 v[94:97], v215 offset:784
	ds_write_b128 v216, v[98:101] offset:1072
	v_fmac_f64_e32 v[134:135], v[126:127], v[142:143]
	v_fma_f64 v[136:137], v[126:127], v[144:145], -v[136:137]
	v_fmac_f64_e32 v[146:147], v[130:131], v[142:143]
	v_mul_f64 v[142:143], v[132:133], v[142:143]
	ds_read_b128 v[98:101], v215 offset:800
	ds_write_b128 v216, v[134:137] offset:2144
	v_fma_f64 v[148:149], v[130:131], v[144:145], -v[142:143]
	v_add_f64 v[164:165], v[164:165], 0
	ds_read_b128 v[134:137], v215 offset:816
	ds_write_b128 v216, v[146:149] offset:3216
	s_waitcnt lgkmcnt(0)
	s_barrier
	ds_read_b128 v[142:145], v211
	v_add_f64 v[160:161], v[164:165], v[160:161]
	v_add_f64 v[156:157], v[160:161], v[156:157]
	;; [unrolled: 1-line block ×4, first 2 shown]
	ds_read_b128 v[146:149], v211 offset:16
	ds_read_b128 v[154:157], v211 offset:32
	;; [unrolled: 1-line block ×3, first 2 shown]
	s_waitcnt lgkmcnt(3)
	v_add_f64 v[142:143], v[142:143], 0
	v_add_f64 v[144:145], v[144:145], 0
	v_cmp_gt_i32_e32 vcc, s26, v204
	s_waitcnt lgkmcnt(2)
	v_add_f64 v[142:143], v[142:143], v[146:147]
	v_add_f64 v[144:145], v[144:145], v[148:149]
	s_or_b64 s[4:5], s[12:13], vcc
	s_waitcnt lgkmcnt(1)
	v_add_f64 v[142:143], v[142:143], v[154:155]
	v_add_f64 v[144:145], v[144:145], v[156:157]
	s_and_b64 s[12:13], s[6:7], s[4:5]
	s_waitcnt lgkmcnt(0)
	v_add_f64 v[142:143], v[142:143], v[158:159]
	v_add_f64 v[144:145], v[144:145], v[160:161]
	s_barrier
	ds_write_b128 v230, v[82:85]
	ds_write_b128 v230, v[138:141] offset:256
	ds_write_b128 v230, v[150:153] offset:512
	;; [unrolled: 1-line block ×3, first 2 shown]
	s_waitcnt lgkmcnt(0)
	s_barrier
	s_and_saveexec_b64 s[4:5], s[12:13]
	s_cbranch_execz .LBB16_182
; %bb.181:                              ;   in Loop: Header=BB16_132 Depth=1
	ds_read_b128 v[82:85], v209
	ds_read_b128 v[138:141], v209 offset:16
	ds_read_b128 v[142:145], v209 offset:32
	;; [unrolled: 1-line block ×3, first 2 shown]
	s_waitcnt lgkmcnt(2)
	v_add_f64 v[82:83], v[138:139], v[82:83]
	v_add_f64 v[138:139], v[140:141], v[84:85]
	s_waitcnt lgkmcnt(1)
	v_add_f64 v[140:141], v[82:83], v[142:143]
	ds_read_b128 v[82:85], v209 offset:64
	v_add_f64 v[142:143], v[138:139], v[144:145]
	s_waitcnt lgkmcnt(1)
	v_add_f64 v[144:145], v[140:141], v[146:147]
	ds_read_b128 v[138:141], v209 offset:80
	;; [unrolled: 4-line block ×9, first 2 shown]
	v_add_f64 v[84:85], v[146:147], v[84:85]
	s_waitcnt lgkmcnt(1)
	v_add_f64 v[138:139], v[82:83], v[138:139]
	v_add_f64 v[146:147], v[84:85], v[140:141]
	ds_read_b128 v[82:85], v209 offset:208
	s_waitcnt lgkmcnt(1)
	v_add_f64 v[148:149], v[138:139], v[142:143]
	ds_read_b128 v[138:141], v209 offset:224
	v_add_f64 v[146:147], v[146:147], v[144:145]
	ds_read_b128 v[142:145], v210
	s_waitcnt lgkmcnt(2)
	v_add_f64 v[82:83], v[148:149], v[82:83]
	v_add_f64 v[84:85], v[146:147], v[84:85]
	s_waitcnt lgkmcnt(1)
	v_add_f64 v[82:83], v[82:83], v[138:139]
	v_add_u32_e32 v138, s21, v229
	v_add_f64 v[84:85], v[84:85], v[140:141]
	v_ashrrev_i32_e32 v139, 31, v138
	s_waitcnt lgkmcnt(0)
	v_add_f64 v[82:83], v[82:83], v[142:143]
	v_add_f64 v[84:85], v[84:85], v[144:145]
	v_lshl_add_u64 v[138:139], v[138:139], 4, s[8:9]
	global_store_dwordx4 v[138:139], v[82:85], off
.LBB16_182:                             ;   in Loop: Header=BB16_132 Depth=1
	s_or_b64 exec, exec, s[4:5]
	s_nop 0
	v_mul_f64 v[82:83], v[8:9], v[24:25]
	v_fma_f64 v[82:83], v[6:7], v[22:23], -v[82:83]
	v_mul_f64 v[6:7], v[6:7], v[24:25]
	v_mul_f64 v[24:25], v[12:13], v[28:29]
	v_add_f64 v[0:1], v[0:1], v[82:83]
	v_fma_f64 v[24:25], v[10:11], v[26:27], -v[24:25]
	v_add_f64 v[0:1], v[0:1], v[24:25]
	v_mul_f64 v[24:25], v[16:17], v[32:33]
	v_fma_f64 v[24:25], v[14:15], v[30:31], -v[24:25]
	v_add_f64 v[0:1], v[0:1], v[24:25]
	v_mul_f64 v[24:25], v[20:21], v[40:41]
	v_fmac_f64_e32 v[6:7], v[8:9], v[22:23]
	v_fma_f64 v[24:25], v[18:19], v[38:39], -v[24:25]
	v_add_f64 v[2:3], v[2:3], v[6:7]
	v_mul_f64 v[6:7], v[36:37], v[56:57]
	v_add_f64 v[0:1], v[0:1], v[24:25]
	v_fma_f64 v[6:7], v[34:35], v[54:55], -v[6:7]
	v_add_f64 v[0:1], v[0:1], v[6:7]
	v_mul_f64 v[6:7], v[44:45], v[60:61]
	v_fma_f64 v[6:7], v[42:43], v[58:59], -v[6:7]
	v_add_f64 v[0:1], v[0:1], v[6:7]
	v_mul_f64 v[6:7], v[48:49], v[64:65]
	;; [unrolled: 3-line block ×3, first 2 shown]
	v_fma_f64 v[6:7], v[50:51], v[74:75], -v[6:7]
	v_mul_f64 v[10:11], v[10:11], v[28:29]
	v_add_f64 v[0:1], v[0:1], v[6:7]
	v_mul_f64 v[6:7], v[68:69], v[104:105]
	v_mul_f64 v[14:15], v[14:15], v[32:33]
	v_fmac_f64_e32 v[10:11], v[12:13], v[26:27]
	v_fma_f64 v[6:7], v[66:67], v[102:103], -v[6:7]
	v_mul_f64 v[18:19], v[18:19], v[40:41]
	v_add_f64 v[2:3], v[2:3], v[10:11]
	v_fmac_f64_e32 v[14:15], v[16:17], v[30:31]
	v_add_f64 v[0:1], v[0:1], v[6:7]
	v_mul_f64 v[6:7], v[72:73], v[108:109]
	v_add_f64 v[2:3], v[2:3], v[14:15]
	v_fmac_f64_e32 v[18:19], v[20:21], v[38:39]
	v_mul_f64 v[8:9], v[34:35], v[56:57]
	v_fma_f64 v[6:7], v[70:71], v[106:107], -v[6:7]
	v_add_f64 v[2:3], v[2:3], v[18:19]
	v_mul_f64 v[10:11], v[42:43], v[60:61]
	v_fmac_f64_e32 v[8:9], v[36:37], v[54:55]
	v_add_f64 v[0:1], v[0:1], v[6:7]
	v_mul_f64 v[6:7], v[80:81], v[112:113]
	v_mul_f64 v[12:13], v[46:47], v[64:65]
	v_add_f64 v[2:3], v[2:3], v[8:9]
	v_fmac_f64_e32 v[10:11], v[44:45], v[58:59]
	v_fma_f64 v[6:7], v[78:79], v[110:111], -v[6:7]
	v_mul_f64 v[14:15], v[50:51], v[76:77]
	v_add_f64 v[2:3], v[2:3], v[10:11]
	v_fmac_f64_e32 v[12:13], v[48:49], v[62:63]
	v_add_f64 v[0:1], v[0:1], v[6:7]
	v_mul_f64 v[6:7], v[92:93], v[120:121]
	v_add_f64 v[2:3], v[2:3], v[12:13]
	v_fmac_f64_e32 v[14:15], v[52:53], v[74:75]
	v_mul_f64 v[8:9], v[66:67], v[104:105]
	v_fma_f64 v[6:7], v[90:91], v[118:119], -v[6:7]
	v_add_f64 v[2:3], v[2:3], v[14:15]
	v_mul_f64 v[10:11], v[70:71], v[108:109]
	v_add_f64 v[0:1], v[0:1], v[6:7]
	v_fmac_f64_e32 v[8:9], v[68:69], v[102:103]
	v_mul_f64 v[6:7], v[116:117], v[88:89]
	v_mul_f64 v[12:13], v[78:79], v[112:113]
	v_add_f64 v[2:3], v[2:3], v[8:9]
	v_fmac_f64_e32 v[10:11], v[72:73], v[106:107]
	v_fma_f64 v[6:7], v[114:115], v[86:87], -v[6:7]
	v_mul_f64 v[14:15], v[90:91], v[120:121]
	v_add_f64 v[2:3], v[2:3], v[10:11]
	v_fmac_f64_e32 v[12:13], v[80:81], v[110:111]
	v_add_f64 v[0:1], v[0:1], v[6:7]
	v_mul_f64 v[6:7], v[124:125], v[96:97]
	v_add_f64 v[2:3], v[2:3], v[12:13]
	v_fmac_f64_e32 v[14:15], v[92:93], v[118:119]
	v_mul_f64 v[8:9], v[114:115], v[88:89]
	v_fma_f64 v[6:7], v[122:123], v[94:95], -v[6:7]
	v_add_f64 v[2:3], v[2:3], v[14:15]
	v_mul_f64 v[10:11], v[122:123], v[96:97]
	v_add_f64 v[0:1], v[0:1], v[6:7]
	v_mul_f64 v[6:7], v[128:129], v[100:101]
	v_fmac_f64_e32 v[8:9], v[116:117], v[86:87]
	v_fma_f64 v[6:7], v[126:127], v[98:99], -v[6:7]
	v_mul_f64 v[12:13], v[126:127], v[100:101]
	v_fmac_f64_e32 v[10:11], v[124:125], v[94:95]
	v_add_f64 v[2:3], v[2:3], v[8:9]
	v_add_f64 v[0:1], v[0:1], v[6:7]
	v_mul_f64 v[6:7], v[132:133], v[136:137]
	v_mul_f64 v[14:15], v[130:131], v[136:137]
	v_fmac_f64_e32 v[12:13], v[128:129], v[98:99]
	v_add_f64 v[2:3], v[2:3], v[10:11]
	v_fma_f64 v[6:7], v[130:131], v[134:135], -v[6:7]
	v_fmac_f64_e32 v[14:15], v[132:133], v[134:135]
	v_add_f64 v[2:3], v[2:3], v[12:13]
	s_add_i32 s4, s2, 1
	s_add_i32 s21, s21, 64
	;; [unrolled: 1-line block ×3, first 2 shown]
	v_add_f64 v[0:1], v[0:1], v[6:7]
	v_add_f64 v[2:3], v[2:3], v[14:15]
	v_lshl_add_u64 v[172:173], v[172:173], 0, s[10:11]
	v_lshl_add_u64 v[174:175], v[174:175], 0, s[10:11]
	;; [unrolled: 1-line block ×15, first 2 shown]
	s_cmp_ge_u32 s2, s28
	v_lshl_add_u64 v[202:203], v[202:203], 0, s[10:11]
	s_barrier
	s_cbranch_scc1 .LBB16_184
; %bb.183:                              ;   in Loop: Header=BB16_132 Depth=1
	s_mov_b32 s2, s4
	s_cmp_eq_u32 s3, s2
	s_cselect_b32 s26, s29, 0
	s_and_saveexec_b64 s[4:5], s[0:1]
	s_cbranch_execnz .LBB16_128
	s_branch .LBB16_132
.LBB16_184:
	s_movk_i32 s2, 0x430
	v_cmp_gt_i32_e32 vcc, s20, v204
	v_mad_u32_u24 v4, v205, s2, v168
	s_or_b64 s[2:3], s[18:19], vcc
	s_and_b64 s[0:1], s[0:1], s[2:3]
	ds_write_b128 v4, v[0:3]
	s_waitcnt lgkmcnt(0)
	s_barrier
	s_and_saveexec_b64 s[2:3], s[0:1]
	s_cbranch_execz .LBB16_186
; %bb.185:
	ds_read_b128 v[0:3], v168 offset:1072
	ds_read_b128 v[4:7], v168
	ds_read_b128 v[8:11], v168 offset:2144
	ds_read_b128 v[12:15], v168 offset:3216
	s_waitcnt lgkmcnt(2)
	v_add_f64 v[0:1], v[0:1], v[4:5]
	v_add_f64 v[2:3], v[2:3], v[6:7]
	s_waitcnt lgkmcnt(1)
	v_add_f64 v[0:1], v[0:1], v[8:9]
	v_add_f64 v[2:3], v[2:3], v[10:11]
	;; [unrolled: 3-line block ×3, first 2 shown]
	v_lshl_add_u64 v[4:5], v[166:167], 4, s[8:9]
	global_store_dwordx4 v[4:5], v[0:3], off
.LBB16_186:
	s_endpgm
	.section	.rodata,"a",@progbits
	.p2align	6, 0x0
	.amdhsa_kernel _ZL26rocblas_hemvn_kernel_upperILb1ELi64ELi4ELi33ELi32ELi16ElPK19rocblas_complex_numIdES3_PS1_EviT6_lT7_lT5_lS6_lS7_lS5_lT8_i
		.amdhsa_group_segment_fixed_size 19200
		.amdhsa_private_segment_fixed_size 0
		.amdhsa_kernarg_size 376
		.amdhsa_user_sgpr_count 2
		.amdhsa_user_sgpr_dispatch_ptr 0
		.amdhsa_user_sgpr_queue_ptr 0
		.amdhsa_user_sgpr_kernarg_segment_ptr 1
		.amdhsa_user_sgpr_dispatch_id 0
		.amdhsa_user_sgpr_kernarg_preload_length 0
		.amdhsa_user_sgpr_kernarg_preload_offset 0
		.amdhsa_user_sgpr_private_segment_size 0
		.amdhsa_uses_dynamic_stack 0
		.amdhsa_enable_private_segment 0
		.amdhsa_system_sgpr_workgroup_id_x 1
		.amdhsa_system_sgpr_workgroup_id_y 0
		.amdhsa_system_sgpr_workgroup_id_z 1
		.amdhsa_system_sgpr_workgroup_info 0
		.amdhsa_system_vgpr_workitem_id 1
		.amdhsa_next_free_vgpr 231
		.amdhsa_next_free_sgpr 40
		.amdhsa_accum_offset 232
		.amdhsa_reserve_vcc 1
		.amdhsa_float_round_mode_32 0
		.amdhsa_float_round_mode_16_64 0
		.amdhsa_float_denorm_mode_32 3
		.amdhsa_float_denorm_mode_16_64 3
		.amdhsa_dx10_clamp 1
		.amdhsa_ieee_mode 1
		.amdhsa_fp16_overflow 0
		.amdhsa_tg_split 0
		.amdhsa_exception_fp_ieee_invalid_op 0
		.amdhsa_exception_fp_denorm_src 0
		.amdhsa_exception_fp_ieee_div_zero 0
		.amdhsa_exception_fp_ieee_overflow 0
		.amdhsa_exception_fp_ieee_underflow 0
		.amdhsa_exception_fp_ieee_inexact 0
		.amdhsa_exception_int_div_zero 0
	.end_amdhsa_kernel
	.section	.text._ZL26rocblas_hemvn_kernel_upperILb1ELi64ELi4ELi33ELi32ELi16ElPK19rocblas_complex_numIdES3_PS1_EviT6_lT7_lT5_lS6_lS7_lS5_lT8_i,"axG",@progbits,_ZL26rocblas_hemvn_kernel_upperILb1ELi64ELi4ELi33ELi32ELi16ElPK19rocblas_complex_numIdES3_PS1_EviT6_lT7_lT5_lS6_lS7_lS5_lT8_i,comdat
.Lfunc_end16:
	.size	_ZL26rocblas_hemvn_kernel_upperILb1ELi64ELi4ELi33ELi32ELi16ElPK19rocblas_complex_numIdES3_PS1_EviT6_lT7_lT5_lS6_lS7_lS5_lT8_i, .Lfunc_end16-_ZL26rocblas_hemvn_kernel_upperILb1ELi64ELi4ELi33ELi32ELi16ElPK19rocblas_complex_numIdES3_PS1_EviT6_lT7_lT5_lS6_lS7_lS5_lT8_i
                                        ; -- End function
	.section	.AMDGPU.csdata,"",@progbits
; Kernel info:
; codeLenInByte = 11104
; NumSgprs: 46
; NumVgprs: 231
; NumAgprs: 0
; TotalNumVgprs: 231
; ScratchSize: 0
; MemoryBound: 1
; FloatMode: 240
; IeeeMode: 1
; LDSByteSize: 19200 bytes/workgroup (compile time only)
; SGPRBlocks: 5
; VGPRBlocks: 28
; NumSGPRsForWavesPerEU: 46
; NumVGPRsForWavesPerEU: 231
; AccumOffset: 232
; Occupancy: 2
; WaveLimiterHint : 0
; COMPUTE_PGM_RSRC2:SCRATCH_EN: 0
; COMPUTE_PGM_RSRC2:USER_SGPR: 2
; COMPUTE_PGM_RSRC2:TRAP_HANDLER: 0
; COMPUTE_PGM_RSRC2:TGID_X_EN: 1
; COMPUTE_PGM_RSRC2:TGID_Y_EN: 0
; COMPUTE_PGM_RSRC2:TGID_Z_EN: 1
; COMPUTE_PGM_RSRC2:TIDIG_COMP_CNT: 1
; COMPUTE_PGM_RSRC3_GFX90A:ACCUM_OFFSET: 57
; COMPUTE_PGM_RSRC3_GFX90A:TG_SPLIT: 0
	.section	.text._ZL36rocblas_hemvn_kernel_upper_block_sumILi64ElPK19rocblas_complex_numIdEPS1_S1_EviT1_lS5_lT2_lT0_lPT3_i,"axG",@progbits,_ZL36rocblas_hemvn_kernel_upper_block_sumILi64ElPK19rocblas_complex_numIdEPS1_S1_EviT1_lS5_lT2_lT0_lPT3_i,comdat
	.globl	_ZL36rocblas_hemvn_kernel_upper_block_sumILi64ElPK19rocblas_complex_numIdEPS1_S1_EviT1_lS5_lT2_lT0_lPT3_i ; -- Begin function _ZL36rocblas_hemvn_kernel_upper_block_sumILi64ElPK19rocblas_complex_numIdEPS1_S1_EviT1_lS5_lT2_lT0_lPT3_i
	.p2align	8
	.type	_ZL36rocblas_hemvn_kernel_upper_block_sumILi64ElPK19rocblas_complex_numIdEPS1_S1_EviT1_lS5_lT2_lT0_lPT3_i,@function
_ZL36rocblas_hemvn_kernel_upper_block_sumILi64ElPK19rocblas_complex_numIdEPS1_S1_EviT1_lS5_lT2_lT0_lPT3_i: ; @_ZL36rocblas_hemvn_kernel_upper_block_sumILi64ElPK19rocblas_complex_numIdEPS1_S1_EviT1_lS5_lT2_lT0_lPT3_i
; %bb.0:
	s_load_dwordx8 s[4:11], s[0:1], 0x8
	s_waitcnt lgkmcnt(0)
	s_mul_i32 s7, s3, s7
	s_mul_hi_u32 s12, s3, s6
	s_add_i32 s7, s12, s7
	s_mul_i32 s6, s3, s6
	s_lshl_b64 s[6:7], s[6:7], 4
	s_add_u32 s4, s4, s6
	s_addc_u32 s5, s5, s7
	s_load_dwordx4 s[16:19], s[4:5], 0x0
	s_mul_i32 s4, s3, s11
	s_mul_hi_u32 s5, s3, s10
	s_add_i32 s5, s5, s4
	s_mul_i32 s4, s3, s10
	s_lshl_b64 s[4:5], s[4:5], 4
	s_add_u32 s4, s8, s4
	s_addc_u32 s5, s9, s5
	s_load_dwordx4 s[12:15], s[4:5], 0x0
	s_waitcnt lgkmcnt(0)
	v_cmp_neq_f64_e64 s[4:5], s[16:17], 0
	v_cmp_neq_f64_e64 s[6:7], s[18:19], 0
	s_or_b64 s[20:21], s[4:5], s[6:7]
	s_mov_b64 s[4:5], -1
	s_and_b64 vcc, exec, s[20:21]
	s_cbranch_vccnz .LBB17_2
; %bb.1:
	v_cmp_neq_f64_e64 s[4:5], s[12:13], 1.0
	v_cmp_neq_f64_e64 s[6:7], s[14:15], 0
	s_or_b64 s[4:5], s[4:5], s[6:7]
.LBB17_2:
	s_andn2_b64 vcc, exec, s[4:5]
	s_cbranch_vccnz .LBB17_22
; %bb.3:
	s_load_dwordx8 s[4:11], s[0:1], 0x30
	s_load_dwordx2 s[24:25], s[0:1], 0x28
	s_load_dword s22, s[0:1], 0x0
	s_xor_b64 s[20:21], s[20:21], -1
	v_lshl_or_b32 v4, s2, 6, v0
	s_waitcnt lgkmcnt(0)
	s_mul_i32 s9, s3, s9
	s_mul_hi_u32 s23, s3, s8
	s_mul_i32 s8, s3, s8
	s_add_i32 s9, s23, s9
	s_lshl_b64 s[8:9], s[8:9], 4
	s_add_u32 s8, s24, s8
	s_addc_u32 s9, s25, s9
	s_lshl_b64 s[4:5], s[4:5], 4
	s_add_u32 s8, s8, s4
	s_addc_u32 s9, s9, s5
	s_andn2_b64 vcc, exec, s[20:21]
	v_cmp_gt_i32_e64 s[4:5], s22, v4
	s_cbranch_vccnz .LBB17_8
; %bb.4:
	s_mov_b64 s[24:25], 0
	s_mov_b64 s[20:21], 0
                                        ; implicit-def: $vgpr2_vgpr3
                                        ; implicit-def: $vgpr6_vgpr7
	s_and_saveexec_b64 s[26:27], s[4:5]
	s_cbranch_execz .LBB17_9
; %bb.5:
	v_cmp_neq_f64_e64 s[4:5], s[12:13], 0
	v_cmp_neq_f64_e64 s[20:21], s[14:15], 0
	v_ashrrev_i32_e32 v0, 31, v4
	v_mov_b64_e32 v[2:3], 0
	v_mul_lo_u32 v1, v4, s7
	v_mul_lo_u32 v0, v0, s6
	v_mad_u64_u32 v[6:7], s[28:29], v4, s6, 0
	s_or_b64 s[4:5], s[4:5], s[20:21]
	v_add3_u32 v7, v7, v1, v0
	s_andn2_b64 vcc, exec, s[4:5]
	v_mov_b64_e32 v[0:1], v[2:3]
	s_cbranch_vccnz .LBB17_7
; %bb.6:
	v_lshl_add_u64 v[0:1], v[6:7], 4, s[8:9]
	global_load_dwordx4 v[8:11], v[0:1], off
	s_waitcnt vmcnt(0)
	v_mul_f64 v[0:1], s[14:15], v[10:11]
	v_mul_f64 v[2:3], s[12:13], v[10:11]
	v_fma_f64 v[0:1], s[12:13], v[8:9], -v[0:1]
	v_fmac_f64_e32 v[2:3], s[14:15], v[8:9]
.LBB17_7:
	s_mov_b64 s[20:21], exec
	s_or_b64 exec, exec, s[26:27]
	s_and_b64 vcc, exec, s[24:25]
	s_cbranch_vccnz .LBB17_10
	s_branch .LBB17_20
.LBB17_8:
	s_mov_b64 s[20:21], 0
                                        ; implicit-def: $vgpr2_vgpr3
                                        ; implicit-def: $vgpr6_vgpr7
	s_cbranch_execnz .LBB17_10
	s_branch .LBB17_20
.LBB17_9:
	s_or_b64 exec, exec, s[26:27]
	s_and_b64 vcc, exec, s[24:25]
	s_cbranch_vccz .LBB17_20
.LBB17_10:
	v_cmp_gt_i32_e32 vcc, s22, v4
                                        ; implicit-def: $vgpr2_vgpr3
                                        ; implicit-def: $vgpr6_vgpr7
	s_and_saveexec_b64 s[4:5], vcc
	s_cbranch_execz .LBB17_19
; %bb.11:
	v_mov_b64_e32 v[0:1], 0
	v_ashrrev_i32_e32 v5, 31, v4
	s_cmp_lt_i32 s2, 0
	v_mov_b64_e32 v[6:7], v[0:1]
	s_cbranch_scc1 .LBB17_14
; %bb.12:
	s_load_dword s0, s[0:1], 0x58
	s_ashr_i32 s23, s22, 31
	s_mul_hi_u32 s1, s22, s3
	s_mul_i32 s24, s23, s3
	s_add_i32 s1, s1, s24
	s_mul_i32 s3, s22, s3
	s_waitcnt lgkmcnt(0)
	s_mul_i32 s1, s1, s0
	s_mul_hi_u32 s24, s3, s0
	s_add_i32 s1, s24, s1
	s_mul_i32 s0, s3, s0
	s_add_i32 s2, s2, 1
	s_lshl_b64 s[0:1], s[0:1], 4
	s_add_u32 s0, s10, s0
	s_addc_u32 s1, s11, s1
	v_lshl_add_u64 v[0:1], v[4:5], 4, s[0:1]
	v_lshl_add_u64 v[2:3], v[0:1], 0, 8
	v_mov_b64_e32 v[0:1], 0
	s_lshl_b64 s[0:1], s[22:23], 4
	v_mov_b64_e32 v[6:7], v[0:1]
.LBB17_13:                              ; =>This Inner Loop Header: Depth=1
	global_load_dwordx4 v[8:11], v[2:3], off offset:-8
	s_add_i32 s2, s2, -1
	v_lshl_add_u64 v[2:3], v[2:3], 0, s[0:1]
	s_cmp_eq_u32 s2, 0
	s_waitcnt vmcnt(0)
	v_add_f64 v[6:7], v[6:7], v[8:9]
	v_add_f64 v[0:1], v[0:1], v[10:11]
	s_cbranch_scc0 .LBB17_13
.LBB17_14:
	v_cmp_neq_f64_e64 s[2:3], s[12:13], 0
	v_cmp_neq_f64_e64 s[10:11], s[14:15], 0
	s_or_b64 s[2:3], s[2:3], s[10:11]
	v_mul_f64 v[8:9], s[18:19], v[0:1]
	v_mul_f64 v[2:3], s[16:17], v[0:1]
	s_mov_b64 s[0:1], 0
	s_andn2_b64 vcc, exec, s[2:3]
	v_fma_f64 v[0:1], s[16:17], v[6:7], -v[8:9]
	v_fmac_f64_e32 v[2:3], s[18:19], v[6:7]
	v_mul_lo_u32 v5, v5, s6
	v_mul_lo_u32 v8, v4, s7
	s_cbranch_vccz .LBB17_16
; %bb.15:
	v_mad_u64_u32 v[6:7], s[2:3], v4, s6, 0
	v_add3_u32 v7, v7, v8, v5
	s_andn2_b64 vcc, exec, s[0:1]
	s_cbranch_vccz .LBB17_17
	s_branch .LBB17_18
.LBB17_16:
                                        ; implicit-def: $vgpr6_vgpr7
.LBB17_17:
	v_mad_u64_u32 v[6:7], s[0:1], v4, s6, 0
	v_add3_u32 v7, v7, v8, v5
	v_lshl_add_u64 v[4:5], v[6:7], 4, s[8:9]
	global_load_dwordx4 v[8:11], v[4:5], off
	s_waitcnt vmcnt(0)
	v_mul_f64 v[4:5], s[14:15], v[10:11]
	v_mul_f64 v[10:11], s[12:13], v[10:11]
	v_fma_f64 v[4:5], s[12:13], v[8:9], -v[4:5]
	v_fmac_f64_e32 v[10:11], s[14:15], v[8:9]
	v_add_f64 v[0:1], v[0:1], v[4:5]
	v_add_f64 v[2:3], v[2:3], v[10:11]
.LBB17_18:
	s_or_b64 s[20:21], s[20:21], exec
.LBB17_19:
	s_or_b64 exec, exec, s[4:5]
.LBB17_20:
	s_and_saveexec_b64 s[0:1], s[20:21]
	s_cbranch_execz .LBB17_22
; %bb.21:
	v_lshl_add_u64 v[4:5], v[6:7], 4, s[8:9]
	global_store_dwordx4 v[4:5], v[0:3], off
.LBB17_22:
	s_endpgm
	.section	.rodata,"a",@progbits
	.p2align	6, 0x0
	.amdhsa_kernel _ZL36rocblas_hemvn_kernel_upper_block_sumILi64ElPK19rocblas_complex_numIdEPS1_S1_EviT1_lS5_lT2_lT0_lPT3_i
		.amdhsa_group_segment_fixed_size 0
		.amdhsa_private_segment_fixed_size 0
		.amdhsa_kernarg_size 344
		.amdhsa_user_sgpr_count 2
		.amdhsa_user_sgpr_dispatch_ptr 0
		.amdhsa_user_sgpr_queue_ptr 0
		.amdhsa_user_sgpr_kernarg_segment_ptr 1
		.amdhsa_user_sgpr_dispatch_id 0
		.amdhsa_user_sgpr_kernarg_preload_length 0
		.amdhsa_user_sgpr_kernarg_preload_offset 0
		.amdhsa_user_sgpr_private_segment_size 0
		.amdhsa_uses_dynamic_stack 0
		.amdhsa_enable_private_segment 0
		.amdhsa_system_sgpr_workgroup_id_x 1
		.amdhsa_system_sgpr_workgroup_id_y 0
		.amdhsa_system_sgpr_workgroup_id_z 1
		.amdhsa_system_sgpr_workgroup_info 0
		.amdhsa_system_vgpr_workitem_id 0
		.amdhsa_next_free_vgpr 12
		.amdhsa_next_free_sgpr 30
		.amdhsa_accum_offset 12
		.amdhsa_reserve_vcc 1
		.amdhsa_float_round_mode_32 0
		.amdhsa_float_round_mode_16_64 0
		.amdhsa_float_denorm_mode_32 3
		.amdhsa_float_denorm_mode_16_64 3
		.amdhsa_dx10_clamp 1
		.amdhsa_ieee_mode 1
		.amdhsa_fp16_overflow 0
		.amdhsa_tg_split 0
		.amdhsa_exception_fp_ieee_invalid_op 0
		.amdhsa_exception_fp_denorm_src 0
		.amdhsa_exception_fp_ieee_div_zero 0
		.amdhsa_exception_fp_ieee_overflow 0
		.amdhsa_exception_fp_ieee_underflow 0
		.amdhsa_exception_fp_ieee_inexact 0
		.amdhsa_exception_int_div_zero 0
	.end_amdhsa_kernel
	.section	.text._ZL36rocblas_hemvn_kernel_upper_block_sumILi64ElPK19rocblas_complex_numIdEPS1_S1_EviT1_lS5_lT2_lT0_lPT3_i,"axG",@progbits,_ZL36rocblas_hemvn_kernel_upper_block_sumILi64ElPK19rocblas_complex_numIdEPS1_S1_EviT1_lS5_lT2_lT0_lPT3_i,comdat
.Lfunc_end17:
	.size	_ZL36rocblas_hemvn_kernel_upper_block_sumILi64ElPK19rocblas_complex_numIdEPS1_S1_EviT1_lS5_lT2_lT0_lPT3_i, .Lfunc_end17-_ZL36rocblas_hemvn_kernel_upper_block_sumILi64ElPK19rocblas_complex_numIdEPS1_S1_EviT1_lS5_lT2_lT0_lPT3_i
                                        ; -- End function
	.section	.AMDGPU.csdata,"",@progbits
; Kernel info:
; codeLenInByte = 816
; NumSgprs: 36
; NumVgprs: 12
; NumAgprs: 0
; TotalNumVgprs: 12
; ScratchSize: 0
; MemoryBound: 0
; FloatMode: 240
; IeeeMode: 1
; LDSByteSize: 0 bytes/workgroup (compile time only)
; SGPRBlocks: 4
; VGPRBlocks: 1
; NumSGPRsForWavesPerEU: 36
; NumVGPRsForWavesPerEU: 12
; AccumOffset: 12
; Occupancy: 8
; WaveLimiterHint : 0
; COMPUTE_PGM_RSRC2:SCRATCH_EN: 0
; COMPUTE_PGM_RSRC2:USER_SGPR: 2
; COMPUTE_PGM_RSRC2:TRAP_HANDLER: 0
; COMPUTE_PGM_RSRC2:TGID_X_EN: 1
; COMPUTE_PGM_RSRC2:TGID_Y_EN: 0
; COMPUTE_PGM_RSRC2:TGID_Z_EN: 1
; COMPUTE_PGM_RSRC2:TIDIG_COMP_CNT: 0
; COMPUTE_PGM_RSRC3_GFX90A:ACCUM_OFFSET: 2
; COMPUTE_PGM_RSRC3_GFX90A:TG_SPLIT: 0
	.section	.text._ZL26rocblas_hemvn_kernel_upperILb1ELi64ELi4ELi33ELi32ELi16EiPK19rocblas_complex_numIdES3_PS1_EviT6_lT7_lT5_lS6_lS7_lS5_lT8_i,"axG",@progbits,_ZL26rocblas_hemvn_kernel_upperILb1ELi64ELi4ELi33ELi32ELi16EiPK19rocblas_complex_numIdES3_PS1_EviT6_lT7_lT5_lS6_lS7_lS5_lT8_i,comdat
	.globl	_ZL26rocblas_hemvn_kernel_upperILb1ELi64ELi4ELi33ELi32ELi16EiPK19rocblas_complex_numIdES3_PS1_EviT6_lT7_lT5_lS6_lS7_lS5_lT8_i ; -- Begin function _ZL26rocblas_hemvn_kernel_upperILb1ELi64ELi4ELi33ELi32ELi16EiPK19rocblas_complex_numIdES3_PS1_EviT6_lT7_lT5_lS6_lS7_lS5_lT8_i
	.p2align	8
	.type	_ZL26rocblas_hemvn_kernel_upperILb1ELi64ELi4ELi33ELi32ELi16EiPK19rocblas_complex_numIdES3_PS1_EviT6_lT7_lT5_lS6_lS7_lS5_lT8_i,@function
_ZL26rocblas_hemvn_kernel_upperILb1ELi64ELi4ELi33ELi32ELi16EiPK19rocblas_complex_numIdES3_PS1_EviT6_lT7_lT5_lS6_lS7_lS5_lT8_i: ; @_ZL26rocblas_hemvn_kernel_upperILb1ELi64ELi4ELi33ELi32ELi16EiPK19rocblas_complex_numIdES3_PS1_EviT6_lT7_lT5_lS6_lS7_lS5_lT8_i
; %bb.0:
	s_load_dwordx2 s[4:5], s[0:1], 0x84
	s_add_u32 s20, s0, 0x78
	s_addc_u32 s21, s1, 0
	s_waitcnt lgkmcnt(0)
	s_lshr_b32 s6, s4, 16
	s_and_b32 s4, s4, 0xffff
	s_and_b32 s5, s5, 0xffff
	s_mul_i32 s4, s6, s4
	s_mul_i32 s4, s4, s5
	s_cmpk_lg_i32 s4, 0x100
	s_cbranch_scc1 .LBB18_186
; %bb.1:
	s_load_dwordx8 s[4:11], s[0:1], 0x8
	s_waitcnt lgkmcnt(0)
	s_mul_i32 s7, s3, s7
	s_mul_hi_u32 s12, s3, s6
	s_mul_i32 s6, s3, s6
	s_add_i32 s7, s12, s7
	s_lshl_b64 s[6:7], s[6:7], 4
	s_add_u32 s22, s4, s6
	s_addc_u32 s23, s5, s7
	s_load_dwordx4 s[4:7], s[22:23], 0x0
	s_load_dwordx8 s[12:19], s[0:1], 0x50
	s_waitcnt lgkmcnt(0)
	v_cmp_neq_f64_e64 s[4:5], s[4:5], 0
	v_cmp_neq_f64_e64 s[6:7], s[6:7], 0
	s_or_b64 s[4:5], s[4:5], s[6:7]
	s_mov_b64 s[6:7], -1
	s_and_b64 vcc, exec, s[4:5]
	s_cbranch_vccnz .LBB18_3
; %bb.2:
	s_mul_i32 s6, s3, s17
	s_mul_hi_u32 s7, s3, s16
	s_add_i32 s7, s7, s6
	s_mul_i32 s6, s3, s16
	s_lshl_b64 s[6:7], s[6:7], 4
	s_add_u32 s6, s14, s6
	s_addc_u32 s7, s15, s7
	s_load_dwordx4 s[24:27], s[6:7], 0x0
	s_waitcnt lgkmcnt(0)
	v_cmp_neq_f64_e64 s[6:7], s[24:25], 1.0
	v_cmp_neq_f64_e64 s[14:15], s[26:27], 0
	s_or_b64 s[6:7], s[6:7], s[14:15]
.LBB18_3:
	s_andn2_b64 vcc, exec, s[6:7]
	s_cbranch_vccnz .LBB18_186
; %bb.4:
	s_andn2_b64 vcc, exec, s[4:5]
	s_cbranch_vccnz .LBB18_186
; %bb.5:
	s_load_dword s30, s[20:21], 0x0
	s_load_dword s34, s[0:1], 0x0
	s_load_dwordx4 s[4:7], s[0:1], 0x30
	s_load_dwordx2 s[14:15], s[0:1], 0x40
	s_load_dword s33, s[0:1], 0x48
	s_mul_i32 s13, s3, s13
	s_mul_hi_u32 s16, s3, s12
	s_add_i32 s13, s16, s13
	s_mul_i32 s12, s3, s12
	s_lshl_b64 s[12:13], s[12:13], 4
	s_waitcnt lgkmcnt(0)
	s_add_u32 s12, s6, s12
	s_addc_u32 s13, s7, s13
	s_lshl_b64 s[6:7], s[14:15], 4
	s_add_u32 s6, s12, s6
	s_addc_u32 s7, s13, s7
	s_ashr_i32 s35, s34, 31
	s_lshr_b32 s13, s35, 26
	v_and_b32_e32 v168, 0x3ff, v0
	s_lshl_b32 s22, s2, 6
	s_add_i32 s13, s34, s13
	s_andn2_b32 s13, s13, 63
	v_add_u32_e32 v166, s22, v168
	v_bfe_u32 v167, v0, 10, 10
	s_add_i32 s12, s30, -1
	s_sub_i32 s31, s34, s13
	v_mul_lo_u32 v0, v166, s33
	s_cmp_eq_u32 s2, s12
	v_ashrrev_i32_e32 v1, 31, v0
	s_cselect_b32 s16, s31, 0
	v_lshl_add_u64 v[36:37], v[0:1], 4, s[6:7]
	v_cmp_eq_u32_e64 s[12:13], 0, v167
	s_and_saveexec_b64 s[6:7], s[12:13]
	s_cbranch_execz .LBB18_10
; %bb.6:
	s_cmp_lg_u32 s16, 0
	s_cselect_b64 s[14:15], -1, 0
	v_cmp_le_i32_e32 vcc, s16, v168
	v_mov_b32_e32 v0, 0x4700
	s_and_b64 s[14:15], s[14:15], vcc
	v_lshl_add_u32 v0, v168, 4, v0
	s_and_saveexec_b64 s[20:21], s[14:15]
	s_xor_b64 s[14:15], exec, s[20:21]
	s_cbranch_execz .LBB18_8
; %bb.7:
	v_mov_b32_e32 v2, 0
	v_mov_b32_e32 v3, v2
	;; [unrolled: 1-line block ×4, first 2 shown]
	ds_write_b128 v0, v[2:5]
                                        ; implicit-def: $vgpr0
.LBB18_8:
	s_andn2_saveexec_b64 s[14:15], s[14:15]
	s_cbranch_execz .LBB18_10
; %bb.9:
	global_load_dwordx4 v[2:5], v[36:37], off
	s_waitcnt vmcnt(0)
	ds_write2_b64 v0, v[2:3], v[4:5] offset1:1
.LBB18_10:
	s_or_b64 exec, exec, s[6:7]
	s_mul_i32 s5, s3, s5
	s_mul_hi_u32 s6, s3, s4
	s_add_i32 s5, s6, s5
	s_mul_i32 s4, s3, s4
	s_lshl_b64 s[4:5], s[4:5], 4
	s_add_u32 s6, s8, s4
	s_addc_u32 s7, s9, s5
	s_lshl_b64 s[4:5], s[10:11], 4
	s_load_dword s24, s[0:1], 0x28
	s_add_u32 s4, s6, s4
	s_addc_u32 s5, s7, s5
	s_ashr_i32 s23, s22, 31
	v_lshl_add_u32 v42, v167, 6, v168
	s_lshl_b64 s[0:1], s[22:23], 4
	v_and_b32_e32 v4, 31, v168
	v_lshrrev_b32_e32 v5, 5, v42
	s_add_u32 s4, s4, s0
	s_addc_u32 s5, s5, s1
	s_waitcnt lgkmcnt(0)
	v_mad_u64_u32 v[38:39], s[0:1], v5, s24, v[4:5]
	s_mul_i32 s0, s22, s24
	s_ashr_i32 s1, s0, 31
	s_lshl_b64 s[0:1], s[0:1], 4
	s_add_u32 s0, s0, s4
	s_addc_u32 s1, s1, s5
	s_cmp_eq_u32 s16, 0
	s_cselect_b64 s[20:21], -1, 0
	s_cmp_lg_u32 s16, 0
	v_ashrrev_i32_e32 v39, 31, v38
	s_cselect_b64 s[28:29], -1, 0
	v_lshl_add_u64 v[0:1], v[38:39], 4, s[0:1]
	s_and_b64 vcc, exec, s[28:29]
	v_cmp_gt_i32_e64 s[0:1], s16, v4
	v_lshlrev_b32_e32 v6, 4, v4
	v_mul_u32_u24_e32 v14, 33, v5
	s_cbranch_vccz .LBB18_28
; %bb.11:
	v_sub_co_u32_e32 v2, vcc, v0, v6
	s_ashr_i32 s17, s16, 31
	s_nop 0
	v_subbrev_co_u32_e32 v3, vcc, 0, v1, vcc
	v_lshl_add_u64 v[2:3], s[16:17], 4, v[2:3]
	v_lshl_add_u64 v[2:3], v[2:3], 0, -16
	v_cndmask_b32_e64 v3, v3, v1, s[0:1]
	v_cndmask_b32_e64 v2, v2, v0, s[0:1]
	v_cmp_le_i32_e32 vcc, s16, v5
	v_add_lshl_u32 v7, v14, v4, 4
	s_and_saveexec_b64 s[4:5], vcc
	s_xor_b64 s[4:5], exec, s[4:5]
	s_cbranch_execz .LBB18_13
; %bb.12:
	v_mov_b32_e32 v8, 0
	v_mov_b32_e32 v9, v8
	;; [unrolled: 1-line block ×4, first 2 shown]
	ds_write_b128 v7, v[8:11]
.LBB18_13:
	s_andn2_saveexec_b64 s[4:5], s[4:5]
	s_cbranch_execz .LBB18_15
; %bb.14:
	global_load_dwordx4 v[8:11], v[2:3], off
	s_waitcnt vmcnt(0)
	ds_write2_b64 v7, v[8:9], v[10:11] offset1:1
.LBB18_15:
	s_or_b64 exec, exec, s[4:5]
	v_add_u32_e32 v8, 8, v5
	v_cmp_le_i32_e32 vcc, s16, v8
	s_and_saveexec_b64 s[4:5], vcc
	s_xor_b64 s[4:5], exec, s[4:5]
	s_cbranch_execz .LBB18_17
; %bb.16:
	v_mul_u32_u24_e32 v8, 33, v8
	v_add_lshl_u32 v12, v8, v4, 4
	v_mov_b32_e32 v8, 0
	v_mov_b32_e32 v9, v8
	;; [unrolled: 1-line block ×4, first 2 shown]
	ds_write_b128 v12, v[8:11]
.LBB18_17:
	s_andn2_saveexec_b64 s[4:5], s[4:5]
	s_cbranch_execz .LBB18_19
; %bb.18:
	s_lshl_b32 s6, s24, 3
	s_ashr_i32 s7, s6, 31
	v_lshl_add_u64 v[8:9], s[6:7], 4, v[2:3]
	global_load_dwordx4 v[8:11], v[8:9], off
	v_add_u32_e32 v12, 0x1080, v7
	s_waitcnt vmcnt(0)
	ds_write2_b64 v12, v[8:9], v[10:11] offset1:1
.LBB18_19:
	s_or_b64 exec, exec, s[4:5]
	v_add_u32_e32 v8, 16, v5
	v_cmp_le_i32_e32 vcc, s16, v8
	s_and_saveexec_b64 s[4:5], vcc
	s_xor_b64 s[4:5], exec, s[4:5]
	s_cbranch_execz .LBB18_21
; %bb.20:
	v_mul_u32_u24_e32 v8, 33, v8
	v_add_lshl_u32 v12, v8, v4, 4
	v_mov_b32_e32 v8, 0
	v_mov_b32_e32 v9, v8
	;; [unrolled: 1-line block ×4, first 2 shown]
	ds_write_b128 v12, v[8:11]
.LBB18_21:
	s_andn2_saveexec_b64 s[4:5], s[4:5]
	s_cbranch_execz .LBB18_23
; %bb.22:
	s_lshl_b32 s6, s24, 4
	s_ashr_i32 s7, s6, 31
	v_lshl_add_u64 v[8:9], s[6:7], 4, v[2:3]
	global_load_dwordx4 v[8:11], v[8:9], off
	v_add_u32_e32 v12, 0x2100, v7
	s_waitcnt vmcnt(0)
	ds_write2_b64 v12, v[8:9], v[10:11] offset1:1
.LBB18_23:
	s_or_b64 exec, exec, s[4:5]
	v_add_u32_e32 v8, 24, v5
	v_cmp_le_i32_e32 vcc, s16, v8
	s_and_saveexec_b64 s[4:5], vcc
	s_xor_b64 s[4:5], exec, s[4:5]
	s_cbranch_execz .LBB18_25
; %bb.24:
	v_mov_b32_e32 v8, 0
	v_mov_b32_e32 v9, v8
	;; [unrolled: 1-line block ×4, first 2 shown]
	ds_write_b128 v7, v[8:11] offset:12672
                                        ; implicit-def: $vgpr7
.LBB18_25:
	s_andn2_saveexec_b64 s[4:5], s[4:5]
	s_cbranch_execz .LBB18_27
; %bb.26:
	s_mul_i32 s6, s24, 24
	s_ashr_i32 s7, s6, 31
	v_lshl_add_u64 v[8:9], s[6:7], 4, v[2:3]
	global_load_dwordx4 v[8:11], v[8:9], off
	v_add_u32_e32 v7, 0x3180, v7
	s_waitcnt vmcnt(0)
	ds_write2_b64 v7, v[8:9], v[10:11] offset1:1
.LBB18_27:
	s_or_b64 exec, exec, s[4:5]
	v_mov_b32_e32 v7, 0
	v_lshl_add_u64 v[2:3], v[2:3], 0, v[6:7]
	s_lshl_b64 s[4:5], s[16:17], 4
	v_mov_b32_e32 v7, s5
	v_subrev_co_u32_e32 v2, vcc, s4, v2
	s_nop 1
	v_subb_co_u32_e32 v3, vcc, v3, v7, vcc
	v_lshl_add_u64 v[2:3], v[2:3], 0, 16
	v_cndmask_b32_e64 v9, v3, v1, s[0:1]
	v_cndmask_b32_e64 v8, v2, v0, s[0:1]
	s_branch .LBB18_30
.LBB18_28:
                                        ; implicit-def: $vgpr8_vgpr9
	s_cbranch_execz .LBB18_30
; %bb.29:
	s_lshl_b32 s0, s24, 3
	s_ashr_i32 s1, s0, 31
	s_ashr_i32 s25, s24, 31
	v_lshl_add_u64 v[2:3], s[0:1], 4, v[0:1]
	global_load_dwordx4 v[8:11], v[0:1], off
	global_load_dwordx4 v[16:19], v[2:3], off
	s_lshl_b64 s[0:1], s[24:25], 7
	v_lshl_add_u64 v[2:3], v[2:3], 0, s[0:1]
	global_load_dwordx4 v[20:23], v[2:3], off
	v_lshl_add_u64 v[2:3], v[2:3], 0, s[0:1]
	global_load_dwordx4 v[24:27], v[2:3], off
	v_add_lshl_u32 v2, v14, v4, 4
	v_add_u32_e32 v3, 0x1080, v2
	v_add_u32_e32 v7, 0x2100, v2
	;; [unrolled: 1-line block ×3, first 2 shown]
	s_waitcnt vmcnt(3)
	ds_write2_b64 v2, v[8:9], v[10:11] offset1:1
	s_waitcnt vmcnt(2)
	ds_write2_b64 v3, v[16:17], v[18:19] offset1:1
	;; [unrolled: 2-line block ×4, first 2 shown]
	v_mov_b64_e32 v[8:9], v[0:1]
.LBB18_30:
	v_lshlrev_b32_e32 v19, 2, v5
	v_cmp_le_u32_e64 s[4:5], v19, v4
	s_waitcnt lgkmcnt(0)
	s_barrier
	s_and_saveexec_b64 s[0:1], s[4:5]
	s_xor_b64 s[0:1], exec, s[0:1]
	s_cbranch_execz .LBB18_34
; %bb.31:
	v_cmp_eq_u32_e32 vcc, v19, v4
	s_and_saveexec_b64 s[6:7], vcc
	s_cbranch_execz .LBB18_33
; %bb.32:
	v_mul_u32_u24_e32 v0, 34, v4
	v_lshlrev_b32_e32 v2, 4, v0
	v_mov_b32_e32 v0, 0
	v_mov_b32_e32 v1, v0
	ds_write_b64 v2, v[0:1] offset:8
.LBB18_33:
	s_or_b64 exec, exec, s[6:7]
.LBB18_34:
	s_or_saveexec_b64 s[0:1], s[0:1]
	v_mul_u32_u24_e32 v15, 33, v4
	v_add_lshl_u32 v17, v19, v15, 4
	s_xor_b64 exec, exec, s[0:1]
	s_cbranch_execz .LBB18_36
; %bb.35:
	v_mul_u32_u24_e32 v0, 0x84, v5
	v_add_lshl_u32 v0, v0, v4, 4
	ds_read_b128 v[0:3], v0
	s_waitcnt lgkmcnt(0)
	v_xor_b32_e32 v3, 0x80000000, v3
	ds_write_b128 v17, v[0:3]
.LBB18_36:
	s_or_b64 exec, exec, s[0:1]
	v_or_b32_e32 v18, 1, v19
	v_cmp_ge_u32_e64 s[6:7], v19, v4
	v_mul_u32_u24_e32 v0, 33, v18
	s_and_saveexec_b64 s[0:1], s[6:7]
	s_xor_b64 s[0:1], exec, s[0:1]
	s_cbranch_execz .LBB18_38
; %bb.37:
	v_add_lshl_u32 v1, v0, v4, 4
	ds_read_b128 v[10:13], v1
	s_waitcnt lgkmcnt(0)
	v_xor_b32_e32 v13, 0x80000000, v13
	ds_write_b128 v17, v[10:13] offset:16
.LBB18_38:
	s_andn2_saveexec_b64 s[0:1], s[0:1]
	s_cbranch_execz .LBB18_42
; %bb.39:
	v_cmp_eq_u32_e32 vcc, v18, v4
	s_and_saveexec_b64 s[8:9], vcc
	s_cbranch_execz .LBB18_41
; %bb.40:
	v_mul_u32_u24_e32 v1, 34, v4
	v_mov_b32_e32 v2, 0
	v_lshlrev_b32_e32 v1, 4, v1
	v_mov_b32_e32 v3, v2
	ds_write_b64 v1, v[2:3] offset:8
.LBB18_41:
	s_or_b64 exec, exec, s[8:9]
.LBB18_42:
	s_or_b64 exec, exec, s[0:1]
	v_or_b32_e32 v20, 2, v19
	v_cmp_le_u32_e64 s[8:9], v20, v4
	s_and_saveexec_b64 s[0:1], s[8:9]
	s_xor_b64 s[0:1], exec, s[0:1]
	s_cbranch_execz .LBB18_46
; %bb.43:
	v_cmp_eq_u32_e32 vcc, v20, v4
	s_and_saveexec_b64 s[10:11], vcc
	s_cbranch_execz .LBB18_45
; %bb.44:
	v_mul_u32_u24_e32 v1, 34, v4
	v_mov_b32_e32 v2, 0
	v_lshlrev_b32_e32 v1, 4, v1
	v_mov_b32_e32 v3, v2
	ds_write_b64 v1, v[2:3] offset:8
.LBB18_45:
	s_or_b64 exec, exec, s[10:11]
.LBB18_46:
	s_andn2_saveexec_b64 s[0:1], s[0:1]
	s_cbranch_execz .LBB18_48
; %bb.47:
	v_mul_u32_u24_e32 v1, 33, v20
	v_add_lshl_u32 v1, v1, v4, 4
	ds_read_b128 v[10:13], v1
	s_waitcnt lgkmcnt(0)
	v_xor_b32_e32 v13, 0x80000000, v13
	ds_write_b128 v17, v[10:13] offset:32
.LBB18_48:
	s_or_b64 exec, exec, s[0:1]
	v_or_b32_e32 v21, 3, v19
	v_cmp_le_u32_e64 s[10:11], v21, v4
	s_and_saveexec_b64 s[0:1], s[10:11]
	s_xor_b64 s[0:1], exec, s[0:1]
	s_cbranch_execz .LBB18_52
; %bb.49:
	v_cmp_eq_u32_e32 vcc, v21, v4
	s_and_saveexec_b64 s[14:15], vcc
	s_cbranch_execz .LBB18_51
; %bb.50:
	v_mul_u32_u24_e32 v1, 34, v4
	v_mov_b32_e32 v2, 0
	v_lshlrev_b32_e32 v1, 4, v1
	v_mov_b32_e32 v3, v2
	ds_write_b64 v1, v[2:3] offset:8
.LBB18_51:
	s_or_b64 exec, exec, s[14:15]
.LBB18_52:
	s_andn2_saveexec_b64 s[0:1], s[0:1]
	s_cbranch_execz .LBB18_54
; %bb.53:
	v_mul_u32_u24_e32 v1, 33, v21
	v_add_lshl_u32 v1, v1, v4, 4
	ds_read_b128 v[10:13], v1
	s_waitcnt lgkmcnt(0)
	v_xor_b32_e32 v13, 0x80000000, v13
	ds_write_b128 v17, v[10:13] offset:48
.LBB18_54:
	s_or_b64 exec, exec, s[0:1]
	v_mul_u32_u24_e32 v1, 0x84, v5
	v_lshlrev_b32_e32 v22, 4, v19
	s_waitcnt lgkmcnt(0)
	s_barrier
	v_add_lshl_u32 v16, v1, v4, 4
	ds_read_b128 v[10:13], v22 offset:18176
	ds_read_b128 v[24:27], v22 offset:18192
	ds_read_b128 v[28:31], v16
	ds_read_b128 v[32:35], v22 offset:18208
	ds_read_b128 v[46:49], v22 offset:18224
	v_add_lshl_u32 v45, v0, v4, 4
	ds_read_b128 v[0:3], v45
	s_waitcnt lgkmcnt(3)
	v_mul_f64 v[40:41], v[12:13], v[30:31]
	v_fma_f64 v[40:41], v[10:11], v[28:29], -v[40:41]
	v_mul_f64 v[10:11], v[10:11], v[30:31]
	v_fmac_f64_e32 v[10:11], v[12:13], v[28:29]
	v_add_f64 v[30:31], v[10:11], 0
	s_waitcnt lgkmcnt(0)
	v_mul_f64 v[10:11], v[26:27], v[2:3]
	v_add_f64 v[28:29], v[40:41], 0
	v_fma_f64 v[40:41], v[24:25], v[0:1], -v[10:11]
	v_mul_f64 v[2:3], v[24:25], v[2:3]
	ds_read_b128 v[10:13], v45 offset:528
	v_fmac_f64_e32 v[2:3], v[26:27], v[0:1]
	v_add_f64 v[26:27], v[30:31], v[2:3]
	ds_read_b128 v[0:3], v45 offset:1056
	v_add_f64 v[24:25], v[28:29], v[40:41]
	s_waitcnt lgkmcnt(1)
	v_mul_f64 v[28:29], v[34:35], v[12:13]
	v_fma_f64 v[28:29], v[32:33], v[10:11], -v[28:29]
	v_mul_f64 v[12:13], v[32:33], v[12:13]
	v_fmac_f64_e32 v[12:13], v[34:35], v[10:11]
	v_add_f64 v[10:11], v[24:25], v[28:29]
	s_waitcnt lgkmcnt(0)
	v_mul_f64 v[24:25], v[48:49], v[2:3]
	v_mul_f64 v[2:3], v[46:47], v[2:3]
	v_add_f64 v[12:13], v[26:27], v[12:13]
	v_fma_f64 v[24:25], v[46:47], v[0:1], -v[24:25]
	v_fmac_f64_e32 v[2:3], v[48:49], v[0:1]
	v_add_f64 v[0:1], v[10:11], v[24:25]
	v_add_f64 v[2:3], v[12:13], v[2:3]
	v_add_lshl_u32 v44, v5, v15, 4
	s_barrier
	ds_write_b128 v44, v[0:3]
	v_mov_b64_e32 v[0:1], 0
	v_cmp_gt_u32_e64 s[0:1], 32, v42
	v_lshlrev_b32_e32 v43, 4, v15
	v_mov_b64_e32 v[2:3], v[0:1]
	s_waitcnt lgkmcnt(0)
	s_barrier
	s_and_saveexec_b64 s[14:15], s[0:1]
	s_cbranch_execz .LBB18_56
; %bb.55:
	ds_read_b128 v[0:3], v43
	ds_read_b128 v[10:13], v43 offset:16
	ds_read_b128 v[24:27], v43 offset:32
	;; [unrolled: 1-line block ×3, first 2 shown]
	s_waitcnt lgkmcnt(2)
	v_add_f64 v[0:1], v[10:11], v[0:1]
	v_add_f64 v[10:11], v[12:13], v[2:3]
	s_waitcnt lgkmcnt(1)
	v_add_f64 v[12:13], v[0:1], v[24:25]
	ds_read_b128 v[0:3], v43 offset:64
	v_add_f64 v[10:11], v[10:11], v[26:27]
	s_waitcnt lgkmcnt(1)
	v_add_f64 v[24:25], v[12:13], v[28:29]
	v_add_f64 v[28:29], v[10:11], v[30:31]
	ds_read_b128 v[10:13], v43 offset:80
	s_waitcnt lgkmcnt(1)
	v_add_f64 v[30:31], v[24:25], v[0:1]
	ds_read_b128 v[24:27], v43 offset:96
	v_add_f64 v[28:29], v[28:29], v[2:3]
	ds_read_b128 v[0:3], v43 offset:112
	s_waitcnt lgkmcnt(2)
	v_add_f64 v[10:11], v[30:31], v[10:11]
	v_add_f64 v[12:13], v[28:29], v[12:13]
	s_waitcnt lgkmcnt(1)
	v_add_f64 v[10:11], v[10:11], v[24:25]
	v_add_f64 v[12:13], v[12:13], v[26:27]
	;; [unrolled: 3-line block ×3, first 2 shown]
.LBB18_56:
	s_or_b64 exec, exec, s[14:15]
	s_lshl_b32 s26, s24, 5
	s_ashr_i32 s27, s26, 31
	v_lshl_add_u64 v[12:13], s[26:27], 4, v[8:9]
	s_mov_b64 s[14:15], 0x200
	v_lshl_add_u64 v[10:11], v[12:13], 0, s[14:15]
	s_and_b64 vcc, exec, s[28:29]
	s_barrier
	s_cbranch_vccz .LBB18_74
; %bb.57:
	v_sub_co_u32_e32 v8, vcc, v10, v6
	s_ashr_i32 s17, s16, 31
	s_nop 0
	v_subbrev_co_u32_e32 v9, vcc, 0, v11, vcc
	s_movk_i32 s14, 0xfdf0
	v_or_b32_e32 v7, 32, v4
	v_lshl_add_u64 v[8:9], s[16:17], 4, v[8:9]
	s_mov_b32 s15, -1
	v_lshl_add_u64 v[8:9], v[8:9], 0, s[14:15]
	v_cmp_gt_i32_e32 vcc, s16, v7
	s_sub_i32 s23, s16, 32
	v_cmp_le_i32_e64 s[14:15], s23, v5
	v_cndmask_b32_e32 v9, v9, v11, vcc
	v_cndmask_b32_e32 v8, v8, v10, vcc
	v_add_lshl_u32 v7, v14, v4, 4
	s_and_saveexec_b64 s[36:37], s[14:15]
	s_xor_b64 s[14:15], exec, s[36:37]
	s_cbranch_execz .LBB18_59
; %bb.58:
	v_mov_b32_e32 v24, 0
	v_mov_b32_e32 v25, v24
	v_mov_b32_e32 v26, v24
	v_mov_b32_e32 v27, v24
	ds_write_b128 v7, v[24:27]
.LBB18_59:
	s_andn2_saveexec_b64 s[14:15], s[14:15]
	s_cbranch_execz .LBB18_61
; %bb.60:
	global_load_dwordx4 v[24:27], v[8:9], off
	s_waitcnt vmcnt(0)
	ds_write2_b64 v7, v[24:25], v[26:27] offset1:1
.LBB18_61:
	s_or_b64 exec, exec, s[14:15]
	v_add_u32_e32 v23, 8, v5
	v_cmp_le_i32_e64 s[14:15], s23, v23
	s_and_saveexec_b64 s[36:37], s[14:15]
	s_xor_b64 s[14:15], exec, s[36:37]
	s_cbranch_execz .LBB18_63
; %bb.62:
	v_mul_u32_u24_e32 v23, 33, v23
	v_mov_b32_e32 v24, 0
	v_add_lshl_u32 v23, v23, v4, 4
	v_mov_b32_e32 v25, v24
	v_mov_b32_e32 v26, v24
	;; [unrolled: 1-line block ×3, first 2 shown]
	ds_write_b128 v23, v[24:27]
.LBB18_63:
	s_andn2_saveexec_b64 s[14:15], s[14:15]
	s_cbranch_execz .LBB18_65
; %bb.64:
	s_lshl_b32 s36, s24, 3
	s_ashr_i32 s37, s36, 31
	v_lshl_add_u64 v[24:25], s[36:37], 4, v[8:9]
	global_load_dwordx4 v[24:27], v[24:25], off
	v_add_u32_e32 v23, 0x1080, v7
	s_waitcnt vmcnt(0)
	ds_write2_b64 v23, v[24:25], v[26:27] offset1:1
.LBB18_65:
	s_or_b64 exec, exec, s[14:15]
	v_add_u32_e32 v23, 16, v5
	v_cmp_le_i32_e64 s[14:15], s23, v23
	s_and_saveexec_b64 s[36:37], s[14:15]
	s_xor_b64 s[14:15], exec, s[36:37]
	s_cbranch_execz .LBB18_67
; %bb.66:
	v_mul_u32_u24_e32 v23, 33, v23
	v_mov_b32_e32 v24, 0
	v_add_lshl_u32 v23, v23, v4, 4
	v_mov_b32_e32 v25, v24
	v_mov_b32_e32 v26, v24
	;; [unrolled: 1-line block ×3, first 2 shown]
	ds_write_b128 v23, v[24:27]
.LBB18_67:
	s_andn2_saveexec_b64 s[14:15], s[14:15]
	s_cbranch_execz .LBB18_69
; %bb.68:
	s_lshl_b32 s36, s24, 4
	s_ashr_i32 s37, s36, 31
	v_lshl_add_u64 v[24:25], s[36:37], 4, v[8:9]
	global_load_dwordx4 v[24:27], v[24:25], off
	v_add_u32_e32 v23, 0x2100, v7
	s_waitcnt vmcnt(0)
	ds_write2_b64 v23, v[24:25], v[26:27] offset1:1
.LBB18_69:
	s_or_b64 exec, exec, s[14:15]
	v_add_u32_e32 v23, 24, v5
	v_cmp_le_i32_e64 s[14:15], s23, v23
	s_and_saveexec_b64 s[36:37], s[14:15]
	s_xor_b64 s[14:15], exec, s[36:37]
	s_cbranch_execz .LBB18_71
; %bb.70:
	v_mov_b32_e32 v24, 0
	v_mov_b32_e32 v25, v24
	;; [unrolled: 1-line block ×4, first 2 shown]
	ds_write_b128 v7, v[24:27] offset:12672
                                        ; implicit-def: $vgpr7
.LBB18_71:
	s_andn2_saveexec_b64 s[14:15], s[14:15]
	s_cbranch_execz .LBB18_73
; %bb.72:
	s_mul_i32 s36, s24, 24
	s_ashr_i32 s37, s36, 31
	v_lshl_add_u64 v[24:25], s[36:37], 4, v[8:9]
	global_load_dwordx4 v[24:27], v[24:25], off
	v_add_u32_e32 v7, 0x3180, v7
	s_waitcnt vmcnt(0)
	ds_write2_b64 v7, v[24:25], v[26:27] offset1:1
.LBB18_73:
	s_or_b64 exec, exec, s[14:15]
	v_mov_b32_e32 v7, 0
	v_lshl_add_u64 v[8:9], v[8:9], 0, v[6:7]
	s_lshl_b64 s[14:15], s[16:17], 4
	v_mov_b32_e32 v7, s15
	v_subrev_co_u32_e64 v8, s[14:15], s14, v8
	s_nop 1
	v_subb_co_u32_e64 v9, s[14:15], v9, v7, s[14:15]
	s_mov_b64 s[14:15], 0x210
	s_nop 0
	v_lshl_add_u64 v[8:9], v[8:9], 0, s[14:15]
	v_cndmask_b32_e32 v9, v9, v11, vcc
	v_cndmask_b32_e32 v8, v8, v10, vcc
	s_branch .LBB18_76
.LBB18_74:
                                        ; implicit-def: $vgpr8_vgpr9
	s_cbranch_execz .LBB18_76
; %bb.75:
	s_lshl_b32 s14, s24, 3
	s_ashr_i32 s15, s14, 31
	s_ashr_i32 s25, s24, 31
	v_lshl_add_u64 v[8:9], s[14:15], 4, v[12:13]
	s_lshl_b64 s[14:15], s[24:25], 7
	global_load_dwordx4 v[24:27], v[10:11], off
	global_load_dwordx4 v[28:31], v[8:9], off offset:512
	v_lshl_add_u64 v[8:9], v[8:9], 0, s[14:15]
	v_lshl_add_u64 v[12:13], v[8:9], 0, s[14:15]
	global_load_dwordx4 v[32:35], v[8:9], off offset:512
	global_load_dwordx4 v[46:49], v[12:13], off offset:512
	v_add_lshl_u32 v7, v14, v4, 4
	v_add_u32_e32 v8, 0x1080, v7
	v_add_u32_e32 v9, 0x2100, v7
	;; [unrolled: 1-line block ×3, first 2 shown]
	s_waitcnt vmcnt(3)
	ds_write2_b64 v7, v[24:25], v[26:27] offset1:1
	s_waitcnt vmcnt(2)
	ds_write2_b64 v8, v[28:29], v[30:31] offset1:1
	s_waitcnt vmcnt(1)
	ds_write2_b64 v9, v[32:33], v[34:35] offset1:1
	s_waitcnt vmcnt(0)
	ds_write2_b64 v12, v[46:47], v[48:49] offset1:1
	v_mov_b64_e32 v[8:9], v[10:11]
.LBB18_76:
	s_waitcnt lgkmcnt(0)
	s_barrier
	s_and_saveexec_b64 s[14:15], s[4:5]
	s_xor_b64 s[4:5], exec, s[14:15]
	s_cbranch_execnz .LBB18_105
; %bb.77:
	s_andn2_saveexec_b64 s[4:5], s[4:5]
	s_cbranch_execnz .LBB18_108
.LBB18_78:
	s_or_b64 exec, exec, s[4:5]
	s_and_saveexec_b64 s[4:5], s[6:7]
	s_xor_b64 s[4:5], exec, s[4:5]
	s_cbranch_execnz .LBB18_109
.LBB18_79:
	s_andn2_saveexec_b64 s[4:5], s[4:5]
	s_cbranch_execnz .LBB18_110
.LBB18_80:
	s_or_b64 exec, exec, s[4:5]
	s_and_saveexec_b64 s[4:5], s[8:9]
	s_xor_b64 s[4:5], exec, s[4:5]
	s_cbranch_execnz .LBB18_113
.LBB18_81:
	s_andn2_saveexec_b64 s[4:5], s[4:5]
	s_cbranch_execnz .LBB18_116
.LBB18_82:
	s_or_b64 exec, exec, s[4:5]
	s_and_saveexec_b64 s[4:5], s[10:11]
	s_xor_b64 s[4:5], exec, s[4:5]
	s_cbranch_execnz .LBB18_117
.LBB18_83:
	s_or_saveexec_b64 s[4:5], s[4:5]
	v_add_u32_e32 v18, 0x4700, v22
	s_xor_b64 exec, exec, s[4:5]
	s_cbranch_execz .LBB18_85
.LBB18_84:
	ds_read_b128 v[10:13], v45 offset:1056
	s_waitcnt lgkmcnt(0)
	v_xor_b32_e32 v13, 0x80000000, v13
	ds_write_b128 v17, v[10:13] offset:48
.LBB18_85:
	s_or_b64 exec, exec, s[4:5]
	s_waitcnt lgkmcnt(0)
	s_barrier
	ds_read_b128 v[10:13], v18 offset:512
	ds_read_b128 v[20:23], v16
	ds_read_b128 v[24:27], v18 offset:528
	ds_read_b128 v[28:31], v18 offset:544
	v_cmp_eq_u32_e64 s[4:5], 1, v5
	s_waitcnt lgkmcnt(2)
	v_mul_f64 v[32:33], v[12:13], v[22:23]
	v_fma_f64 v[40:41], v[10:11], v[20:21], -v[32:33]
	ds_read_b128 v[32:35], v18 offset:560
	ds_read_b128 v[46:49], v45
	v_mul_f64 v[10:11], v[10:11], v[22:23]
	v_fmac_f64_e32 v[10:11], v[12:13], v[20:21]
	v_add_f64 v[22:23], v[10:11], 0
	v_add_f64 v[20:21], v[40:41], 0
	s_waitcnt lgkmcnt(0)
	v_mul_f64 v[10:11], v[26:27], v[48:49]
	v_fma_f64 v[40:41], v[24:25], v[46:47], -v[10:11]
	v_mul_f64 v[24:25], v[24:25], v[48:49]
	ds_read_b128 v[10:13], v45 offset:528
	v_fmac_f64_e32 v[24:25], v[26:27], v[46:47]
	v_add_f64 v[26:27], v[20:21], v[40:41]
	v_add_f64 v[24:25], v[22:23], v[24:25]
	ds_read_b128 v[20:23], v45 offset:1056
	s_waitcnt lgkmcnt(1)
	v_mul_f64 v[40:41], v[30:31], v[12:13]
	v_mul_f64 v[12:13], v[28:29], v[12:13]
	v_fmac_f64_e32 v[12:13], v[30:31], v[10:11]
	v_fma_f64 v[40:41], v[28:29], v[10:11], -v[40:41]
	v_add_f64 v[12:13], v[24:25], v[12:13]
	s_waitcnt lgkmcnt(0)
	v_mul_f64 v[24:25], v[34:35], v[22:23]
	v_mul_f64 v[22:23], v[32:33], v[22:23]
	v_add_f64 v[10:11], v[26:27], v[40:41]
	v_fma_f64 v[24:25], v[32:33], v[20:21], -v[24:25]
	v_fmac_f64_e32 v[22:23], v[34:35], v[20:21]
	v_add_f64 v[10:11], v[10:11], v[24:25]
	v_add_f64 v[12:13], v[12:13], v[22:23]
	s_barrier
	ds_write_b128 v44, v[10:13]
	s_waitcnt lgkmcnt(0)
	s_barrier
	s_and_saveexec_b64 s[6:7], s[4:5]
	s_cbranch_execz .LBB18_87
; %bb.86:
	ds_read_b128 v[0:3], v43
	ds_read_b128 v[10:13], v43 offset:16
	ds_read_b128 v[20:23], v43 offset:32
	;; [unrolled: 1-line block ×3, first 2 shown]
	s_waitcnt lgkmcnt(2)
	v_add_f64 v[0:1], v[10:11], v[0:1]
	v_add_f64 v[10:11], v[12:13], v[2:3]
	s_waitcnt lgkmcnt(1)
	v_add_f64 v[12:13], v[0:1], v[20:21]
	ds_read_b128 v[0:3], v43 offset:64
	v_add_f64 v[10:11], v[10:11], v[22:23]
	s_waitcnt lgkmcnt(1)
	v_add_f64 v[20:21], v[12:13], v[24:25]
	v_add_f64 v[24:25], v[10:11], v[26:27]
	ds_read_b128 v[10:13], v43 offset:80
	s_waitcnt lgkmcnt(1)
	v_add_f64 v[26:27], v[20:21], v[0:1]
	ds_read_b128 v[20:23], v43 offset:96
	v_add_f64 v[24:25], v[24:25], v[2:3]
	ds_read_b128 v[0:3], v43 offset:112
	s_waitcnt lgkmcnt(2)
	v_add_f64 v[10:11], v[26:27], v[10:11]
	v_add_f64 v[12:13], v[24:25], v[12:13]
	s_waitcnt lgkmcnt(1)
	v_add_f64 v[10:11], v[10:11], v[20:21]
	v_add_f64 v[12:13], v[12:13], v[22:23]
	s_waitcnt lgkmcnt(0)
	v_add_f64 v[0:1], v[10:11], v[0:1]
	v_add_f64 v[2:3], v[12:13], v[2:3]
.LBB18_87:
	s_or_b64 exec, exec, s[6:7]
	s_movk_i32 s6, 0xfe00
	s_mov_b32 s7, -1
	v_lshl_add_u64 v[10:11], v[8:9], 0, s[6:7]
	s_and_b64 vcc, exec, s[28:29]
	s_barrier
	s_cbranch_vccz .LBB18_120
; %bb.88:
	v_sub_co_u32_e32 v12, vcc, v8, v6
	s_ashr_i32 s17, s16, 31
	s_nop 0
	v_subbrev_co_u32_e32 v13, vcc, 0, v9, vcc
	s_movk_i32 s6, 0xfdf0
	v_lshl_add_u64 v[12:13], s[16:17], 4, v[12:13]
	s_mov_b32 s7, -1
	v_lshl_add_u64 v[12:13], v[12:13], 0, s[6:7]
	v_cmp_gt_i32_e32 vcc, s16, v4
	s_sub_i32 s8, s16, 32
	v_cmp_le_i32_e64 s[6:7], s8, v5
	v_cndmask_b32_e32 v13, v13, v11, vcc
	v_cndmask_b32_e32 v12, v12, v10, vcc
	v_add_lshl_u32 v7, v14, v4, 4
	s_and_saveexec_b64 s[10:11], s[6:7]
	s_xor_b64 s[6:7], exec, s[10:11]
	s_cbranch_execz .LBB18_90
; %bb.89:
	v_mov_b32_e32 v20, 0
	v_mov_b32_e32 v21, v20
	;; [unrolled: 1-line block ×4, first 2 shown]
	ds_write_b128 v7, v[20:23]
.LBB18_90:
	s_andn2_saveexec_b64 s[6:7], s[6:7]
	s_cbranch_execz .LBB18_92
; %bb.91:
	global_load_dwordx4 v[20:23], v[12:13], off
	s_waitcnt vmcnt(0)
	ds_write2_b64 v7, v[20:21], v[22:23] offset1:1
.LBB18_92:
	s_or_b64 exec, exec, s[6:7]
	v_add_u32_e32 v17, 8, v5
	v_cmp_le_i32_e64 s[6:7], s8, v17
	s_and_saveexec_b64 s[10:11], s[6:7]
	s_xor_b64 s[6:7], exec, s[10:11]
	s_cbranch_execz .LBB18_94
; %bb.93:
	v_mul_u32_u24_e32 v19, 33, v17
	v_mov_b32_e32 v20, 0
	v_add_lshl_u32 v19, v19, v4, 4
	v_mov_b32_e32 v21, v20
	v_mov_b32_e32 v22, v20
	;; [unrolled: 1-line block ×3, first 2 shown]
	ds_write_b128 v19, v[20:23]
.LBB18_94:
	s_andn2_saveexec_b64 s[6:7], s[6:7]
	s_cbranch_execz .LBB18_96
; %bb.95:
	s_lshl_b32 s10, s24, 3
	s_ashr_i32 s11, s10, 31
	v_lshl_add_u64 v[20:21], s[10:11], 4, v[12:13]
	global_load_dwordx4 v[20:23], v[20:21], off
	v_add_u32_e32 v19, 0x1080, v7
	s_waitcnt vmcnt(0)
	ds_write2_b64 v19, v[20:21], v[22:23] offset1:1
.LBB18_96:
	s_or_b64 exec, exec, s[6:7]
	v_add_u32_e32 v19, 16, v5
	v_cmp_le_i32_e64 s[6:7], s8, v19
	s_and_saveexec_b64 s[10:11], s[6:7]
	s_xor_b64 s[6:7], exec, s[10:11]
	s_cbranch_execz .LBB18_98
; %bb.97:
	v_mul_u32_u24_e32 v20, 33, v19
	v_add_lshl_u32 v24, v20, v4, 4
	v_mov_b32_e32 v20, 0
	v_mov_b32_e32 v21, v20
	;; [unrolled: 1-line block ×4, first 2 shown]
	ds_write_b128 v24, v[20:23]
.LBB18_98:
	s_andn2_saveexec_b64 s[6:7], s[6:7]
	s_cbranch_execz .LBB18_100
; %bb.99:
	s_lshl_b32 s10, s24, 4
	s_ashr_i32 s11, s10, 31
	v_lshl_add_u64 v[20:21], s[10:11], 4, v[12:13]
	global_load_dwordx4 v[20:23], v[20:21], off
	v_add_u32_e32 v24, 0x2100, v7
	s_waitcnt vmcnt(0)
	ds_write2_b64 v24, v[20:21], v[22:23] offset1:1
.LBB18_100:
	s_or_b64 exec, exec, s[6:7]
	v_add_u32_e32 v20, 24, v5
	v_cmp_le_i32_e64 s[6:7], s8, v20
	s_and_saveexec_b64 s[8:9], s[6:7]
	s_xor_b64 s[6:7], exec, s[8:9]
	s_cbranch_execz .LBB18_102
; %bb.101:
	v_mov_b32_e32 v22, 0
	v_mov_b32_e32 v23, v22
	;; [unrolled: 1-line block ×4, first 2 shown]
	ds_write_b128 v7, v[22:25] offset:12672
                                        ; implicit-def: $vgpr7
.LBB18_102:
	s_andn2_saveexec_b64 s[6:7], s[6:7]
	s_cbranch_execz .LBB18_104
; %bb.103:
	s_mul_i32 s8, s24, 24
	s_ashr_i32 s9, s8, 31
	v_lshl_add_u64 v[22:23], s[8:9], 4, v[12:13]
	global_load_dwordx4 v[22:25], v[22:23], off
	v_add_u32_e32 v7, 0x3180, v7
	s_waitcnt vmcnt(0)
	ds_write2_b64 v7, v[22:23], v[24:25] offset1:1
.LBB18_104:
	s_or_b64 exec, exec, s[6:7]
	v_mov_b32_e32 v7, 0
	v_lshl_add_u64 v[6:7], v[12:13], 0, v[6:7]
	s_lshl_b64 s[6:7], s[16:17], 4
	v_mov_b32_e32 v12, s7
	v_subrev_co_u32_e64 v6, s[6:7], s6, v6
	s_nop 1
	v_subb_co_u32_e64 v7, s[6:7], v7, v12, s[6:7]
	v_lshl_add_u64 v[6:7], v[6:7], 0, 16
	v_cndmask_b32_e32 v41, v7, v11, vcc
	v_cndmask_b32_e32 v40, v6, v10, vcc
	s_branch .LBB18_122
.LBB18_105:
	v_cmp_eq_u32_e32 vcc, v19, v4
	s_and_saveexec_b64 s[14:15], vcc
	s_cbranch_execz .LBB18_107
; %bb.106:
	v_mul_u32_u24_e32 v7, 34, v4
	v_mov_b32_e32 v10, 0
	v_lshlrev_b32_e32 v7, 4, v7
	v_mov_b32_e32 v11, v10
	ds_write_b64 v7, v[10:11] offset:8
.LBB18_107:
	s_or_b64 exec, exec, s[14:15]
	s_andn2_saveexec_b64 s[4:5], s[4:5]
	s_cbranch_execz .LBB18_78
.LBB18_108:
	ds_read_b128 v[10:13], v16
	s_waitcnt lgkmcnt(0)
	v_xor_b32_e32 v13, 0x80000000, v13
	ds_write_b128 v17, v[10:13]
	s_or_b64 exec, exec, s[4:5]
	s_and_saveexec_b64 s[4:5], s[6:7]
	s_xor_b64 s[4:5], exec, s[4:5]
	s_cbranch_execz .LBB18_79
.LBB18_109:
	ds_read_b128 v[10:13], v45
                                        ; implicit-def: $vgpr18
	s_waitcnt lgkmcnt(0)
	v_xor_b32_e32 v13, 0x80000000, v13
	ds_write_b128 v17, v[10:13] offset:16
	s_andn2_saveexec_b64 s[4:5], s[4:5]
	s_cbranch_execz .LBB18_80
.LBB18_110:
	v_cmp_eq_u32_e32 vcc, v18, v4
	s_and_saveexec_b64 s[6:7], vcc
	s_cbranch_execz .LBB18_112
; %bb.111:
	v_mul_u32_u24_e32 v7, 34, v4
	v_mov_b32_e32 v10, 0
	v_lshlrev_b32_e32 v7, 4, v7
	v_mov_b32_e32 v11, v10
	ds_write_b64 v7, v[10:11] offset:8
.LBB18_112:
	s_or_b64 exec, exec, s[6:7]
	s_or_b64 exec, exec, s[4:5]
	s_and_saveexec_b64 s[4:5], s[8:9]
	s_xor_b64 s[4:5], exec, s[4:5]
	s_cbranch_execz .LBB18_81
.LBB18_113:
	v_cmp_eq_u32_e32 vcc, v20, v4
	s_and_saveexec_b64 s[6:7], vcc
	s_cbranch_execz .LBB18_115
; %bb.114:
	v_mul_u32_u24_e32 v7, 34, v4
	v_mov_b32_e32 v10, 0
	v_lshlrev_b32_e32 v7, 4, v7
	v_mov_b32_e32 v11, v10
	ds_write_b64 v7, v[10:11] offset:8
.LBB18_115:
	s_or_b64 exec, exec, s[6:7]
	s_andn2_saveexec_b64 s[4:5], s[4:5]
	s_cbranch_execz .LBB18_82
.LBB18_116:
	ds_read_b128 v[10:13], v45 offset:528
	s_waitcnt lgkmcnt(0)
	v_xor_b32_e32 v13, 0x80000000, v13
	ds_write_b128 v17, v[10:13] offset:32
	s_or_b64 exec, exec, s[4:5]
	s_and_saveexec_b64 s[4:5], s[10:11]
	s_xor_b64 s[4:5], exec, s[4:5]
	s_cbranch_execz .LBB18_83
.LBB18_117:
	v_cmp_eq_u32_e32 vcc, v21, v4
	s_and_saveexec_b64 s[6:7], vcc
	s_cbranch_execz .LBB18_119
; %bb.118:
	v_mul_u32_u24_e32 v7, 34, v4
	v_mov_b32_e32 v10, 0
	v_lshlrev_b32_e32 v7, 4, v7
	v_mov_b32_e32 v11, v10
	ds_write_b64 v7, v[10:11] offset:8
.LBB18_119:
	s_or_b64 exec, exec, s[6:7]
                                        ; implicit-def: $vgpr17
	s_or_saveexec_b64 s[4:5], s[4:5]
	v_add_u32_e32 v18, 0x4700, v22
	s_xor_b64 exec, exec, s[4:5]
	s_cbranch_execnz .LBB18_84
	s_branch .LBB18_85
.LBB18_120:
                                        ; implicit-def: $vgpr40_vgpr41
                                        ; implicit-def: $vgpr17
                                        ; implicit-def: $vgpr19
                                        ; implicit-def: $vgpr20
	s_cbranch_execz .LBB18_122
; %bb.121:
	s_lshl_b32 s6, s24, 3
	s_ashr_i32 s7, s6, 31
	s_ashr_i32 s25, s24, 31
	v_lshl_add_u64 v[12:13], s[6:7], 4, v[8:9]
	s_lshl_b64 s[6:7], s[24:25], 7
	global_load_dwordx4 v[6:9], v[10:11], off
	global_load_dwordx4 v[22:25], v[12:13], off offset:-512
	v_lshl_add_u64 v[12:13], v[12:13], 0, s[6:7]
	v_lshl_add_u64 v[20:21], v[12:13], 0, s[6:7]
	global_load_dwordx4 v[26:29], v[12:13], off offset:-512
	global_load_dwordx4 v[30:33], v[20:21], off offset:-512
	v_add_lshl_u32 v4, v14, v4, 4
	v_add_u32_e32 v17, 8, v5
	v_add_u32_e32 v19, 16, v5
	v_add_u32_e32 v20, 24, v5
	v_mov_b64_e32 v[40:41], v[10:11]
	v_add_u32_e32 v12, 0x1080, v4
	v_add_u32_e32 v13, 0x2100, v4
	;; [unrolled: 1-line block ×3, first 2 shown]
	s_waitcnt vmcnt(3)
	ds_write2_b64 v4, v[6:7], v[8:9] offset1:1
	s_waitcnt vmcnt(2)
	ds_write2_b64 v12, v[22:23], v[24:25] offset1:1
	;; [unrolled: 2-line block ×4, first 2 shown]
.LBB18_122:
	v_lshlrev_b32_e32 v4, 4, v5
	s_waitcnt lgkmcnt(0)
	s_barrier
	ds_read_b128 v[46:49], v44
	ds_read_b128 v[50:53], v4 offset:18176
	v_add_lshl_u32 v4, v17, v15, 4
	v_lshlrev_b32_e32 v5, 4, v17
	ds_read_b128 v[54:57], v4
	ds_read_b128 v[58:61], v5 offset:18176
	s_waitcnt lgkmcnt(2)
	v_mul_f64 v[4:5], v[48:49], v[52:53]
	v_fmac_f64_e32 v[4:5], v[46:47], v[50:51]
	v_add_f64 v[4:5], v[4:5], 0
	s_waitcnt lgkmcnt(0)
	v_mul_f64 v[6:7], v[56:57], v[60:61]
	v_fmac_f64_e32 v[6:7], v[54:55], v[58:59]
	v_add_f64 v[4:5], v[4:5], v[6:7]
	v_add_lshl_u32 v6, v19, v15, 4
	v_mul_f64 v[70:71], v[48:49], v[50:51]
	v_mul_f64 v[72:73], v[56:57], v[58:59]
	v_lshlrev_b32_e32 v7, 4, v19
	ds_read_b128 v[48:51], v6
	ds_read_b128 v[56:59], v7 offset:18176
	v_add_lshl_u32 v6, v20, v15, 4
	v_lshlrev_b32_e32 v7, 4, v20
	ds_read_b128 v[62:65], v6
	ds_read_b128 v[66:69], v7 offset:18176
	v_fma_f64 v[46:47], v[46:47], v[52:53], -v[70:71]
	s_waitcnt lgkmcnt(2)
	v_mul_f64 v[6:7], v[50:51], v[58:59]
	v_fmac_f64_e32 v[6:7], v[48:49], v[56:57]
	v_add_f64 v[4:5], v[4:5], v[6:7]
	s_waitcnt lgkmcnt(0)
	v_mul_f64 v[6:7], v[64:65], v[68:69]
	v_fmac_f64_e32 v[6:7], v[62:63], v[66:67]
	v_mul_f64 v[56:57], v[50:51], v[56:57]
	v_add_f64 v[50:51], v[4:5], v[6:7]
	ds_read_b128 v[20:23], v18 offset:528
	ds_read_b128 v[12:15], v18 offset:544
	;; [unrolled: 1-line block ×3, first 2 shown]
	ds_read_b128 v[32:35], v16
	ds_read_b128 v[4:7], v18 offset:560
	ds_read_b128 v[24:27], v45
	ds_read_b128 v[16:19], v45 offset:528
	ds_read_b128 v[8:11], v45 offset:1056
	v_add_f64 v[46:47], v[46:47], 0
	v_fma_f64 v[52:53], v[54:55], v[60:61], -v[72:73]
	v_mul_f64 v[64:65], v[64:65], v[66:67]
	v_add_f64 v[46:47], v[46:47], v[52:53]
	v_fma_f64 v[48:49], v[48:49], v[58:59], -v[56:57]
	v_add_f64 v[46:47], v[46:47], v[48:49]
	v_fma_f64 v[48:49], v[62:63], v[68:69], -v[64:65]
	v_add_f64 v[52:53], v[46:47], v[48:49]
	s_waitcnt lgkmcnt(0)
	s_barrier
	ds_write_b128 v44, v[50:53]
	s_waitcnt lgkmcnt(0)
	s_barrier
	s_and_saveexec_b64 s[6:7], s[4:5]
	s_cbranch_execz .LBB18_124
; %bb.123:
	ds_read_b128 v[46:49], v43
	ds_read_b128 v[50:53], v43 offset:16
	ds_read_b128 v[54:57], v43 offset:32
	;; [unrolled: 1-line block ×3, first 2 shown]
	s_waitcnt lgkmcnt(3)
	v_add_f64 v[0:1], v[0:1], v[46:47]
	v_add_f64 v[2:3], v[2:3], v[48:49]
	s_waitcnt lgkmcnt(2)
	v_add_f64 v[0:1], v[0:1], v[50:51]
	v_add_f64 v[46:47], v[2:3], v[52:53]
	s_waitcnt lgkmcnt(1)
	v_add_f64 v[48:49], v[0:1], v[54:55]
	ds_read_b128 v[0:3], v43 offset:64
	v_add_f64 v[46:47], v[46:47], v[56:57]
	s_waitcnt lgkmcnt(1)
	v_add_f64 v[50:51], v[48:49], v[58:59]
	v_add_f64 v[54:55], v[46:47], v[60:61]
	ds_read_b128 v[46:49], v43 offset:80
	s_waitcnt lgkmcnt(1)
	v_add_f64 v[56:57], v[50:51], v[0:1]
	ds_read_b128 v[50:53], v43 offset:96
	v_add_f64 v[54:55], v[54:55], v[2:3]
	ds_read_b128 v[0:3], v43 offset:112
	s_waitcnt lgkmcnt(2)
	v_add_f64 v[46:47], v[56:57], v[46:47]
	v_add_f64 v[48:49], v[54:55], v[48:49]
	s_waitcnt lgkmcnt(1)
	v_add_f64 v[46:47], v[46:47], v[50:51]
	v_add_f64 v[48:49], v[48:49], v[52:53]
	;; [unrolled: 3-line block ×3, first 2 shown]
.LBB18_124:
	s_or_b64 exec, exec, s[6:7]
	v_mul_f64 v[46:47], v[30:31], v[34:35]
	v_fma_f64 v[46:47], v[28:29], v[32:33], -v[46:47]
	v_mul_f64 v[28:29], v[28:29], v[34:35]
	v_fmac_f64_e32 v[28:29], v[30:31], v[32:33]
	v_mul_f64 v[32:33], v[22:23], v[26:27]
	v_fma_f64 v[32:33], v[20:21], v[24:25], -v[32:33]
	v_mul_f64 v[20:21], v[20:21], v[26:27]
	v_fmac_f64_e32 v[20:21], v[22:23], v[24:25]
	v_mul_f64 v[24:25], v[14:15], v[18:19]
	v_add_f64 v[30:31], v[46:47], 0
	v_add_f64 v[28:29], v[28:29], 0
	v_fma_f64 v[24:25], v[12:13], v[16:17], -v[24:25]
	v_mul_f64 v[12:13], v[12:13], v[18:19]
	v_add_f64 v[22:23], v[30:31], v[32:33]
	v_add_f64 v[20:21], v[28:29], v[20:21]
	v_fmac_f64_e32 v[12:13], v[14:15], v[16:17]
	v_mul_f64 v[16:17], v[6:7], v[10:11]
	v_mul_f64 v[10:11], v[4:5], v[10:11]
	v_add_f64 v[14:15], v[22:23], v[24:25]
	v_add_f64 v[12:13], v[20:21], v[12:13]
	v_fma_f64 v[16:17], v[4:5], v[8:9], -v[16:17]
	v_fmac_f64_e32 v[10:11], v[6:7], v[8:9]
	v_add_f64 v[4:5], v[14:15], v[16:17]
	v_add_f64 v[6:7], v[12:13], v[10:11]
	s_barrier
	ds_write_b128 v44, v[4:7]
	s_waitcnt lgkmcnt(0)
	s_barrier
	s_and_saveexec_b64 s[4:5], s[0:1]
	s_cbranch_execz .LBB18_126
; %bb.125:
	ds_read_b128 v[4:7], v43
	ds_read_b128 v[8:11], v43 offset:16
	ds_read_b128 v[12:15], v43 offset:32
	;; [unrolled: 1-line block ×3, first 2 shown]
	s_waitcnt lgkmcnt(3)
	v_add_f64 v[0:1], v[0:1], v[4:5]
	v_add_f64 v[2:3], v[2:3], v[6:7]
	s_waitcnt lgkmcnt(2)
	v_add_f64 v[0:1], v[0:1], v[8:9]
	v_add_f64 v[4:5], v[2:3], v[10:11]
	s_waitcnt lgkmcnt(1)
	v_add_f64 v[6:7], v[0:1], v[12:13]
	ds_read_b128 v[0:3], v43 offset:64
	v_add_f64 v[4:5], v[4:5], v[14:15]
	s_waitcnt lgkmcnt(1)
	v_add_f64 v[8:9], v[6:7], v[16:17]
	v_add_f64 v[12:13], v[4:5], v[18:19]
	ds_read_b128 v[4:7], v43 offset:80
	s_waitcnt lgkmcnt(1)
	v_add_f64 v[14:15], v[8:9], v[0:1]
	ds_read_b128 v[8:11], v43 offset:96
	v_add_f64 v[12:13], v[12:13], v[2:3]
	ds_read_b128 v[0:3], v43 offset:112
	s_waitcnt lgkmcnt(2)
	v_add_f64 v[4:5], v[14:15], v[4:5]
	v_add_f64 v[6:7], v[12:13], v[6:7]
	s_waitcnt lgkmcnt(1)
	v_add_f64 v[4:5], v[4:5], v[8:9]
	v_add_f64 v[6:7], v[6:7], v[10:11]
	s_waitcnt lgkmcnt(0)
	v_add_f64 v[0:1], v[4:5], v[0:1]
	v_add_f64 v[2:3], v[6:7], v[2:3]
.LBB18_126:
	s_or_b64 exec, exec, s[4:5]
	s_mul_hi_u32 s0, s34, s3
	s_mul_i32 s35, s35, s3
	s_add_i32 s0, s0, s35
	s_mul_i32 s3, s34, s3
	s_mul_i32 s0, s0, s30
	s_mul_hi_u32 s1, s3, s30
	s_add_i32 s1, s1, s0
	s_mul_i32 s0, s3, s30
	s_lshl_b64 s[0:1], s[0:1], 4
	s_add_u32 s3, s18, s0
	s_addc_u32 s4, s19, s1
	s_mul_hi_i32 s1, s34, s2
	s_mul_i32 s0, s34, s2
	s_lshl_b64 s[0:1], s[0:1], 4
	s_add_u32 s6, s3, s0
	s_addc_u32 s7, s4, s1
	s_add_i32 s8, s2, 1
	s_cmp_ge_u32 s8, s30
	v_lshlrev_b32_e32 v169, 4, v168
	s_barrier
	s_cbranch_scc1 .LBB18_184
; %bb.127:
	s_mul_i32 s0, s22, s33
	v_and_b32_e32 v8, 48, v168
	s_ashr_i32 s1, s0, 31
	v_and_b32_e32 v6, 15, v168
	v_lshlrev_b32_e32 v9, 4, v8
	s_movk_i32 s4, 0x430
	s_lshl_b64 s[0:1], s[0:1], 4
	v_lshrrev_b32_e32 v7, 4, v42
	v_mad_u32_u24 v219, v6, s4, v9
	v_or_b32_e32 v9, 0xf0, v169
	v_lshlrev_b32_e32 v216, 2, v167
	v_mov_b32_e32 v4, s1
	v_subrev_co_u32_e32 v170, vcc, s0, v36
	v_mad_u32_u24 v220, v6, s4, v9
	v_lshlrev_b32_e32 v9, 6, v7
	v_mul_i32_i24_e32 v12, 0xffffffd0, v7
	v_add_u32_e32 v7, s22, v8
	v_subb_co_u32_e32 v171, vcc, v37, v4, vcc
	v_mad_u64_u32 v[4:5], s[0:1], v216, s24, v[168:169]
	v_mad_u32_u24 v221, v6, s4, v9
	v_add3_u32 v172, v7, v6, 64
	v_lshlrev_b64 v[6:7], 4, v[38:39]
	v_ashrrev_i32_e32 v5, 31, v4
	v_sub_co_u32_e32 v174, vcc, 0, v6
	v_mov_b32_e32 v9, 0x4300
	s_nop 0
	v_subb_co_u32_e32 v175, vcc, 0, v7, vcc
	s_lshl_b64 s[22:23], s[26:27], 4
	v_lshlrev_b64 v[6:7], 4, v[4:5]
	s_lshl_b32 s14, s24, 4
	v_lshl_add_u32 v225, v167, 6, v9
	s_mul_i32 s18, s24, 3
	v_lshl_add_u64 v[8:9], s[22:23], 0, v[6:7]
	v_lshl_add_u64 v[4:5], s[26:27], 0, v[4:5]
	s_lshl_b32 s17, s33, 6
	s_ashr_i32 s15, s14, 31
	s_ashr_i32 s25, s24, 31
	s_lshl_b32 s28, s24, 1
	s_movk_i32 s4, 0x10c0
	s_ashr_i32 s19, s18, 31
	s_mul_i32 s33, s33, s8
	v_lshl_add_u64 v[8:9], v[8:9], 0, v[40:41]
	v_lshlrev_b64 v[4:5], 4, v[4:5]
	s_add_i32 s3, s30, -2
	s_ashr_i32 s29, s28, 31
	v_mad_u32_u24 v226, v167, s4, v169
	s_lshl_b64 s[4:5], s[24:25], 4
	s_lshl_b32 s8, s33, 6
	v_lshl_add_u64 v[176:177], v[8:9], 0, 8
	s_lshl_b64 s[10:11], s[14:15], 6
	s_mul_i32 s9, s24, 0x300
	v_mad_i64_i32 v[8:9], s[26:27], s14, 48, v[4:5]
	s_lshl_b64 s[18:19], s[18:19], 4
	s_lshl_b64 s[24:25], s[24:25], 5
	s_add_u32 s26, s24, s22
	s_addc_u32 s27, s25, s23
	s_mul_hi_i32 s33, s14, 48
	s_add_u32 s24, s9, s24
	s_addc_u32 s25, s33, s25
	v_lshl_add_u64 v[4:5], s[24:25], 0, v[4:5]
	s_add_u32 s24, s4, s22
	v_lshl_add_u64 v[4:5], v[4:5], 0, v[40:41]
	s_addc_u32 s25, s5, s23
	v_lshl_add_u64 v[182:183], v[4:5], 0, 8
	v_lshl_add_u64 v[4:5], s[24:25], 0, v[6:7]
	s_lshl_b64 s[28:29], s[28:29], 4
	v_lshl_add_u64 v[4:5], v[4:5], 0, v[40:41]
	s_add_u32 s34, s22, s28
	v_lshl_add_u64 v[184:185], v[4:5], 0, 8
	v_lshl_add_u64 v[4:5], v[8:9], 0, s[28:29]
	s_addc_u32 s35, s23, s29
	v_lshl_add_u64 v[186:187], v[40:41], 0, v[4:5]
	v_lshl_add_u64 v[4:5], s[34:35], 0, v[6:7]
	v_lshl_add_u64 v[4:5], v[4:5], 0, v[40:41]
	s_add_u32 s34, s22, s18
	v_lshl_add_u64 v[188:189], v[4:5], 0, 8
	v_lshl_add_u64 v[4:5], v[8:9], 0, s[4:5]
	s_addc_u32 s35, s23, s19
	v_lshl_add_u64 v[190:191], v[40:41], 0, v[4:5]
	v_lshl_add_u64 v[4:5], s[34:35], 0, v[6:7]
	s_lshl_b64 s[34:35], s[14:15], 4
	s_add_u32 s36, s22, s34
	s_addc_u32 s37, s23, s35
	s_lshl_b64 s[14:15], s[14:15], 5
	s_add_u32 s22, s14, s22
	s_addc_u32 s23, s15, s23
	v_lshl_add_u64 v[4:5], v[4:5], 0, v[40:41]
	s_add_u32 s38, s22, s18
	v_lshl_add_u64 v[192:193], v[4:5], 0, 8
	v_lshl_add_u64 v[4:5], s[36:37], 0, v[6:7]
	s_addc_u32 s39, s23, s19
	v_lshl_add_u64 v[4:5], v[4:5], 0, v[40:41]
	s_add_u32 s24, s24, s34
	v_lshl_add_u64 v[196:197], v[4:5], 0, 8
	v_lshl_add_u64 v[4:5], s[38:39], 0, v[6:7]
	s_addc_u32 s25, s25, s35
	v_lshl_add_u64 v[198:199], v[40:41], 0, v[4:5]
	v_lshl_add_u64 v[4:5], s[24:25], 0, v[6:7]
	s_add_u32 s14, s26, s14
	v_lshl_add_u64 v[4:5], v[4:5], 0, v[40:41]
	s_addc_u32 s15, s27, s15
	v_lshl_add_u64 v[200:201], v[4:5], 0, 8
	v_lshl_add_u64 v[4:5], s[14:15], 0, v[6:7]
	s_add_u32 s14, s36, s28
	;; [unrolled: 5-line block ×4, first 2 shown]
	s_addc_u32 s15, s27, s35
	s_add_u32 s4, s22, s4
	v_lshl_add_u64 v[206:207], v[40:41], 0, v[4:5]
	v_lshl_add_u64 v[4:5], s[14:15], 0, v[6:7]
	s_addc_u32 s5, s23, s5
	v_lshl_add_u64 v[208:209], v[40:41], 0, v[4:5]
	v_lshl_add_u64 v[4:5], s[4:5], 0, v[6:7]
	s_add_u32 s4, s36, s18
	s_addc_u32 s5, s37, s19
	v_lshl_add_u64 v[210:211], v[40:41], 0, v[4:5]
	v_lshl_add_u64 v[4:5], s[4:5], 0, v[6:7]
	;; [unrolled: 1-line block ×9, first 2 shown]
	v_add_u32_e32 v217, 0x4300, v169
	v_add_u32_e32 v218, 0x4700, v169
	v_cmp_gt_u32_e64 s[0:1], 64, v42
	v_or_b32_e32 v222, 1, v216
	v_or_b32_e32 v223, 2, v216
	;; [unrolled: 1-line block ×3, first 2 shown]
	v_add_u32_e32 v227, 16, v216
	v_add_u32_e32 v228, 17, v216
	;; [unrolled: 1-line block ×12, first 2 shown]
	v_lshl_add_u64 v[180:181], v[40:41], 0, v[10:11]
	v_lshl_add_u64 v[194:195], v[40:41], 0, v[8:9]
	;; [unrolled: 1-line block ×3, first 2 shown]
	v_add_u32_e32 v239, v221, v12
	v_mov_b32_e32 v4, 0
	s_cmp_eq_u32 s3, s2
	s_cselect_b32 s26, s31, 0
	s_and_saveexec_b64 s[4:5], s[12:13]
	s_cbranch_execz .LBB18_132
.LBB18_128:
	s_cmp_lg_u32 s26, 0
	s_cselect_b64 s[14:15], -1, 0
	v_cmp_le_i32_e32 vcc, s26, v168
	s_and_b64 s[14:15], s[14:15], vcc
	s_and_saveexec_b64 s[18:19], s[14:15]
	s_xor_b64 s[14:15], exec, s[18:19]
	s_cbranch_execz .LBB18_130
; %bb.129:
	v_mov_b32_e32 v5, v4
	v_mov_b32_e32 v6, v4
	;; [unrolled: 1-line block ×3, first 2 shown]
	ds_write_b128 v217, v[4:7]
.LBB18_130:
	s_andn2_saveexec_b64 s[14:15], s[14:15]
	s_cbranch_execz .LBB18_132
; %bb.131:
	s_ashr_i32 s9, s8, 31
	v_lshl_add_u64 v[6:7], s[8:9], 4, v[170:171]
	global_load_dwordx4 v[6:9], v[6:7], off
	s_waitcnt vmcnt(0)
	ds_write2_b64 v217, v[6:7], v[8:9] offset1:1
.LBB18_132:                             ; =>This Inner Loop Header: Depth=1
	s_or_b64 exec, exec, s[4:5]
	s_cmp_eq_u32 s26, 0
	s_cselect_b64 s[14:15], -1, 0
	s_cmp_lg_u32 s26, 0
	s_cselect_b64 s[18:19], -1, 0
	v_lshl_add_u64 v[18:19], v[176:177], 0, v[174:175]
	s_and_b64 vcc, exec, s[18:19]
	s_waitcnt lgkmcnt(0)
	s_barrier
	s_cbranch_vccz .LBB18_140
; %bb.133:                              ;   in Loop: Header=BB18_132 Depth=1
	v_mov_b64_e32 v[10:11], 0
	v_cmp_gt_i32_e32 vcc, s26, v216
	v_mov_b64_e32 v[6:7], v[10:11]
	v_mov_b64_e32 v[8:9], v[10:11]
	s_and_saveexec_b64 s[4:5], vcc
	s_cbranch_execz .LBB18_135
; %bb.134:                              ;   in Loop: Header=BB18_132 Depth=1
	global_load_dwordx4 v[6:9], v[18:19], off offset:-8
.LBB18_135:                             ;   in Loop: Header=BB18_132 Depth=1
	s_or_b64 exec, exec, s[4:5]
	v_cmp_gt_i32_e32 vcc, s26, v222
	v_mov_b64_e32 v[12:13], v[10:11]
	s_and_saveexec_b64 s[4:5], vcc
	s_cbranch_execz .LBB18_137
; %bb.136:                              ;   in Loop: Header=BB18_132 Depth=1
	v_lshl_add_u64 v[10:11], v[184:185], 0, v[174:175]
	global_load_dwordx4 v[10:13], v[10:11], off offset:-8
.LBB18_137:                             ;   in Loop: Header=BB18_132 Depth=1
	s_or_b64 exec, exec, s[4:5]
	v_mov_b64_e32 v[14:15], 0
	v_cmp_gt_i32_e32 vcc, s26, v223
	s_mov_b64 s[24:25], 0
	v_mov_b64_e32 v[16:17], v[14:15]
	s_and_saveexec_b64 s[4:5], vcc
	s_cbranch_execz .LBB18_139
; %bb.138:                              ;   in Loop: Header=BB18_132 Depth=1
	v_lshl_add_u64 v[14:15], v[188:189], 0, v[174:175]
	global_load_dwordx4 v[14:17], v[14:15], off offset:-8
.LBB18_139:                             ;   in Loop: Header=BB18_132 Depth=1
	s_or_b64 exec, exec, s[4:5]
	v_cmp_gt_i32_e64 s[4:5], s26, v224
	s_mov_b64 s[22:23], 0
	s_and_b64 vcc, exec, s[24:25]
	s_cbranch_vccnz .LBB18_141
	s_branch .LBB18_142
.LBB18_140:                             ;   in Loop: Header=BB18_132 Depth=1
	s_mov_b64 s[4:5], 0
                                        ; implicit-def: $sgpr22_sgpr23
                                        ; implicit-def: $vgpr16_vgpr17
                                        ; implicit-def: $vgpr12_vgpr13
                                        ; implicit-def: $vgpr8_vgpr9
	s_cbranch_execz .LBB18_142
.LBB18_141:                             ;   in Loop: Header=BB18_132 Depth=1
	s_waitcnt vmcnt(0)
	v_lshl_add_u64 v[10:11], v[184:185], 0, v[174:175]
	v_lshl_add_u64 v[14:15], v[180:181], 0, v[174:175]
	global_load_dwordx4 v[6:9], v[18:19], off offset:-8
	s_or_b64 s[4:5], s[4:5], exec
	global_load_dwordx4 v[10:13], v[10:11], off offset:-8
                                        ; implicit-def: $sgpr22_sgpr23
	s_nop 0
	global_load_dwordx4 v[14:17], v[14:15], off
.LBB18_142:                             ;   in Loop: Header=BB18_132 Depth=1
	v_mov_b64_e32 v[18:19], s[22:23]
	v_mov_b64_e32 v[20:21], s[22:23]
	s_and_saveexec_b64 s[22:23], s[4:5]
	s_cbranch_execz .LBB18_144
; %bb.143:                              ;   in Loop: Header=BB18_132 Depth=1
	v_lshl_add_u64 v[18:19], v[192:193], 0, v[174:175]
	global_load_dwordx4 v[18:21], v[18:19], off offset:-8
.LBB18_144:                             ;   in Loop: Header=BB18_132 Depth=1
	s_or_b64 exec, exec, s[22:23]
	ds_read_b128 v[34:37], v218
	ds_read_b128 v[22:25], v225
	v_cndmask_b32_e64 v5, 0, 1, s[18:19]
	v_cmp_ne_u32_e64 s[4:5], 1, v5
	s_andn2_b64 vcc, exec, s[18:19]
	s_waitcnt vmcnt(0) lgkmcnt(1)
	v_mul_f64 v[26:27], v[8:9], v[36:37]
	v_mul_f64 v[28:29], v[8:9], v[34:35]
	v_mul_f64 v[30:31], v[12:13], v[36:37]
	v_fmac_f64_e32 v[26:27], v[6:7], v[34:35]
	v_fma_f64 v[28:29], v[6:7], v[36:37], -v[28:29]
	v_mul_f64 v[32:33], v[12:13], v[34:35]
	ds_write_b128 v226, v[26:29]
	v_fmac_f64_e32 v[30:31], v[10:11], v[34:35]
	v_fma_f64 v[32:33], v[10:11], v[36:37], -v[32:33]
	v_mul_f64 v[38:39], v[16:17], v[36:37]
	v_mul_f64 v[40:41], v[16:17], v[34:35]
	v_mul_f64 v[42:43], v[20:21], v[36:37]
	ds_read_b128 v[26:29], v225 offset:16
	ds_write_b128 v226, v[30:33] offset:1072
	v_fmac_f64_e32 v[38:39], v[14:15], v[34:35]
	v_fma_f64 v[40:41], v[14:15], v[36:37], -v[40:41]
	v_fmac_f64_e32 v[42:43], v[18:19], v[34:35]
	v_mul_f64 v[34:35], v[20:21], v[34:35]
	ds_read_b128 v[30:33], v225 offset:32
	ds_write_b128 v226, v[38:41] offset:2144
	v_fma_f64 v[44:45], v[18:19], v[36:37], -v[34:35]
	ds_read_b128 v[38:41], v225 offset:48
	ds_write_b128 v226, v[42:45] offset:3216
	s_waitcnt lgkmcnt(0)
	s_barrier
	ds_read_b128 v[98:101], v221
	ds_read_b128 v[94:97], v221 offset:16
	ds_read_b128 v[86:89], v221 offset:32
	;; [unrolled: 1-line block ×3, first 2 shown]
	v_lshl_add_u64 v[50:51], v[196:197], 0, v[174:175]
	s_waitcnt lgkmcnt(0)
	s_barrier
	s_cbranch_vccnz .LBB18_152
; %bb.145:                              ;   in Loop: Header=BB18_132 Depth=1
	v_mov_b64_e32 v[42:43], 0
	v_cmp_gt_i32_e32 vcc, s26, v227
	v_mov_b64_e32 v[34:35], v[42:43]
	v_mov_b64_e32 v[36:37], v[42:43]
	s_and_saveexec_b64 s[18:19], vcc
	s_cbranch_execz .LBB18_147
; %bb.146:                              ;   in Loop: Header=BB18_132 Depth=1
	global_load_dwordx4 v[34:37], v[50:51], off offset:-8
.LBB18_147:                             ;   in Loop: Header=BB18_132 Depth=1
	s_or_b64 exec, exec, s[18:19]
	v_cmp_gt_i32_e32 vcc, s26, v228
	v_mov_b64_e32 v[44:45], v[42:43]
	s_and_saveexec_b64 s[18:19], vcc
	s_cbranch_execz .LBB18_149
; %bb.148:                              ;   in Loop: Header=BB18_132 Depth=1
	v_lshl_add_u64 v[42:43], v[200:201], 0, v[174:175]
	global_load_dwordx4 v[42:45], v[42:43], off offset:-8
.LBB18_149:                             ;   in Loop: Header=BB18_132 Depth=1
	s_or_b64 exec, exec, s[18:19]
	v_mov_b64_e32 v[46:47], 0
	v_cmp_gt_i32_e32 vcc, s26, v229
	s_mov_b64 s[24:25], 0
	v_mov_b64_e32 v[48:49], v[46:47]
	s_and_saveexec_b64 s[18:19], vcc
	s_cbranch_execz .LBB18_151
; %bb.150:                              ;   in Loop: Header=BB18_132 Depth=1
	v_lshl_add_u64 v[46:47], v[204:205], 0, v[174:175]
	global_load_dwordx4 v[46:49], v[46:47], off offset:-8
.LBB18_151:                             ;   in Loop: Header=BB18_132 Depth=1
	s_or_b64 exec, exec, s[18:19]
	v_cmp_gt_i32_e64 s[18:19], s26, v230
	s_mov_b64 s[22:23], 0
	s_and_b64 vcc, exec, s[24:25]
	s_cbranch_vccnz .LBB18_153
	s_branch .LBB18_154
.LBB18_152:                             ;   in Loop: Header=BB18_132 Depth=1
	s_mov_b64 s[18:19], 0
                                        ; implicit-def: $sgpr22_sgpr23
                                        ; implicit-def: $vgpr48_vgpr49
                                        ; implicit-def: $vgpr44_vgpr45
                                        ; implicit-def: $vgpr36_vgpr37
	s_cbranch_execz .LBB18_154
.LBB18_153:                             ;   in Loop: Header=BB18_132 Depth=1
	s_waitcnt vmcnt(0)
	v_lshl_add_u64 v[42:43], v[200:201], 0, v[174:175]
	v_lshl_add_u64 v[46:47], v[208:209], 0, v[174:175]
	global_load_dwordx4 v[34:37], v[50:51], off offset:-8
	s_or_b64 s[18:19], s[18:19], exec
	global_load_dwordx4 v[42:45], v[42:43], off offset:-8
                                        ; implicit-def: $sgpr22_sgpr23
	s_nop 0
	global_load_dwordx4 v[46:49], v[46:47], off
.LBB18_154:                             ;   in Loop: Header=BB18_132 Depth=1
	v_mov_b64_e32 v[50:51], s[22:23]
	v_mov_b64_e32 v[52:53], s[22:23]
	s_and_saveexec_b64 s[22:23], s[18:19]
	s_cbranch_execz .LBB18_156
; %bb.155:                              ;   in Loop: Header=BB18_132 Depth=1
	v_lshl_add_u64 v[50:51], v[212:213], 0, v[174:175]
	global_load_dwordx4 v[50:53], v[50:51], off offset:-8
.LBB18_156:                             ;   in Loop: Header=BB18_132 Depth=1
	s_or_b64 exec, exec, s[22:23]
	ds_read_b128 v[66:69], v218
	ds_read_b128 v[54:57], v225 offset:256
	s_and_b64 vcc, exec, s[4:5]
	v_lshl_add_u64 v[90:91], v[214:215], 0, v[174:175]
	s_waitcnt vmcnt(0) lgkmcnt(1)
	v_mul_f64 v[58:59], v[36:37], v[68:69]
	v_mul_f64 v[60:61], v[36:37], v[66:67]
	;; [unrolled: 1-line block ×3, first 2 shown]
	v_fmac_f64_e32 v[58:59], v[34:35], v[66:67]
	v_fma_f64 v[60:61], v[34:35], v[68:69], -v[60:61]
	v_mul_f64 v[64:65], v[44:45], v[66:67]
	ds_write_b128 v226, v[58:61]
	v_fmac_f64_e32 v[62:63], v[42:43], v[66:67]
	v_fma_f64 v[64:65], v[42:43], v[68:69], -v[64:65]
	v_mul_f64 v[70:71], v[48:49], v[68:69]
	v_mul_f64 v[72:73], v[48:49], v[66:67]
	ds_read_b128 v[58:61], v225 offset:272
	ds_write_b128 v226, v[62:65] offset:1072
	v_fmac_f64_e32 v[70:71], v[46:47], v[66:67]
	v_fma_f64 v[72:73], v[46:47], v[68:69], -v[72:73]
	ds_read_b128 v[62:65], v225 offset:288
	ds_write_b128 v226, v[70:73] offset:2144
	v_mul_f64 v[70:71], v[52:53], v[68:69]
	v_fmac_f64_e32 v[70:71], v[50:51], v[66:67]
	v_mul_f64 v[66:67], v[52:53], v[66:67]
	v_fma_f64 v[72:73], v[50:51], v[68:69], -v[66:67]
	ds_read_b128 v[74:77], v225 offset:304
	ds_write_b128 v226, v[70:73] offset:3216
	s_waitcnt lgkmcnt(0)
	s_barrier
	ds_read_b128 v[146:149], v221
	ds_read_b128 v[142:145], v221 offset:16
	ds_read_b128 v[138:141], v221 offset:32
	;; [unrolled: 1-line block ×3, first 2 shown]
	s_waitcnt lgkmcnt(0)
	s_barrier
	s_cbranch_vccnz .LBB18_164
; %bb.157:                              ;   in Loop: Header=BB18_132 Depth=1
	v_mov_b64_e32 v[70:71], 0
	v_cmp_gt_i32_e32 vcc, s26, v231
	v_mov_b64_e32 v[66:67], v[70:71]
	v_mov_b64_e32 v[68:69], v[70:71]
	s_and_saveexec_b64 s[18:19], vcc
	s_cbranch_execz .LBB18_159
; %bb.158:                              ;   in Loop: Header=BB18_132 Depth=1
	global_load_dwordx4 v[66:69], v[90:91], off offset:-8
.LBB18_159:                             ;   in Loop: Header=BB18_132 Depth=1
	s_or_b64 exec, exec, s[18:19]
	v_cmp_gt_i32_e32 vcc, s26, v232
	v_mov_b64_e32 v[72:73], v[70:71]
	s_and_saveexec_b64 s[18:19], vcc
	s_cbranch_execz .LBB18_161
; %bb.160:                              ;   in Loop: Header=BB18_132 Depth=1
	v_lshl_add_u64 v[70:71], v[210:211], 0, v[174:175]
	global_load_dwordx4 v[70:73], v[70:71], off
.LBB18_161:                             ;   in Loop: Header=BB18_132 Depth=1
	s_or_b64 exec, exec, s[18:19]
	v_mov_b64_e32 v[78:79], 0
	v_cmp_gt_i32_e32 vcc, s26, v233
	s_mov_b64 s[24:25], 0
	v_mov_b64_e32 v[80:81], v[78:79]
	s_and_saveexec_b64 s[18:19], vcc
	s_cbranch_execz .LBB18_163
; %bb.162:                              ;   in Loop: Header=BB18_132 Depth=1
	v_lshl_add_u64 v[78:79], v[206:207], 0, v[174:175]
	global_load_dwordx4 v[78:81], v[78:79], off
.LBB18_163:                             ;   in Loop: Header=BB18_132 Depth=1
	s_or_b64 exec, exec, s[18:19]
	v_cmp_gt_i32_e64 s[18:19], s26, v234
	s_mov_b64 s[22:23], 0
	s_and_b64 vcc, exec, s[24:25]
	s_cbranch_vccnz .LBB18_165
	s_branch .LBB18_166
.LBB18_164:                             ;   in Loop: Header=BB18_132 Depth=1
	s_mov_b64 s[18:19], 0
                                        ; implicit-def: $sgpr22_sgpr23
                                        ; implicit-def: $vgpr80_vgpr81
                                        ; implicit-def: $vgpr72_vgpr73
                                        ; implicit-def: $vgpr68_vgpr69
	s_cbranch_execz .LBB18_166
.LBB18_165:                             ;   in Loop: Header=BB18_132 Depth=1
	s_waitcnt vmcnt(0)
	v_lshl_add_u64 v[70:71], v[210:211], 0, v[174:175]
	v_lshl_add_u64 v[78:79], v[202:203], 0, v[174:175]
	global_load_dwordx4 v[66:69], v[90:91], off offset:-8
	s_or_b64 s[18:19], s[18:19], exec
	global_load_dwordx4 v[70:73], v[70:71], off
                                        ; implicit-def: $sgpr22_sgpr23
	s_nop 0
	global_load_dwordx4 v[78:81], v[78:79], off offset:-8
.LBB18_166:                             ;   in Loop: Header=BB18_132 Depth=1
	v_mov_b64_e32 v[90:91], s[22:23]
	v_mov_b64_e32 v[92:93], s[22:23]
	s_and_saveexec_b64 s[22:23], s[18:19]
	s_cbranch_execz .LBB18_168
; %bb.167:                              ;   in Loop: Header=BB18_132 Depth=1
	v_lshl_add_u64 v[90:91], v[198:199], 0, v[174:175]
	global_load_dwordx4 v[90:93], v[90:91], off
.LBB18_168:                             ;   in Loop: Header=BB18_132 Depth=1
	s_or_b64 exec, exec, s[22:23]
	ds_read_b128 v[114:117], v218
	ds_read_b128 v[102:105], v225 offset:512
	s_and_b64 vcc, exec, s[4:5]
	v_lshl_add_u64 v[130:131], v[194:195], 0, v[174:175]
	s_waitcnt vmcnt(0) lgkmcnt(1)
	v_mul_f64 v[106:107], v[68:69], v[116:117]
	v_mul_f64 v[108:109], v[68:69], v[114:115]
	v_mul_f64 v[110:111], v[72:73], v[116:117]
	v_fmac_f64_e32 v[106:107], v[66:67], v[114:115]
	v_fma_f64 v[108:109], v[66:67], v[116:117], -v[108:109]
	v_mul_f64 v[112:113], v[72:73], v[114:115]
	ds_write_b128 v226, v[106:109]
	v_fmac_f64_e32 v[110:111], v[70:71], v[114:115]
	v_fma_f64 v[112:113], v[70:71], v[116:117], -v[112:113]
	v_mul_f64 v[118:119], v[80:81], v[116:117]
	v_mul_f64 v[120:121], v[80:81], v[114:115]
	;; [unrolled: 1-line block ×3, first 2 shown]
	ds_read_b128 v[106:109], v225 offset:528
	ds_write_b128 v226, v[110:113] offset:1072
	v_fmac_f64_e32 v[118:119], v[78:79], v[114:115]
	v_fma_f64 v[120:121], v[78:79], v[116:117], -v[120:121]
	v_fmac_f64_e32 v[122:123], v[90:91], v[114:115]
	v_mul_f64 v[114:115], v[92:93], v[114:115]
	ds_read_b128 v[110:113], v225 offset:544
	ds_write_b128 v226, v[118:121] offset:2144
	v_fma_f64 v[124:125], v[90:91], v[116:117], -v[114:115]
	ds_read_b128 v[118:121], v225 offset:560
	ds_write_b128 v226, v[122:125] offset:3216
	s_waitcnt lgkmcnt(0)
	s_barrier
	ds_read_b128 v[162:165], v221
	ds_read_b128 v[158:161], v221 offset:16
	ds_read_b128 v[154:157], v221 offset:32
	;; [unrolled: 1-line block ×3, first 2 shown]
	s_waitcnt lgkmcnt(0)
	s_barrier
	s_cbranch_vccnz .LBB18_176
; %bb.169:                              ;   in Loop: Header=BB18_132 Depth=1
	v_mov_b64_e32 v[122:123], 0
	v_cmp_gt_i32_e32 vcc, s26, v235
	v_mov_b64_e32 v[114:115], v[122:123]
	v_mov_b64_e32 v[116:117], v[122:123]
	s_and_saveexec_b64 s[4:5], vcc
	s_cbranch_execz .LBB18_171
; %bb.170:                              ;   in Loop: Header=BB18_132 Depth=1
	global_load_dwordx4 v[114:117], v[130:131], off
.LBB18_171:                             ;   in Loop: Header=BB18_132 Depth=1
	s_or_b64 exec, exec, s[4:5]
	v_cmp_gt_i32_e32 vcc, s26, v236
	v_mov_b64_e32 v[124:125], v[122:123]
	s_and_saveexec_b64 s[4:5], vcc
	s_cbranch_execz .LBB18_173
; %bb.172:                              ;   in Loop: Header=BB18_132 Depth=1
	v_lshl_add_u64 v[122:123], v[190:191], 0, v[174:175]
	global_load_dwordx4 v[122:125], v[122:123], off
.LBB18_173:                             ;   in Loop: Header=BB18_132 Depth=1
	s_or_b64 exec, exec, s[4:5]
	v_mov_b64_e32 v[126:127], 0
	v_cmp_gt_i32_e32 vcc, s26, v237
	s_mov_b64 s[22:23], 0
	v_mov_b64_e32 v[128:129], v[126:127]
	s_and_saveexec_b64 s[4:5], vcc
	s_cbranch_execz .LBB18_175
; %bb.174:                              ;   in Loop: Header=BB18_132 Depth=1
	v_lshl_add_u64 v[126:127], v[186:187], 0, v[174:175]
	global_load_dwordx4 v[126:129], v[126:127], off
.LBB18_175:                             ;   in Loop: Header=BB18_132 Depth=1
	s_or_b64 exec, exec, s[4:5]
	v_cmp_gt_i32_e64 s[4:5], s26, v238
	s_mov_b64 s[18:19], 0
	s_and_b64 vcc, exec, s[22:23]
	s_cbranch_vccnz .LBB18_177
	s_branch .LBB18_178
.LBB18_176:                             ;   in Loop: Header=BB18_132 Depth=1
	s_mov_b64 s[4:5], 0
                                        ; implicit-def: $sgpr18_sgpr19
                                        ; implicit-def: $vgpr128_vgpr129
                                        ; implicit-def: $vgpr124_vgpr125
                                        ; implicit-def: $vgpr116_vgpr117
	s_cbranch_execz .LBB18_178
.LBB18_177:                             ;   in Loop: Header=BB18_132 Depth=1
	s_waitcnt vmcnt(0)
	v_lshl_add_u64 v[122:123], v[190:191], 0, v[174:175]
	v_lshl_add_u64 v[126:127], v[182:183], 0, v[174:175]
	global_load_dwordx4 v[114:117], v[130:131], off
	s_or_b64 s[4:5], s[4:5], exec
	global_load_dwordx4 v[122:125], v[122:123], off
                                        ; implicit-def: $sgpr18_sgpr19
	s_nop 0
	global_load_dwordx4 v[126:129], v[126:127], off offset:-8
.LBB18_178:                             ;   in Loop: Header=BB18_132 Depth=1
	v_mov_b64_e32 v[130:131], s[18:19]
	v_mov_b64_e32 v[132:133], s[18:19]
	s_and_saveexec_b64 s[18:19], s[4:5]
	s_cbranch_execz .LBB18_180
; %bb.179:                              ;   in Loop: Header=BB18_132 Depth=1
	v_lshl_add_u64 v[130:131], v[178:179], 0, v[174:175]
	global_load_dwordx4 v[130:133], v[130:131], off
.LBB18_180:                             ;   in Loop: Header=BB18_132 Depth=1
	s_or_b64 exec, exec, s[18:19]
	v_add_f64 v[146:147], v[146:147], 0
	v_add_f64 v[148:149], v[148:149], 0
	v_add_f64 v[142:143], v[146:147], v[142:143]
	v_add_f64 v[144:145], v[148:149], v[144:145]
	v_add_f64 v[138:139], v[142:143], v[138:139]
	v_add_f64 v[140:141], v[144:145], v[140:141]
	ds_read_b128 v[142:145], v218
	v_add_f64 v[162:163], v[162:163], 0
	v_add_f64 v[98:99], v[98:99], 0
	;; [unrolled: 1-line block ×11, first 2 shown]
	ds_read_b128 v[86:89], v225 offset:768
	s_waitcnt vmcnt(0) lgkmcnt(1)
	v_mul_f64 v[94:95], v[116:117], v[144:145]
	v_mul_f64 v[96:97], v[116:117], v[142:143]
	v_fmac_f64_e32 v[94:95], v[114:115], v[142:143]
	v_fma_f64 v[96:97], v[114:115], v[144:145], -v[96:97]
	v_mul_f64 v[98:99], v[124:125], v[144:145]
	v_mul_f64 v[100:101], v[124:125], v[142:143]
	v_add_f64 v[138:139], v[138:139], v[134:135]
	v_add_f64 v[140:141], v[140:141], v[136:137]
	ds_write_b128 v226, v[94:97]
	v_fmac_f64_e32 v[98:99], v[122:123], v[142:143]
	v_fma_f64 v[100:101], v[122:123], v[144:145], -v[100:101]
	v_mul_f64 v[134:135], v[128:129], v[144:145]
	v_mul_f64 v[136:137], v[128:129], v[142:143]
	;; [unrolled: 1-line block ×3, first 2 shown]
	ds_read_b128 v[94:97], v225 offset:784
	ds_write_b128 v226, v[98:101] offset:1072
	v_fmac_f64_e32 v[134:135], v[126:127], v[142:143]
	v_fma_f64 v[136:137], v[126:127], v[144:145], -v[136:137]
	v_fmac_f64_e32 v[146:147], v[130:131], v[142:143]
	v_mul_f64 v[142:143], v[132:133], v[142:143]
	ds_read_b128 v[98:101], v225 offset:800
	ds_write_b128 v226, v[134:137] offset:2144
	v_fma_f64 v[148:149], v[130:131], v[144:145], -v[142:143]
	v_add_f64 v[164:165], v[164:165], 0
	ds_read_b128 v[134:137], v225 offset:816
	ds_write_b128 v226, v[146:149] offset:3216
	s_waitcnt lgkmcnt(0)
	s_barrier
	ds_read_b128 v[142:145], v221
	v_add_f64 v[160:161], v[164:165], v[160:161]
	v_add_f64 v[156:157], v[160:161], v[156:157]
	;; [unrolled: 1-line block ×4, first 2 shown]
	ds_read_b128 v[146:149], v221 offset:16
	ds_read_b128 v[154:157], v221 offset:32
	;; [unrolled: 1-line block ×3, first 2 shown]
	s_waitcnt lgkmcnt(3)
	v_add_f64 v[142:143], v[142:143], 0
	v_add_f64 v[144:145], v[144:145], 0
	v_cmp_gt_i32_e32 vcc, s26, v168
	s_waitcnt lgkmcnt(2)
	v_add_f64 v[142:143], v[142:143], v[146:147]
	v_add_f64 v[144:145], v[144:145], v[148:149]
	s_or_b64 s[4:5], s[14:15], vcc
	s_waitcnt lgkmcnt(1)
	v_add_f64 v[142:143], v[142:143], v[154:155]
	v_add_f64 v[144:145], v[144:145], v[156:157]
	s_and_b64 s[14:15], s[0:1], s[4:5]
	s_waitcnt lgkmcnt(0)
	v_add_f64 v[142:143], v[142:143], v[158:159]
	v_add_f64 v[144:145], v[144:145], v[160:161]
	s_barrier
	ds_write_b128 v239, v[82:85]
	ds_write_b128 v239, v[138:141] offset:256
	ds_write_b128 v239, v[150:153] offset:512
	;; [unrolled: 1-line block ×3, first 2 shown]
	s_waitcnt lgkmcnt(0)
	s_barrier
	s_and_saveexec_b64 s[4:5], s[14:15]
	s_cbranch_execz .LBB18_182
; %bb.181:                              ;   in Loop: Header=BB18_132 Depth=1
	ds_read_b128 v[82:85], v219
	ds_read_b128 v[138:141], v219 offset:16
	ds_read_b128 v[142:145], v219 offset:32
	;; [unrolled: 1-line block ×3, first 2 shown]
	v_ashrrev_i32_e32 v173, 31, v172
	s_waitcnt lgkmcnt(2)
	v_add_f64 v[82:83], v[138:139], v[82:83]
	v_add_f64 v[138:139], v[140:141], v[84:85]
	s_waitcnt lgkmcnt(1)
	v_add_f64 v[140:141], v[82:83], v[142:143]
	ds_read_b128 v[82:85], v219 offset:64
	v_add_f64 v[142:143], v[138:139], v[144:145]
	s_waitcnt lgkmcnt(1)
	v_add_f64 v[144:145], v[140:141], v[146:147]
	ds_read_b128 v[138:141], v219 offset:80
	;; [unrolled: 4-line block ×9, first 2 shown]
	v_add_f64 v[84:85], v[146:147], v[84:85]
	s_waitcnt lgkmcnt(1)
	v_add_f64 v[138:139], v[82:83], v[138:139]
	v_add_f64 v[146:147], v[84:85], v[140:141]
	ds_read_b128 v[82:85], v219 offset:208
	s_waitcnt lgkmcnt(1)
	v_add_f64 v[148:149], v[138:139], v[142:143]
	ds_read_b128 v[138:141], v219 offset:224
	v_add_f64 v[146:147], v[146:147], v[144:145]
	ds_read_b128 v[142:145], v220
	s_waitcnt lgkmcnt(2)
	v_add_f64 v[82:83], v[148:149], v[82:83]
	v_add_f64 v[84:85], v[146:147], v[84:85]
	s_waitcnt lgkmcnt(1)
	v_add_f64 v[82:83], v[82:83], v[138:139]
	v_add_f64 v[84:85], v[84:85], v[140:141]
	;; [unrolled: 3-line block ×3, first 2 shown]
	v_lshl_add_u64 v[138:139], v[172:173], 4, s[6:7]
	global_store_dwordx4 v[138:139], v[82:85], off
.LBB18_182:                             ;   in Loop: Header=BB18_132 Depth=1
	s_or_b64 exec, exec, s[4:5]
	s_nop 0
	v_mul_f64 v[82:83], v[8:9], v[24:25]
	v_fma_f64 v[82:83], v[6:7], v[22:23], -v[82:83]
	v_mul_f64 v[6:7], v[6:7], v[24:25]
	v_mul_f64 v[24:25], v[12:13], v[28:29]
	v_add_f64 v[0:1], v[0:1], v[82:83]
	v_fma_f64 v[24:25], v[10:11], v[26:27], -v[24:25]
	v_add_f64 v[0:1], v[0:1], v[24:25]
	v_mul_f64 v[24:25], v[16:17], v[32:33]
	v_fma_f64 v[24:25], v[14:15], v[30:31], -v[24:25]
	v_add_f64 v[0:1], v[0:1], v[24:25]
	v_mul_f64 v[24:25], v[20:21], v[40:41]
	v_fmac_f64_e32 v[6:7], v[8:9], v[22:23]
	v_fma_f64 v[24:25], v[18:19], v[38:39], -v[24:25]
	v_add_f64 v[2:3], v[2:3], v[6:7]
	v_mul_f64 v[6:7], v[36:37], v[56:57]
	v_add_f64 v[0:1], v[0:1], v[24:25]
	v_fma_f64 v[6:7], v[34:35], v[54:55], -v[6:7]
	v_add_f64 v[0:1], v[0:1], v[6:7]
	v_mul_f64 v[6:7], v[44:45], v[60:61]
	v_fma_f64 v[6:7], v[42:43], v[58:59], -v[6:7]
	v_add_f64 v[0:1], v[0:1], v[6:7]
	v_mul_f64 v[6:7], v[48:49], v[64:65]
	;; [unrolled: 3-line block ×3, first 2 shown]
	v_fma_f64 v[6:7], v[50:51], v[74:75], -v[6:7]
	v_mul_f64 v[10:11], v[10:11], v[28:29]
	v_add_f64 v[0:1], v[0:1], v[6:7]
	v_mul_f64 v[6:7], v[68:69], v[104:105]
	v_mul_f64 v[14:15], v[14:15], v[32:33]
	v_fmac_f64_e32 v[10:11], v[12:13], v[26:27]
	v_fma_f64 v[6:7], v[66:67], v[102:103], -v[6:7]
	v_mul_f64 v[18:19], v[18:19], v[40:41]
	v_add_f64 v[2:3], v[2:3], v[10:11]
	v_fmac_f64_e32 v[14:15], v[16:17], v[30:31]
	v_add_f64 v[0:1], v[0:1], v[6:7]
	v_mul_f64 v[6:7], v[72:73], v[108:109]
	v_add_f64 v[2:3], v[2:3], v[14:15]
	v_fmac_f64_e32 v[18:19], v[20:21], v[38:39]
	v_mul_f64 v[8:9], v[34:35], v[56:57]
	v_fma_f64 v[6:7], v[70:71], v[106:107], -v[6:7]
	v_add_f64 v[2:3], v[2:3], v[18:19]
	v_mul_f64 v[10:11], v[42:43], v[60:61]
	v_fmac_f64_e32 v[8:9], v[36:37], v[54:55]
	v_add_f64 v[0:1], v[0:1], v[6:7]
	v_mul_f64 v[6:7], v[80:81], v[112:113]
	v_mul_f64 v[12:13], v[46:47], v[64:65]
	v_add_f64 v[2:3], v[2:3], v[8:9]
	v_fmac_f64_e32 v[10:11], v[44:45], v[58:59]
	v_fma_f64 v[6:7], v[78:79], v[110:111], -v[6:7]
	v_mul_f64 v[14:15], v[50:51], v[76:77]
	v_add_f64 v[2:3], v[2:3], v[10:11]
	v_fmac_f64_e32 v[12:13], v[48:49], v[62:63]
	v_add_f64 v[0:1], v[0:1], v[6:7]
	v_mul_f64 v[6:7], v[92:93], v[120:121]
	v_add_f64 v[2:3], v[2:3], v[12:13]
	v_fmac_f64_e32 v[14:15], v[52:53], v[74:75]
	v_mul_f64 v[8:9], v[66:67], v[104:105]
	v_fma_f64 v[6:7], v[90:91], v[118:119], -v[6:7]
	v_add_f64 v[2:3], v[2:3], v[14:15]
	v_mul_f64 v[10:11], v[70:71], v[108:109]
	v_add_f64 v[0:1], v[0:1], v[6:7]
	v_fmac_f64_e32 v[8:9], v[68:69], v[102:103]
	v_mul_f64 v[6:7], v[116:117], v[88:89]
	v_mul_f64 v[12:13], v[78:79], v[112:113]
	v_add_f64 v[2:3], v[2:3], v[8:9]
	v_fmac_f64_e32 v[10:11], v[72:73], v[106:107]
	v_fma_f64 v[6:7], v[114:115], v[86:87], -v[6:7]
	v_mul_f64 v[14:15], v[90:91], v[120:121]
	v_add_f64 v[2:3], v[2:3], v[10:11]
	v_fmac_f64_e32 v[12:13], v[80:81], v[110:111]
	v_add_f64 v[0:1], v[0:1], v[6:7]
	v_mul_f64 v[6:7], v[124:125], v[96:97]
	v_add_f64 v[2:3], v[2:3], v[12:13]
	v_fmac_f64_e32 v[14:15], v[92:93], v[118:119]
	v_mul_f64 v[8:9], v[114:115], v[88:89]
	v_fma_f64 v[6:7], v[122:123], v[94:95], -v[6:7]
	v_add_f64 v[2:3], v[2:3], v[14:15]
	v_mul_f64 v[10:11], v[122:123], v[96:97]
	v_add_f64 v[0:1], v[0:1], v[6:7]
	v_mul_f64 v[6:7], v[128:129], v[100:101]
	v_fmac_f64_e32 v[8:9], v[116:117], v[86:87]
	v_fma_f64 v[6:7], v[126:127], v[98:99], -v[6:7]
	v_mul_f64 v[12:13], v[126:127], v[100:101]
	v_fmac_f64_e32 v[10:11], v[124:125], v[94:95]
	v_add_f64 v[2:3], v[2:3], v[8:9]
	v_add_f64 v[0:1], v[0:1], v[6:7]
	v_mul_f64 v[6:7], v[132:133], v[136:137]
	v_mul_f64 v[14:15], v[130:131], v[136:137]
	v_fmac_f64_e32 v[12:13], v[128:129], v[98:99]
	v_add_f64 v[2:3], v[2:3], v[10:11]
	v_fma_f64 v[6:7], v[130:131], v[134:135], -v[6:7]
	v_fmac_f64_e32 v[14:15], v[132:133], v[134:135]
	v_add_f64 v[2:3], v[2:3], v[12:13]
	s_add_i32 s4, s2, 1
	s_add_i32 s8, s8, s17
	;; [unrolled: 1-line block ×3, first 2 shown]
	v_add_f64 v[0:1], v[0:1], v[6:7]
	v_add_f64 v[2:3], v[2:3], v[14:15]
	v_add_u32_e32 v172, 64, v172
	v_lshl_add_u64 v[176:177], v[176:177], 0, s[10:11]
	v_lshl_add_u64 v[178:179], v[178:179], 0, s[10:11]
	;; [unrolled: 1-line block ×19, first 2 shown]
	s_cmp_ge_u32 s2, s30
	v_lshl_add_u64 v[214:215], v[214:215], 0, s[10:11]
	s_barrier
	s_cbranch_scc1 .LBB18_184
; %bb.183:                              ;   in Loop: Header=BB18_132 Depth=1
	s_mov_b32 s2, s4
	s_cmp_eq_u32 s3, s2
	s_cselect_b32 s26, s31, 0
	s_and_saveexec_b64 s[4:5], s[12:13]
	s_cbranch_execnz .LBB18_128
	s_branch .LBB18_132
.LBB18_184:
	s_movk_i32 s0, 0x430
	v_cmp_gt_i32_e32 vcc, s16, v168
	v_mad_u32_u24 v4, v167, s0, v169
	s_or_b64 s[0:1], s[20:21], vcc
	s_and_b64 s[0:1], s[12:13], s[0:1]
	ds_write_b128 v4, v[0:3]
	s_waitcnt lgkmcnt(0)
	s_barrier
	s_and_saveexec_b64 s[2:3], s[0:1]
	s_cbranch_execz .LBB18_186
; %bb.185:
	ds_read_b128 v[0:3], v169 offset:1072
	ds_read_b128 v[4:7], v169
	ds_read_b128 v[8:11], v169 offset:2144
	ds_read_b128 v[12:15], v169 offset:3216
	v_ashrrev_i32_e32 v167, 31, v166
	s_waitcnt lgkmcnt(2)
	v_add_f64 v[0:1], v[0:1], v[4:5]
	v_add_f64 v[2:3], v[2:3], v[6:7]
	s_waitcnt lgkmcnt(1)
	v_add_f64 v[0:1], v[0:1], v[8:9]
	v_add_f64 v[2:3], v[2:3], v[10:11]
	;; [unrolled: 3-line block ×3, first 2 shown]
	v_lshl_add_u64 v[4:5], v[166:167], 4, s[6:7]
	global_store_dwordx4 v[4:5], v[0:3], off
.LBB18_186:
	s_endpgm
	.section	.rodata,"a",@progbits
	.p2align	6, 0x0
	.amdhsa_kernel _ZL26rocblas_hemvn_kernel_upperILb1ELi64ELi4ELi33ELi32ELi16EiPK19rocblas_complex_numIdES3_PS1_EviT6_lT7_lT5_lS6_lS7_lS5_lT8_i
		.amdhsa_group_segment_fixed_size 19200
		.amdhsa_private_segment_fixed_size 0
		.amdhsa_kernarg_size 376
		.amdhsa_user_sgpr_count 2
		.amdhsa_user_sgpr_dispatch_ptr 0
		.amdhsa_user_sgpr_queue_ptr 0
		.amdhsa_user_sgpr_kernarg_segment_ptr 1
		.amdhsa_user_sgpr_dispatch_id 0
		.amdhsa_user_sgpr_kernarg_preload_length 0
		.amdhsa_user_sgpr_kernarg_preload_offset 0
		.amdhsa_user_sgpr_private_segment_size 0
		.amdhsa_uses_dynamic_stack 0
		.amdhsa_enable_private_segment 0
		.amdhsa_system_sgpr_workgroup_id_x 1
		.amdhsa_system_sgpr_workgroup_id_y 0
		.amdhsa_system_sgpr_workgroup_id_z 1
		.amdhsa_system_sgpr_workgroup_info 0
		.amdhsa_system_vgpr_workitem_id 1
		.amdhsa_next_free_vgpr 240
		.amdhsa_next_free_sgpr 40
		.amdhsa_accum_offset 240
		.amdhsa_reserve_vcc 1
		.amdhsa_float_round_mode_32 0
		.amdhsa_float_round_mode_16_64 0
		.amdhsa_float_denorm_mode_32 3
		.amdhsa_float_denorm_mode_16_64 3
		.amdhsa_dx10_clamp 1
		.amdhsa_ieee_mode 1
		.amdhsa_fp16_overflow 0
		.amdhsa_tg_split 0
		.amdhsa_exception_fp_ieee_invalid_op 0
		.amdhsa_exception_fp_denorm_src 0
		.amdhsa_exception_fp_ieee_div_zero 0
		.amdhsa_exception_fp_ieee_overflow 0
		.amdhsa_exception_fp_ieee_underflow 0
		.amdhsa_exception_fp_ieee_inexact 0
		.amdhsa_exception_int_div_zero 0
	.end_amdhsa_kernel
	.section	.text._ZL26rocblas_hemvn_kernel_upperILb1ELi64ELi4ELi33ELi32ELi16EiPK19rocblas_complex_numIdES3_PS1_EviT6_lT7_lT5_lS6_lS7_lS5_lT8_i,"axG",@progbits,_ZL26rocblas_hemvn_kernel_upperILb1ELi64ELi4ELi33ELi32ELi16EiPK19rocblas_complex_numIdES3_PS1_EviT6_lT7_lT5_lS6_lS7_lS5_lT8_i,comdat
.Lfunc_end18:
	.size	_ZL26rocblas_hemvn_kernel_upperILb1ELi64ELi4ELi33ELi32ELi16EiPK19rocblas_complex_numIdES3_PS1_EviT6_lT7_lT5_lS6_lS7_lS5_lT8_i, .Lfunc_end18-_ZL26rocblas_hemvn_kernel_upperILb1ELi64ELi4ELi33ELi32ELi16EiPK19rocblas_complex_numIdES3_PS1_EviT6_lT7_lT5_lS6_lS7_lS5_lT8_i
                                        ; -- End function
	.section	.AMDGPU.csdata,"",@progbits
; Kernel info:
; codeLenInByte = 10876
; NumSgprs: 46
; NumVgprs: 240
; NumAgprs: 0
; TotalNumVgprs: 240
; ScratchSize: 0
; MemoryBound: 1
; FloatMode: 240
; IeeeMode: 1
; LDSByteSize: 19200 bytes/workgroup (compile time only)
; SGPRBlocks: 5
; VGPRBlocks: 29
; NumSGPRsForWavesPerEU: 46
; NumVGPRsForWavesPerEU: 240
; AccumOffset: 240
; Occupancy: 2
; WaveLimiterHint : 1
; COMPUTE_PGM_RSRC2:SCRATCH_EN: 0
; COMPUTE_PGM_RSRC2:USER_SGPR: 2
; COMPUTE_PGM_RSRC2:TRAP_HANDLER: 0
; COMPUTE_PGM_RSRC2:TGID_X_EN: 1
; COMPUTE_PGM_RSRC2:TGID_Y_EN: 0
; COMPUTE_PGM_RSRC2:TGID_Z_EN: 1
; COMPUTE_PGM_RSRC2:TIDIG_COMP_CNT: 1
; COMPUTE_PGM_RSRC3_GFX90A:ACCUM_OFFSET: 59
; COMPUTE_PGM_RSRC3_GFX90A:TG_SPLIT: 0
	.section	.text._ZL36rocblas_hemvn_kernel_upper_block_sumILi64EiPK19rocblas_complex_numIdEPS1_S1_EviT1_lS5_lT2_lT0_lPT3_i,"axG",@progbits,_ZL36rocblas_hemvn_kernel_upper_block_sumILi64EiPK19rocblas_complex_numIdEPS1_S1_EviT1_lS5_lT2_lT0_lPT3_i,comdat
	.globl	_ZL36rocblas_hemvn_kernel_upper_block_sumILi64EiPK19rocblas_complex_numIdEPS1_S1_EviT1_lS5_lT2_lT0_lPT3_i ; -- Begin function _ZL36rocblas_hemvn_kernel_upper_block_sumILi64EiPK19rocblas_complex_numIdEPS1_S1_EviT1_lS5_lT2_lT0_lPT3_i
	.p2align	8
	.type	_ZL36rocblas_hemvn_kernel_upper_block_sumILi64EiPK19rocblas_complex_numIdEPS1_S1_EviT1_lS5_lT2_lT0_lPT3_i,@function
_ZL36rocblas_hemvn_kernel_upper_block_sumILi64EiPK19rocblas_complex_numIdEPS1_S1_EviT1_lS5_lT2_lT0_lPT3_i: ; @_ZL36rocblas_hemvn_kernel_upper_block_sumILi64EiPK19rocblas_complex_numIdEPS1_S1_EviT1_lS5_lT2_lT0_lPT3_i
; %bb.0:
	s_load_dwordx8 s[4:11], s[0:1], 0x8
	s_waitcnt lgkmcnt(0)
	s_mul_i32 s7, s3, s7
	s_mul_hi_u32 s12, s3, s6
	s_add_i32 s7, s12, s7
	s_mul_i32 s6, s3, s6
	s_lshl_b64 s[6:7], s[6:7], 4
	s_add_u32 s4, s4, s6
	s_addc_u32 s5, s5, s7
	s_load_dwordx4 s[12:15], s[4:5], 0x0
	s_mul_i32 s4, s3, s11
	s_mul_hi_u32 s5, s3, s10
	s_add_i32 s5, s5, s4
	s_mul_i32 s4, s3, s10
	s_lshl_b64 s[4:5], s[4:5], 4
	s_add_u32 s4, s8, s4
	s_addc_u32 s5, s9, s5
	s_load_dwordx4 s[8:11], s[4:5], 0x0
	s_waitcnt lgkmcnt(0)
	v_cmp_neq_f64_e64 s[4:5], s[12:13], 0
	v_cmp_neq_f64_e64 s[6:7], s[14:15], 0
	s_or_b64 s[16:17], s[4:5], s[6:7]
	s_mov_b64 s[4:5], -1
	s_and_b64 vcc, exec, s[16:17]
	s_cbranch_vccnz .LBB19_2
; %bb.1:
	v_cmp_neq_f64_e64 s[4:5], s[8:9], 1.0
	v_cmp_neq_f64_e64 s[6:7], s[10:11], 0
	s_or_b64 s[4:5], s[4:5], s[6:7]
.LBB19_2:
	s_andn2_b64 vcc, exec, s[4:5]
	s_cbranch_vccnz .LBB19_22
; %bb.3:
	s_load_dwordx4 s[4:7], s[0:1], 0x40
	s_load_dword s26, s[0:1], 0x38
	s_load_dwordx4 s[28:31], s[0:1], 0x28
	s_load_dword s20, s[0:1], 0x0
	v_lshl_or_b32 v4, s2, 6, v0
	s_waitcnt lgkmcnt(0)
	s_mul_i32 s5, s3, s5
	s_mul_hi_u32 s18, s3, s4
	s_add_i32 s5, s18, s5
	s_mul_i32 s4, s3, s4
	s_lshl_b64 s[4:5], s[4:5], 4
	s_xor_b64 s[18:19], s[16:17], -1
	s_add_u32 s16, s28, s4
	s_addc_u32 s17, s29, s5
	s_lshl_b64 s[4:5], s[30:31], 4
	s_add_u32 s16, s16, s4
	s_addc_u32 s17, s17, s5
	s_andn2_b64 vcc, exec, s[18:19]
	v_cmp_gt_i32_e64 s[4:5], s20, v4
	s_cbranch_vccnz .LBB19_8
; %bb.4:
	s_mov_b64 s[22:23], 0
	s_mov_b64 s[18:19], 0
                                        ; implicit-def: $vgpr2_vgpr3
                                        ; implicit-def: $vgpr6_vgpr7
	s_and_saveexec_b64 s[24:25], s[4:5]
	s_cbranch_execz .LBB19_9
; %bb.5:
	v_cmp_neq_f64_e64 s[4:5], s[8:9], 0
	v_cmp_neq_f64_e64 s[18:19], s[10:11], 0
	v_mov_b64_e32 v[2:3], 0
	v_mul_lo_u32 v6, v4, s26
	s_or_b64 s[4:5], s[4:5], s[18:19]
	v_ashrrev_i32_e32 v7, 31, v6
	s_andn2_b64 vcc, exec, s[4:5]
	v_mov_b64_e32 v[0:1], v[2:3]
	s_cbranch_vccnz .LBB19_7
; %bb.6:
	v_lshl_add_u64 v[0:1], v[6:7], 4, s[16:17]
	global_load_dwordx4 v[8:11], v[0:1], off
	s_waitcnt vmcnt(0)
	v_mul_f64 v[0:1], s[10:11], v[10:11]
	v_mul_f64 v[2:3], s[8:9], v[10:11]
	v_fma_f64 v[0:1], s[8:9], v[8:9], -v[0:1]
	v_fmac_f64_e32 v[2:3], s[10:11], v[8:9]
.LBB19_7:
	s_mov_b64 s[18:19], exec
	s_or_b64 exec, exec, s[24:25]
	s_and_b64 vcc, exec, s[22:23]
	s_cbranch_vccnz .LBB19_10
	s_branch .LBB19_20
.LBB19_8:
	s_mov_b64 s[18:19], 0
                                        ; implicit-def: $vgpr2_vgpr3
                                        ; implicit-def: $vgpr6_vgpr7
	s_cbranch_execnz .LBB19_10
	s_branch .LBB19_20
.LBB19_9:
	s_or_b64 exec, exec, s[24:25]
	s_and_b64 vcc, exec, s[22:23]
	s_cbranch_vccz .LBB19_20
.LBB19_10:
	v_cmp_gt_i32_e32 vcc, s20, v4
                                        ; implicit-def: $vgpr2_vgpr3
                                        ; implicit-def: $vgpr6_vgpr7
	s_and_saveexec_b64 s[4:5], vcc
	s_cbranch_execz .LBB19_19
; %bb.11:
	v_mov_b64_e32 v[0:1], 0
	s_cmp_lt_i32 s2, 0
	v_mov_b64_e32 v[8:9], v[0:1]
	s_cbranch_scc1 .LBB19_14
; %bb.12:
	s_load_dword s0, s[0:1], 0x58
	s_ashr_i32 s21, s20, 31
	s_mul_hi_u32 s1, s20, s3
	s_mul_i32 s22, s21, s3
	s_add_i32 s1, s1, s22
	s_mul_i32 s3, s20, s3
	s_waitcnt lgkmcnt(0)
	s_mul_i32 s1, s1, s0
	s_mul_hi_u32 s22, s3, s0
	s_add_i32 s1, s22, s1
	s_mul_i32 s0, s3, s0
	s_add_i32 s2, s2, 1
	s_lshl_b64 s[0:1], s[0:1], 4
	s_add_u32 s0, s6, s0
	v_mov_b32_e32 v5, 0
	s_addc_u32 s1, s7, s1
	v_lshl_add_u64 v[0:1], v[4:5], 4, s[0:1]
	v_lshl_add_u64 v[2:3], v[0:1], 0, 8
	v_mov_b64_e32 v[0:1], 0
	s_lshl_b64 s[0:1], s[20:21], 4
	v_mov_b64_e32 v[8:9], v[0:1]
.LBB19_13:                              ; =>This Inner Loop Header: Depth=1
	global_load_dwordx4 v[10:13], v[2:3], off offset:-8
	s_add_i32 s2, s2, -1
	v_lshl_add_u64 v[2:3], v[2:3], 0, s[0:1]
	s_cmp_eq_u32 s2, 0
	s_waitcnt vmcnt(0)
	v_add_f64 v[8:9], v[8:9], v[10:11]
	v_add_f64 v[0:1], v[0:1], v[12:13]
	s_cbranch_scc0 .LBB19_13
.LBB19_14:
	v_cmp_neq_f64_e64 s[2:3], s[8:9], 0
	v_cmp_neq_f64_e64 s[6:7], s[10:11], 0
	s_or_b64 s[2:3], s[2:3], s[6:7]
	v_mul_f64 v[10:11], s[14:15], v[0:1]
	v_mul_f64 v[2:3], s[12:13], v[0:1]
	v_mul_lo_u32 v6, v4, s26
	s_mov_b64 s[0:1], 0
	s_andn2_b64 vcc, exec, s[2:3]
	v_fma_f64 v[0:1], s[12:13], v[8:9], -v[10:11]
	v_fmac_f64_e32 v[2:3], s[14:15], v[8:9]
	v_ashrrev_i32_e32 v7, 31, v6
	s_cbranch_vccnz .LBB19_16
; %bb.15:
	s_mov_b64 s[0:1], -1
.LBB19_16:
	s_andn2_b64 vcc, exec, s[0:1]
	s_cbranch_vccnz .LBB19_18
; %bb.17:
	v_lshl_add_u64 v[4:5], v[6:7], 4, s[16:17]
	global_load_dwordx4 v[8:11], v[4:5], off
	s_waitcnt vmcnt(0)
	v_mul_f64 v[4:5], s[10:11], v[10:11]
	v_mul_f64 v[10:11], s[8:9], v[10:11]
	v_fma_f64 v[4:5], s[8:9], v[8:9], -v[4:5]
	v_fmac_f64_e32 v[10:11], s[10:11], v[8:9]
	v_add_f64 v[0:1], v[0:1], v[4:5]
	v_add_f64 v[2:3], v[2:3], v[10:11]
.LBB19_18:
	s_or_b64 s[18:19], s[18:19], exec
.LBB19_19:
	s_or_b64 exec, exec, s[4:5]
.LBB19_20:
	s_and_saveexec_b64 s[0:1], s[18:19]
	s_cbranch_execz .LBB19_22
; %bb.21:
	v_lshl_add_u64 v[4:5], v[6:7], 4, s[16:17]
	global_store_dwordx4 v[4:5], v[0:3], off
.LBB19_22:
	s_endpgm
	.section	.rodata,"a",@progbits
	.p2align	6, 0x0
	.amdhsa_kernel _ZL36rocblas_hemvn_kernel_upper_block_sumILi64EiPK19rocblas_complex_numIdEPS1_S1_EviT1_lS5_lT2_lT0_lPT3_i
		.amdhsa_group_segment_fixed_size 0
		.amdhsa_private_segment_fixed_size 0
		.amdhsa_kernarg_size 344
		.amdhsa_user_sgpr_count 2
		.amdhsa_user_sgpr_dispatch_ptr 0
		.amdhsa_user_sgpr_queue_ptr 0
		.amdhsa_user_sgpr_kernarg_segment_ptr 1
		.amdhsa_user_sgpr_dispatch_id 0
		.amdhsa_user_sgpr_kernarg_preload_length 0
		.amdhsa_user_sgpr_kernarg_preload_offset 0
		.amdhsa_user_sgpr_private_segment_size 0
		.amdhsa_uses_dynamic_stack 0
		.amdhsa_enable_private_segment 0
		.amdhsa_system_sgpr_workgroup_id_x 1
		.amdhsa_system_sgpr_workgroup_id_y 0
		.amdhsa_system_sgpr_workgroup_id_z 1
		.amdhsa_system_sgpr_workgroup_info 0
		.amdhsa_system_vgpr_workitem_id 0
		.amdhsa_next_free_vgpr 14
		.amdhsa_next_free_sgpr 32
		.amdhsa_accum_offset 16
		.amdhsa_reserve_vcc 1
		.amdhsa_float_round_mode_32 0
		.amdhsa_float_round_mode_16_64 0
		.amdhsa_float_denorm_mode_32 3
		.amdhsa_float_denorm_mode_16_64 3
		.amdhsa_dx10_clamp 1
		.amdhsa_ieee_mode 1
		.amdhsa_fp16_overflow 0
		.amdhsa_tg_split 0
		.amdhsa_exception_fp_ieee_invalid_op 0
		.amdhsa_exception_fp_denorm_src 0
		.amdhsa_exception_fp_ieee_div_zero 0
		.amdhsa_exception_fp_ieee_overflow 0
		.amdhsa_exception_fp_ieee_underflow 0
		.amdhsa_exception_fp_ieee_inexact 0
		.amdhsa_exception_int_div_zero 0
	.end_amdhsa_kernel
	.section	.text._ZL36rocblas_hemvn_kernel_upper_block_sumILi64EiPK19rocblas_complex_numIdEPS1_S1_EviT1_lS5_lT2_lT0_lPT3_i,"axG",@progbits,_ZL36rocblas_hemvn_kernel_upper_block_sumILi64EiPK19rocblas_complex_numIdEPS1_S1_EviT1_lS5_lT2_lT0_lPT3_i,comdat
.Lfunc_end19:
	.size	_ZL36rocblas_hemvn_kernel_upper_block_sumILi64EiPK19rocblas_complex_numIdEPS1_S1_EviT1_lS5_lT2_lT0_lPT3_i, .Lfunc_end19-_ZL36rocblas_hemvn_kernel_upper_block_sumILi64EiPK19rocblas_complex_numIdEPS1_S1_EviT1_lS5_lT2_lT0_lPT3_i
                                        ; -- End function
	.section	.AMDGPU.csdata,"",@progbits
; Kernel info:
; codeLenInByte = 764
; NumSgprs: 38
; NumVgprs: 14
; NumAgprs: 0
; TotalNumVgprs: 14
; ScratchSize: 0
; MemoryBound: 0
; FloatMode: 240
; IeeeMode: 1
; LDSByteSize: 0 bytes/workgroup (compile time only)
; SGPRBlocks: 4
; VGPRBlocks: 1
; NumSGPRsForWavesPerEU: 38
; NumVGPRsForWavesPerEU: 14
; AccumOffset: 16
; Occupancy: 8
; WaveLimiterHint : 0
; COMPUTE_PGM_RSRC2:SCRATCH_EN: 0
; COMPUTE_PGM_RSRC2:USER_SGPR: 2
; COMPUTE_PGM_RSRC2:TRAP_HANDLER: 0
; COMPUTE_PGM_RSRC2:TGID_X_EN: 1
; COMPUTE_PGM_RSRC2:TGID_Y_EN: 0
; COMPUTE_PGM_RSRC2:TGID_Z_EN: 1
; COMPUTE_PGM_RSRC2:TIDIG_COMP_CNT: 0
; COMPUTE_PGM_RSRC3_GFX90A:ACCUM_OFFSET: 3
; COMPUTE_PGM_RSRC3_GFX90A:TG_SPLIT: 0
	.section	.text._ZL26rocblas_hemvn_kernel_upperILb1ELi64ELi4ELi33ELi32ELi16El19rocblas_complex_numIdEPKS1_PS1_EviT6_lT7_lT5_lS6_lS7_lS5_lT8_i,"axG",@progbits,_ZL26rocblas_hemvn_kernel_upperILb1ELi64ELi4ELi33ELi32ELi16El19rocblas_complex_numIdEPKS1_PS1_EviT6_lT7_lT5_lS6_lS7_lS5_lT8_i,comdat
	.globl	_ZL26rocblas_hemvn_kernel_upperILb1ELi64ELi4ELi33ELi32ELi16El19rocblas_complex_numIdEPKS1_PS1_EviT6_lT7_lT5_lS6_lS7_lS5_lT8_i ; -- Begin function _ZL26rocblas_hemvn_kernel_upperILb1ELi64ELi4ELi33ELi32ELi16El19rocblas_complex_numIdEPKS1_PS1_EviT6_lT7_lT5_lS6_lS7_lS5_lT8_i
	.p2align	8
	.type	_ZL26rocblas_hemvn_kernel_upperILb1ELi64ELi4ELi33ELi32ELi16El19rocblas_complex_numIdEPKS1_PS1_EviT6_lT7_lT5_lS6_lS7_lS5_lT8_i,@function
_ZL26rocblas_hemvn_kernel_upperILb1ELi64ELi4ELi33ELi32ELi16El19rocblas_complex_numIdEPKS1_PS1_EviT6_lT7_lT5_lS6_lS7_lS5_lT8_i: ; @_ZL26rocblas_hemvn_kernel_upperILb1ELi64ELi4ELi33ELi32ELi16El19rocblas_complex_numIdEPKS1_PS1_EviT6_lT7_lT5_lS6_lS7_lS5_lT8_i
; %bb.0:
	s_load_dwordx2 s[6:7], s[0:1], 0x94
	s_add_u32 s4, s0, 0x88
	s_addc_u32 s5, s1, 0
	s_waitcnt lgkmcnt(0)
	s_lshr_b32 s8, s6, 16
	s_and_b32 s6, s6, 0xffff
	s_and_b32 s7, s7, 0xffff
	s_mul_i32 s6, s8, s6
	s_mul_i32 s6, s6, s7
	s_cmpk_lg_i32 s6, 0x100
	s_cbranch_scc1 .LBB20_186
; %bb.1:
	s_load_dwordx4 s[8:11], s[0:1], 0x8
	s_waitcnt lgkmcnt(0)
	v_cmp_neq_f64_e64 s[6:7], s[8:9], 0
	v_cmp_neq_f64_e64 s[8:9], s[10:11], 0
	s_or_b64 s[6:7], s[6:7], s[8:9]
	s_mov_b64 s[8:9], -1
	s_and_b64 vcc, exec, s[6:7]
	s_cbranch_vccnz .LBB20_3
; %bb.2:
	s_load_dwordx4 s[8:11], s[0:1], 0x60
	s_waitcnt lgkmcnt(0)
	v_cmp_neq_f64_e64 s[8:9], s[8:9], 1.0
	v_cmp_neq_f64_e64 s[10:11], s[10:11], 0
	s_or_b64 s[8:9], s[8:9], s[10:11]
.LBB20_3:
	s_andn2_b64 vcc, exec, s[8:9]
	s_cbranch_vccnz .LBB20_186
; %bb.4:
	s_andn2_b64 vcc, exec, s[6:7]
	s_cbranch_vccnz .LBB20_186
; %bb.5:
	s_load_dwordx16 s[16:31], s[0:1], 0x20
	s_load_dword s33, s[4:5], 0x0
	s_load_dword s34, s[0:1], 0x0
	v_and_b32_e32 v204, 0x3ff, v0
	v_bfe_u32 v205, v0, 10, 10
	s_waitcnt lgkmcnt(0)
	s_mul_i32 s5, s3, s31
	s_mul_hi_u32 s6, s3, s30
	s_mul_i32 s4, s3, s30
	s_add_i32 s5, s6, s5
	s_lshl_b64 s[4:5], s[4:5], 4
	s_add_u32 s6, s24, s4
	s_addc_u32 s7, s25, s5
	s_lshl_b64 s[4:5], s[26:27], 4
	s_add_u32 s4, s6, s4
	s_addc_u32 s5, s7, s5
	s_ashr_i32 s31, s34, 31
	s_lshr_b32 s7, s31, 26
	s_lshl_b32 s26, s2, 6
	s_add_i32 s7, s34, s7
	s_andn2_b32 s7, s7, 63
	v_add_u32_e32 v166, s26, v204
	s_add_i32 s6, s33, -1
	s_sub_i32 s30, s34, s7
	v_ashrrev_i32_e32 v167, 31, v166
	s_cmp_eq_u32 s2, s6
	v_mul_lo_u32 v2, v167, s28
	v_mul_lo_u32 v3, v166, s29
	v_mad_u64_u32 v[0:1], s[6:7], v166, s28, 0
	v_add3_u32 v1, v1, v3, v2
	s_cselect_b32 s24, s30, 0
	v_lshl_add_u64 v[36:37], v[0:1], 4, s[4:5]
	v_cmp_eq_u32_e64 s[4:5], 0, v205
	s_and_saveexec_b64 s[6:7], s[4:5]
	s_cbranch_execz .LBB20_10
; %bb.6:
	s_cmp_lg_u32 s24, 0
	s_cselect_b64 s[8:9], -1, 0
	v_cmp_le_i32_e32 vcc, s24, v204
	v_mov_b32_e32 v0, 0x4700
	s_and_b64 s[8:9], s[8:9], vcc
	v_lshl_add_u32 v0, v204, 4, v0
	s_and_saveexec_b64 s[10:11], s[8:9]
	s_xor_b64 s[8:9], exec, s[10:11]
	s_cbranch_execz .LBB20_8
; %bb.7:
	v_mov_b32_e32 v2, 0
	v_mov_b32_e32 v3, v2
	;; [unrolled: 1-line block ×4, first 2 shown]
	ds_write_b128 v0, v[2:5]
                                        ; implicit-def: $vgpr0
.LBB20_8:
	s_andn2_saveexec_b64 s[8:9], s[8:9]
	s_cbranch_execz .LBB20_10
; %bb.9:
	global_load_dwordx4 v[2:5], v[36:37], off
	s_waitcnt vmcnt(0)
	ds_write2_b64 v0, v[2:3], v[4:5] offset1:1
.LBB20_10:
	s_or_b64 exec, exec, s[6:7]
	s_mul_i32 s6, s3, s23
	s_mul_hi_u32 s7, s3, s22
	s_add_i32 s7, s7, s6
	s_mul_i32 s6, s3, s22
	s_lshl_b64 s[6:7], s[6:7], 4
	s_add_u32 s8, s16, s6
	s_addc_u32 s9, s17, s7
	s_lshl_b64 s[6:7], s[18:19], 4
	s_add_u32 s8, s8, s6
	s_addc_u32 s9, s9, s7
	s_ashr_i32 s27, s26, 31
	v_lshl_add_u32 v42, v205, 6, v204
	s_lshl_b64 s[6:7], s[26:27], 4
	v_and_b32_e32 v4, 31, v204
	v_lshrrev_b32_e32 v14, 5, v42
	s_add_u32 s8, s8, s6
	v_mov_b32_e32 v5, 0
	s_addc_u32 s9, s9, s7
	v_mad_u64_u32 v[38:39], s[6:7], v14, s20, v[4:5]
	v_mov_b32_e32 v0, v39
	v_mad_u64_u32 v[0:1], s[6:7], v14, s21, v[0:1]
	s_mul_i32 s6, s26, s21
	s_mul_hi_u32 s7, s26, s20
	s_add_i32 s6, s7, s6
	s_mul_i32 s7, s27, s20
	s_add_i32 s7, s6, s7
	s_mul_i32 s6, s26, s20
	s_lshl_b64 s[6:7], s[6:7], 4
	s_add_u32 s6, s6, s8
	s_addc_u32 s7, s7, s9
	s_cmp_eq_u32 s24, 0
	s_cselect_b64 s[18:19], -1, 0
	s_cmp_lg_u32 s24, 0
	v_mov_b32_e32 v39, v0
	s_cselect_b64 s[22:23], -1, 0
	v_lshl_add_u64 v[0:1], v[38:39], 4, s[6:7]
	s_and_b64 vcc, exec, s[22:23]
	v_cmp_gt_i32_e64 s[6:7], s24, v4
	v_lshlrev_b32_e32 v6, 4, v4
	v_mul_u32_u24_e32 v5, 33, v14
	s_mul_i32 s35, s21, 0x180
	s_cbranch_vccz .LBB20_28
; %bb.11:
	v_sub_co_u32_e32 v2, vcc, v0, v6
	s_ashr_i32 s25, s24, 31
	s_nop 0
	v_subbrev_co_u32_e32 v3, vcc, 0, v1, vcc
	v_lshl_add_u64 v[2:3], s[24:25], 4, v[2:3]
	v_lshl_add_u64 v[2:3], v[2:3], 0, -16
	v_cndmask_b32_e64 v3, v3, v1, s[6:7]
	v_cndmask_b32_e64 v2, v2, v0, s[6:7]
	v_cmp_le_i32_e32 vcc, s24, v14
	v_add_lshl_u32 v7, v5, v4, 4
	s_and_saveexec_b64 s[8:9], vcc
	s_xor_b64 s[8:9], exec, s[8:9]
	s_cbranch_execz .LBB20_13
; %bb.12:
	v_mov_b32_e32 v8, 0
	v_mov_b32_e32 v9, v8
	;; [unrolled: 1-line block ×4, first 2 shown]
	ds_write_b128 v7, v[8:11]
.LBB20_13:
	s_andn2_saveexec_b64 s[8:9], s[8:9]
	s_cbranch_execz .LBB20_15
; %bb.14:
	global_load_dwordx4 v[8:11], v[2:3], off
	s_waitcnt vmcnt(0)
	ds_write2_b64 v7, v[8:9], v[10:11] offset1:1
.LBB20_15:
	s_or_b64 exec, exec, s[8:9]
	v_add_u32_e32 v8, 8, v14
	v_cmp_le_i32_e32 vcc, s24, v8
	s_and_saveexec_b64 s[8:9], vcc
	s_xor_b64 s[8:9], exec, s[8:9]
	s_cbranch_execz .LBB20_17
; %bb.16:
	v_mul_u32_u24_e32 v8, 33, v8
	v_add_lshl_u32 v12, v8, v4, 4
	v_mov_b32_e32 v8, 0
	v_mov_b32_e32 v9, v8
	;; [unrolled: 1-line block ×4, first 2 shown]
	ds_write_b128 v12, v[8:11]
.LBB20_17:
	s_andn2_saveexec_b64 s[8:9], s[8:9]
	s_cbranch_execz .LBB20_19
; %bb.18:
	s_lshl_b64 s[10:11], s[20:21], 7
	v_lshl_add_u64 v[8:9], v[2:3], 0, s[10:11]
	global_load_dwordx4 v[8:11], v[8:9], off
	v_add_u32_e32 v12, 0x1080, v7
	s_waitcnt vmcnt(0)
	ds_write2_b64 v12, v[8:9], v[10:11] offset1:1
.LBB20_19:
	s_or_b64 exec, exec, s[8:9]
	v_add_u32_e32 v8, 16, v14
	v_cmp_le_i32_e32 vcc, s24, v8
	s_and_saveexec_b64 s[8:9], vcc
	s_xor_b64 s[8:9], exec, s[8:9]
	s_cbranch_execz .LBB20_21
; %bb.20:
	v_mov_b32_e32 v8, 0
	v_mov_b32_e32 v9, v8
	;; [unrolled: 1-line block ×4, first 2 shown]
	ds_write_b128 v7, v[8:11] offset:8448
.LBB20_21:
	s_andn2_saveexec_b64 s[8:9], s[8:9]
	s_cbranch_execz .LBB20_23
; %bb.22:
	s_lshl_b64 s[10:11], s[20:21], 8
	v_lshl_add_u64 v[8:9], v[2:3], 0, s[10:11]
	global_load_dwordx4 v[8:11], v[8:9], off
	v_add_u32_e32 v12, 0x2100, v7
	s_waitcnt vmcnt(0)
	ds_write2_b64 v12, v[8:9], v[10:11] offset1:1
.LBB20_23:
	s_or_b64 exec, exec, s[8:9]
	v_add_u32_e32 v8, 24, v14
	v_cmp_le_i32_e32 vcc, s24, v8
	s_and_saveexec_b64 s[8:9], vcc
	s_xor_b64 s[8:9], exec, s[8:9]
	s_cbranch_execz .LBB20_25
; %bb.24:
	v_mov_b32_e32 v8, 0
	v_mov_b32_e32 v9, v8
	;; [unrolled: 1-line block ×4, first 2 shown]
	ds_write_b128 v7, v[8:11] offset:12672
                                        ; implicit-def: $vgpr7
.LBB20_25:
	s_andn2_saveexec_b64 s[8:9], s[8:9]
	s_cbranch_execz .LBB20_27
; %bb.26:
	v_mov_b32_e32 v8, 0x180
	v_mad_u64_u32 v[8:9], s[10:11], s20, v8, v[2:3]
	v_add_u32_e32 v9, s35, v9
	global_load_dwordx4 v[8:11], v[8:9], off
	v_add_u32_e32 v7, 0x3180, v7
	s_waitcnt vmcnt(0)
	ds_write2_b64 v7, v[8:9], v[10:11] offset1:1
.LBB20_27:
	s_or_b64 exec, exec, s[8:9]
	v_mov_b32_e32 v7, 0
	v_lshl_add_u64 v[2:3], v[2:3], 0, v[6:7]
	s_lshl_b64 s[8:9], s[24:25], 4
	v_mov_b32_e32 v7, s9
	v_subrev_co_u32_e32 v2, vcc, s8, v2
	s_nop 1
	v_subb_co_u32_e32 v3, vcc, v3, v7, vcc
	v_lshl_add_u64 v[2:3], v[2:3], 0, 16
	v_cndmask_b32_e64 v9, v3, v1, s[6:7]
	v_cndmask_b32_e64 v8, v2, v0, s[6:7]
	s_branch .LBB20_30
.LBB20_28:
                                        ; implicit-def: $vgpr8_vgpr9
	s_cbranch_execz .LBB20_30
; %bb.29:
	s_lshl_b64 s[6:7], s[20:21], 7
	v_lshl_add_u64 v[2:3], v[0:1], 0, s[6:7]
	global_load_dwordx4 v[8:11], v[0:1], off
	global_load_dwordx4 v[16:19], v[2:3], off
	v_lshl_add_u64 v[2:3], v[2:3], 0, s[6:7]
	global_load_dwordx4 v[20:23], v[2:3], off
	v_mov_b32_e32 v2, 0x180
	v_mad_u64_u32 v[2:3], s[6:7], s20, v2, v[0:1]
	v_add_u32_e32 v3, s35, v3
	global_load_dwordx4 v[24:27], v[2:3], off
	v_add_lshl_u32 v2, v5, v4, 4
	v_add_u32_e32 v3, 0x1080, v2
	v_add_u32_e32 v7, 0x2100, v2
	;; [unrolled: 1-line block ×3, first 2 shown]
	s_waitcnt vmcnt(3)
	ds_write2_b64 v2, v[8:9], v[10:11] offset1:1
	s_waitcnt vmcnt(2)
	ds_write2_b64 v3, v[16:17], v[18:19] offset1:1
	;; [unrolled: 2-line block ×4, first 2 shown]
	v_mov_b64_e32 v[8:9], v[0:1]
.LBB20_30:
	v_lshlrev_b32_e32 v19, 2, v14
	v_cmp_le_u32_e64 s[6:7], v19, v4
	s_waitcnt lgkmcnt(0)
	s_barrier
	s_and_saveexec_b64 s[8:9], s[6:7]
	s_xor_b64 s[8:9], exec, s[8:9]
	s_cbranch_execz .LBB20_34
; %bb.31:
	v_cmp_eq_u32_e32 vcc, v19, v4
	s_and_saveexec_b64 s[10:11], vcc
	s_cbranch_execz .LBB20_33
; %bb.32:
	v_mul_u32_u24_e32 v0, 34, v4
	v_lshlrev_b32_e32 v2, 4, v0
	v_mov_b32_e32 v0, 0
	v_mov_b32_e32 v1, v0
	ds_write_b64 v2, v[0:1] offset:8
.LBB20_33:
	s_or_b64 exec, exec, s[10:11]
.LBB20_34:
	s_or_saveexec_b64 s[8:9], s[8:9]
	v_mul_u32_u24_e32 v15, 33, v4
	v_add_lshl_u32 v17, v19, v15, 4
	s_xor_b64 exec, exec, s[8:9]
	s_cbranch_execz .LBB20_36
; %bb.35:
	v_mul_u32_u24_e32 v0, 0x84, v14
	v_add_lshl_u32 v0, v0, v4, 4
	ds_read_b128 v[0:3], v0
	s_waitcnt lgkmcnt(0)
	v_xor_b32_e32 v3, 0x80000000, v3
	ds_write_b128 v17, v[0:3]
.LBB20_36:
	s_or_b64 exec, exec, s[8:9]
	v_or_b32_e32 v18, 1, v19
	v_cmp_ge_u32_e64 s[8:9], v19, v4
	v_mul_u32_u24_e32 v0, 33, v18
	s_and_saveexec_b64 s[10:11], s[8:9]
	s_xor_b64 s[10:11], exec, s[10:11]
	s_cbranch_execz .LBB20_38
; %bb.37:
	v_add_lshl_u32 v1, v0, v4, 4
	ds_read_b128 v[10:13], v1
	s_waitcnt lgkmcnt(0)
	v_xor_b32_e32 v13, 0x80000000, v13
	ds_write_b128 v17, v[10:13] offset:16
.LBB20_38:
	s_andn2_saveexec_b64 s[10:11], s[10:11]
	s_cbranch_execz .LBB20_42
; %bb.39:
	v_cmp_eq_u32_e32 vcc, v18, v4
	s_and_saveexec_b64 s[12:13], vcc
	s_cbranch_execz .LBB20_41
; %bb.40:
	v_mul_u32_u24_e32 v1, 34, v4
	v_mov_b32_e32 v2, 0
	v_lshlrev_b32_e32 v1, 4, v1
	v_mov_b32_e32 v3, v2
	ds_write_b64 v1, v[2:3] offset:8
.LBB20_41:
	s_or_b64 exec, exec, s[12:13]
.LBB20_42:
	s_or_b64 exec, exec, s[10:11]
	v_or_b32_e32 v20, 2, v19
	v_cmp_le_u32_e64 s[10:11], v20, v4
	s_and_saveexec_b64 s[12:13], s[10:11]
	s_xor_b64 s[12:13], exec, s[12:13]
	s_cbranch_execz .LBB20_46
; %bb.43:
	v_cmp_eq_u32_e32 vcc, v20, v4
	s_and_saveexec_b64 s[14:15], vcc
	s_cbranch_execz .LBB20_45
; %bb.44:
	v_mul_u32_u24_e32 v1, 34, v4
	v_mov_b32_e32 v2, 0
	v_lshlrev_b32_e32 v1, 4, v1
	v_mov_b32_e32 v3, v2
	ds_write_b64 v1, v[2:3] offset:8
.LBB20_45:
	s_or_b64 exec, exec, s[14:15]
.LBB20_46:
	s_andn2_saveexec_b64 s[12:13], s[12:13]
	s_cbranch_execz .LBB20_48
; %bb.47:
	v_mul_u32_u24_e32 v1, 33, v20
	v_add_lshl_u32 v1, v1, v4, 4
	ds_read_b128 v[10:13], v1
	s_waitcnt lgkmcnt(0)
	v_xor_b32_e32 v13, 0x80000000, v13
	ds_write_b128 v17, v[10:13] offset:32
.LBB20_48:
	s_or_b64 exec, exec, s[12:13]
	v_or_b32_e32 v21, 3, v19
	v_cmp_le_u32_e64 s[12:13], v21, v4
	s_and_saveexec_b64 s[14:15], s[12:13]
	s_xor_b64 s[14:15], exec, s[14:15]
	s_cbranch_execz .LBB20_52
; %bb.49:
	v_cmp_eq_u32_e32 vcc, v21, v4
	s_and_saveexec_b64 s[16:17], vcc
	s_cbranch_execz .LBB20_51
; %bb.50:
	v_mul_u32_u24_e32 v1, 34, v4
	v_mov_b32_e32 v2, 0
	v_lshlrev_b32_e32 v1, 4, v1
	v_mov_b32_e32 v3, v2
	ds_write_b64 v1, v[2:3] offset:8
.LBB20_51:
	s_or_b64 exec, exec, s[16:17]
.LBB20_52:
	s_andn2_saveexec_b64 s[14:15], s[14:15]
	s_cbranch_execz .LBB20_54
; %bb.53:
	v_mul_u32_u24_e32 v1, 33, v21
	v_add_lshl_u32 v1, v1, v4, 4
	ds_read_b128 v[10:13], v1
	s_waitcnt lgkmcnt(0)
	v_xor_b32_e32 v13, 0x80000000, v13
	ds_write_b128 v17, v[10:13] offset:48
.LBB20_54:
	s_or_b64 exec, exec, s[14:15]
	v_mul_u32_u24_e32 v1, 0x84, v14
	v_lshlrev_b32_e32 v22, 4, v19
	s_waitcnt lgkmcnt(0)
	s_barrier
	v_add_lshl_u32 v16, v1, v4, 4
	ds_read_b128 v[10:13], v22 offset:18176
	ds_read_b128 v[24:27], v22 offset:18192
	ds_read_b128 v[28:31], v16
	ds_read_b128 v[32:35], v22 offset:18208
	ds_read_b128 v[46:49], v22 offset:18224
	v_add_lshl_u32 v45, v0, v4, 4
	ds_read_b128 v[0:3], v45
	s_waitcnt lgkmcnt(3)
	v_mul_f64 v[40:41], v[12:13], v[30:31]
	v_fma_f64 v[40:41], v[10:11], v[28:29], -v[40:41]
	v_mul_f64 v[10:11], v[10:11], v[30:31]
	v_fmac_f64_e32 v[10:11], v[12:13], v[28:29]
	v_add_f64 v[30:31], v[10:11], 0
	s_waitcnt lgkmcnt(0)
	v_mul_f64 v[10:11], v[26:27], v[2:3]
	v_add_f64 v[28:29], v[40:41], 0
	v_fma_f64 v[40:41], v[24:25], v[0:1], -v[10:11]
	v_mul_f64 v[2:3], v[24:25], v[2:3]
	ds_read_b128 v[10:13], v45 offset:528
	v_fmac_f64_e32 v[2:3], v[26:27], v[0:1]
	v_add_f64 v[26:27], v[30:31], v[2:3]
	ds_read_b128 v[0:3], v45 offset:1056
	v_add_f64 v[24:25], v[28:29], v[40:41]
	s_waitcnt lgkmcnt(1)
	v_mul_f64 v[28:29], v[34:35], v[12:13]
	v_fma_f64 v[28:29], v[32:33], v[10:11], -v[28:29]
	v_mul_f64 v[12:13], v[32:33], v[12:13]
	v_fmac_f64_e32 v[12:13], v[34:35], v[10:11]
	v_add_f64 v[10:11], v[24:25], v[28:29]
	s_waitcnt lgkmcnt(0)
	v_mul_f64 v[24:25], v[48:49], v[2:3]
	v_mul_f64 v[2:3], v[46:47], v[2:3]
	v_add_f64 v[12:13], v[26:27], v[12:13]
	v_fma_f64 v[24:25], v[46:47], v[0:1], -v[24:25]
	v_fmac_f64_e32 v[2:3], v[48:49], v[0:1]
	v_add_f64 v[0:1], v[10:11], v[24:25]
	v_add_f64 v[2:3], v[12:13], v[2:3]
	v_add_lshl_u32 v44, v14, v15, 4
	s_barrier
	ds_write_b128 v44, v[0:3]
	v_mov_b64_e32 v[0:1], 0
	v_cmp_gt_u32_e64 s[14:15], 32, v42
	v_lshlrev_b32_e32 v43, 4, v15
	v_mov_b64_e32 v[2:3], v[0:1]
	s_waitcnt lgkmcnt(0)
	s_barrier
	s_and_saveexec_b64 s[16:17], s[14:15]
	s_cbranch_execz .LBB20_56
; %bb.55:
	ds_read_b128 v[0:3], v43
	ds_read_b128 v[10:13], v43 offset:16
	ds_read_b128 v[24:27], v43 offset:32
	ds_read_b128 v[28:31], v43 offset:48
	s_waitcnt lgkmcnt(2)
	v_add_f64 v[0:1], v[10:11], v[0:1]
	v_add_f64 v[10:11], v[12:13], v[2:3]
	s_waitcnt lgkmcnt(1)
	v_add_f64 v[12:13], v[0:1], v[24:25]
	ds_read_b128 v[0:3], v43 offset:64
	v_add_f64 v[10:11], v[10:11], v[26:27]
	s_waitcnt lgkmcnt(1)
	v_add_f64 v[24:25], v[12:13], v[28:29]
	v_add_f64 v[28:29], v[10:11], v[30:31]
	ds_read_b128 v[10:13], v43 offset:80
	s_waitcnt lgkmcnt(1)
	v_add_f64 v[30:31], v[24:25], v[0:1]
	ds_read_b128 v[24:27], v43 offset:96
	v_add_f64 v[28:29], v[28:29], v[2:3]
	ds_read_b128 v[0:3], v43 offset:112
	s_waitcnt lgkmcnt(2)
	v_add_f64 v[10:11], v[30:31], v[10:11]
	v_add_f64 v[12:13], v[28:29], v[12:13]
	s_waitcnt lgkmcnt(1)
	v_add_f64 v[10:11], v[10:11], v[24:25]
	v_add_f64 v[12:13], v[12:13], v[26:27]
	;; [unrolled: 3-line block ×3, first 2 shown]
.LBB20_56:
	s_or_b64 exec, exec, s[16:17]
	s_lshl_b64 s[16:17], s[20:21], 9
	v_lshl_add_u64 v[12:13], v[8:9], 0, s[16:17]
	s_mov_b64 s[16:17], 0x200
	v_lshl_add_u64 v[10:11], v[12:13], 0, s[16:17]
	s_and_b64 vcc, exec, s[22:23]
	s_barrier
	s_cbranch_vccz .LBB20_74
; %bb.57:
	v_sub_co_u32_e32 v8, vcc, v10, v6
	s_ashr_i32 s25, s24, 31
	s_nop 0
	v_subbrev_co_u32_e32 v9, vcc, 0, v11, vcc
	s_movk_i32 s16, 0xfdf0
	v_or_b32_e32 v7, 32, v4
	v_lshl_add_u64 v[8:9], s[24:25], 4, v[8:9]
	s_mov_b32 s17, -1
	v_lshl_add_u64 v[8:9], v[8:9], 0, s[16:17]
	v_cmp_gt_i32_e32 vcc, s24, v7
	s_sub_i32 s36, s24, 32
	v_cmp_le_i32_e64 s[16:17], s36, v14
	v_cndmask_b32_e32 v9, v9, v11, vcc
	v_cndmask_b32_e32 v8, v8, v10, vcc
	v_add_lshl_u32 v7, v5, v4, 4
	s_and_saveexec_b64 s[38:39], s[16:17]
	s_xor_b64 s[16:17], exec, s[38:39]
	s_cbranch_execz .LBB20_59
; %bb.58:
	v_mov_b32_e32 v24, 0
	v_mov_b32_e32 v25, v24
	;; [unrolled: 1-line block ×4, first 2 shown]
	ds_write_b128 v7, v[24:27]
.LBB20_59:
	s_andn2_saveexec_b64 s[16:17], s[16:17]
	s_cbranch_execz .LBB20_61
; %bb.60:
	global_load_dwordx4 v[24:27], v[8:9], off
	s_waitcnt vmcnt(0)
	ds_write2_b64 v7, v[24:25], v[26:27] offset1:1
.LBB20_61:
	s_or_b64 exec, exec, s[16:17]
	v_add_u32_e32 v23, 8, v14
	v_cmp_le_i32_e64 s[16:17], s36, v23
	s_and_saveexec_b64 s[38:39], s[16:17]
	s_xor_b64 s[16:17], exec, s[38:39]
	s_cbranch_execz .LBB20_63
; %bb.62:
	v_mul_u32_u24_e32 v23, 33, v23
	v_mov_b32_e32 v24, 0
	v_add_lshl_u32 v23, v23, v4, 4
	v_mov_b32_e32 v25, v24
	v_mov_b32_e32 v26, v24
	;; [unrolled: 1-line block ×3, first 2 shown]
	ds_write_b128 v23, v[24:27]
.LBB20_63:
	s_andn2_saveexec_b64 s[16:17], s[16:17]
	s_cbranch_execz .LBB20_65
; %bb.64:
	s_lshl_b64 s[38:39], s[20:21], 7
	v_lshl_add_u64 v[24:25], v[8:9], 0, s[38:39]
	global_load_dwordx4 v[24:27], v[24:25], off
	v_add_u32_e32 v23, 0x1080, v7
	s_waitcnt vmcnt(0)
	ds_write2_b64 v23, v[24:25], v[26:27] offset1:1
.LBB20_65:
	s_or_b64 exec, exec, s[16:17]
	v_add_u32_e32 v23, 16, v14
	v_cmp_le_i32_e64 s[16:17], s36, v23
	s_and_saveexec_b64 s[38:39], s[16:17]
	s_xor_b64 s[16:17], exec, s[38:39]
	s_cbranch_execz .LBB20_67
; %bb.66:
	v_mov_b32_e32 v24, 0
	v_mov_b32_e32 v25, v24
	;; [unrolled: 1-line block ×4, first 2 shown]
	ds_write_b128 v7, v[24:27] offset:8448
.LBB20_67:
	s_andn2_saveexec_b64 s[16:17], s[16:17]
	s_cbranch_execz .LBB20_69
; %bb.68:
	s_lshl_b64 s[38:39], s[20:21], 8
	v_lshl_add_u64 v[24:25], v[8:9], 0, s[38:39]
	global_load_dwordx4 v[24:27], v[24:25], off
	v_add_u32_e32 v23, 0x2100, v7
	s_waitcnt vmcnt(0)
	ds_write2_b64 v23, v[24:25], v[26:27] offset1:1
.LBB20_69:
	s_or_b64 exec, exec, s[16:17]
	v_add_u32_e32 v23, 24, v14
	v_cmp_le_i32_e64 s[16:17], s36, v23
	s_and_saveexec_b64 s[36:37], s[16:17]
	s_xor_b64 s[16:17], exec, s[36:37]
	s_cbranch_execz .LBB20_71
; %bb.70:
	v_mov_b32_e32 v24, 0
	v_mov_b32_e32 v25, v24
	;; [unrolled: 1-line block ×4, first 2 shown]
	ds_write_b128 v7, v[24:27] offset:12672
                                        ; implicit-def: $vgpr7
.LBB20_71:
	s_andn2_saveexec_b64 s[16:17], s[16:17]
	s_cbranch_execz .LBB20_73
; %bb.72:
	v_mov_b32_e32 v23, 0x180
	v_mad_u64_u32 v[24:25], s[36:37], s20, v23, v[8:9]
	v_add_u32_e32 v25, s35, v25
	global_load_dwordx4 v[24:27], v[24:25], off
	v_add_u32_e32 v7, 0x3180, v7
	s_waitcnt vmcnt(0)
	ds_write2_b64 v7, v[24:25], v[26:27] offset1:1
.LBB20_73:
	s_or_b64 exec, exec, s[16:17]
	v_mov_b32_e32 v7, 0
	v_lshl_add_u64 v[8:9], v[8:9], 0, v[6:7]
	s_lshl_b64 s[16:17], s[24:25], 4
	v_mov_b32_e32 v7, s17
	v_subrev_co_u32_e64 v8, s[16:17], s16, v8
	s_nop 1
	v_subb_co_u32_e64 v9, s[16:17], v9, v7, s[16:17]
	s_mov_b64 s[16:17], 0x210
	s_nop 0
	v_lshl_add_u64 v[8:9], v[8:9], 0, s[16:17]
	v_cndmask_b32_e32 v9, v9, v11, vcc
	v_cndmask_b32_e32 v8, v8, v10, vcc
	s_branch .LBB20_76
.LBB20_74:
                                        ; implicit-def: $vgpr8_vgpr9
	s_cbranch_execz .LBB20_76
; %bb.75:
	s_lshl_b64 s[16:17], s[20:21], 7
	v_lshl_add_u64 v[8:9], v[12:13], 0, s[16:17]
	v_mov_b32_e32 v7, 0x180
	global_load_dwordx4 v[24:27], v[10:11], off
	global_load_dwordx4 v[28:31], v[8:9], off offset:512
	v_lshl_add_u64 v[8:9], v[8:9], 0, s[16:17]
	v_mad_u64_u32 v[12:13], s[16:17], s20, v7, v[12:13]
	v_add_u32_e32 v13, s35, v13
	global_load_dwordx4 v[32:35], v[8:9], off offset:512
	global_load_dwordx4 v[46:49], v[12:13], off offset:512
	v_add_lshl_u32 v7, v5, v4, 4
	v_add_u32_e32 v8, 0x1080, v7
	v_add_u32_e32 v9, 0x2100, v7
	;; [unrolled: 1-line block ×3, first 2 shown]
	s_waitcnt vmcnt(3)
	ds_write2_b64 v7, v[24:25], v[26:27] offset1:1
	s_waitcnt vmcnt(2)
	ds_write2_b64 v8, v[28:29], v[30:31] offset1:1
	;; [unrolled: 2-line block ×4, first 2 shown]
	v_mov_b64_e32 v[8:9], v[10:11]
.LBB20_76:
	s_waitcnt lgkmcnt(0)
	s_barrier
	s_and_saveexec_b64 s[16:17], s[6:7]
	s_xor_b64 s[6:7], exec, s[16:17]
	s_cbranch_execnz .LBB20_105
; %bb.77:
	s_andn2_saveexec_b64 s[6:7], s[6:7]
	s_cbranch_execnz .LBB20_108
.LBB20_78:
	s_or_b64 exec, exec, s[6:7]
	s_and_saveexec_b64 s[6:7], s[8:9]
	s_xor_b64 s[6:7], exec, s[6:7]
	s_cbranch_execnz .LBB20_109
.LBB20_79:
	s_andn2_saveexec_b64 s[6:7], s[6:7]
	s_cbranch_execnz .LBB20_110
.LBB20_80:
	s_or_b64 exec, exec, s[6:7]
	s_and_saveexec_b64 s[6:7], s[10:11]
	s_xor_b64 s[6:7], exec, s[6:7]
	s_cbranch_execnz .LBB20_113
.LBB20_81:
	s_andn2_saveexec_b64 s[6:7], s[6:7]
	s_cbranch_execnz .LBB20_116
.LBB20_82:
	s_or_b64 exec, exec, s[6:7]
	s_and_saveexec_b64 s[6:7], s[12:13]
	s_xor_b64 s[6:7], exec, s[6:7]
	s_cbranch_execnz .LBB20_117
.LBB20_83:
	s_or_saveexec_b64 s[6:7], s[6:7]
	v_add_u32_e32 v18, 0x4700, v22
	s_xor_b64 exec, exec, s[6:7]
	s_cbranch_execz .LBB20_85
.LBB20_84:
	ds_read_b128 v[10:13], v45 offset:1056
	s_waitcnt lgkmcnt(0)
	v_xor_b32_e32 v13, 0x80000000, v13
	ds_write_b128 v17, v[10:13] offset:48
.LBB20_85:
	s_or_b64 exec, exec, s[6:7]
	s_waitcnt lgkmcnt(0)
	s_barrier
	ds_read_b128 v[10:13], v18 offset:512
	ds_read_b128 v[20:23], v16
	ds_read_b128 v[24:27], v18 offset:528
	ds_read_b128 v[28:31], v18 offset:544
	v_cmp_eq_u32_e64 s[6:7], 1, v14
	s_waitcnt lgkmcnt(2)
	v_mul_f64 v[32:33], v[12:13], v[22:23]
	v_fma_f64 v[40:41], v[10:11], v[20:21], -v[32:33]
	ds_read_b128 v[32:35], v18 offset:560
	ds_read_b128 v[46:49], v45
	v_mul_f64 v[10:11], v[10:11], v[22:23]
	v_fmac_f64_e32 v[10:11], v[12:13], v[20:21]
	v_add_f64 v[22:23], v[10:11], 0
	v_add_f64 v[20:21], v[40:41], 0
	s_waitcnt lgkmcnt(0)
	v_mul_f64 v[10:11], v[26:27], v[48:49]
	v_fma_f64 v[40:41], v[24:25], v[46:47], -v[10:11]
	v_mul_f64 v[24:25], v[24:25], v[48:49]
	ds_read_b128 v[10:13], v45 offset:528
	v_fmac_f64_e32 v[24:25], v[26:27], v[46:47]
	v_add_f64 v[26:27], v[20:21], v[40:41]
	v_add_f64 v[24:25], v[22:23], v[24:25]
	ds_read_b128 v[20:23], v45 offset:1056
	s_waitcnt lgkmcnt(1)
	v_mul_f64 v[40:41], v[30:31], v[12:13]
	v_mul_f64 v[12:13], v[28:29], v[12:13]
	v_fmac_f64_e32 v[12:13], v[30:31], v[10:11]
	v_fma_f64 v[40:41], v[28:29], v[10:11], -v[40:41]
	v_add_f64 v[12:13], v[24:25], v[12:13]
	s_waitcnt lgkmcnt(0)
	v_mul_f64 v[24:25], v[34:35], v[22:23]
	v_mul_f64 v[22:23], v[32:33], v[22:23]
	v_add_f64 v[10:11], v[26:27], v[40:41]
	v_fma_f64 v[24:25], v[32:33], v[20:21], -v[24:25]
	v_fmac_f64_e32 v[22:23], v[34:35], v[20:21]
	v_add_f64 v[10:11], v[10:11], v[24:25]
	v_add_f64 v[12:13], v[12:13], v[22:23]
	s_barrier
	ds_write_b128 v44, v[10:13]
	s_waitcnt lgkmcnt(0)
	s_barrier
	s_and_saveexec_b64 s[8:9], s[6:7]
	s_cbranch_execz .LBB20_87
; %bb.86:
	ds_read_b128 v[0:3], v43
	ds_read_b128 v[10:13], v43 offset:16
	ds_read_b128 v[20:23], v43 offset:32
	;; [unrolled: 1-line block ×3, first 2 shown]
	s_waitcnt lgkmcnt(2)
	v_add_f64 v[0:1], v[10:11], v[0:1]
	v_add_f64 v[10:11], v[12:13], v[2:3]
	s_waitcnt lgkmcnt(1)
	v_add_f64 v[12:13], v[0:1], v[20:21]
	ds_read_b128 v[0:3], v43 offset:64
	v_add_f64 v[10:11], v[10:11], v[22:23]
	s_waitcnt lgkmcnt(1)
	v_add_f64 v[20:21], v[12:13], v[24:25]
	v_add_f64 v[24:25], v[10:11], v[26:27]
	ds_read_b128 v[10:13], v43 offset:80
	s_waitcnt lgkmcnt(1)
	v_add_f64 v[26:27], v[20:21], v[0:1]
	ds_read_b128 v[20:23], v43 offset:96
	v_add_f64 v[24:25], v[24:25], v[2:3]
	ds_read_b128 v[0:3], v43 offset:112
	s_waitcnt lgkmcnt(2)
	v_add_f64 v[10:11], v[26:27], v[10:11]
	v_add_f64 v[12:13], v[24:25], v[12:13]
	s_waitcnt lgkmcnt(1)
	v_add_f64 v[10:11], v[10:11], v[20:21]
	v_add_f64 v[12:13], v[12:13], v[22:23]
	;; [unrolled: 3-line block ×3, first 2 shown]
.LBB20_87:
	s_or_b64 exec, exec, s[8:9]
	s_movk_i32 s8, 0xfe00
	s_mov_b32 s9, -1
	v_lshl_add_u64 v[10:11], v[8:9], 0, s[8:9]
	s_and_b64 vcc, exec, s[22:23]
	s_barrier
	s_cbranch_vccz .LBB20_120
; %bb.88:
	v_sub_co_u32_e32 v12, vcc, v8, v6
	s_ashr_i32 s25, s24, 31
	s_nop 0
	v_subbrev_co_u32_e32 v13, vcc, 0, v9, vcc
	s_movk_i32 s8, 0xfdf0
	v_lshl_add_u64 v[12:13], s[24:25], 4, v[12:13]
	s_mov_b32 s9, -1
	v_lshl_add_u64 v[12:13], v[12:13], 0, s[8:9]
	v_cmp_gt_i32_e32 vcc, s24, v4
	s_sub_i32 s10, s24, 32
	v_cmp_le_i32_e64 s[8:9], s10, v14
	v_cndmask_b32_e32 v13, v13, v11, vcc
	v_cndmask_b32_e32 v12, v12, v10, vcc
	v_add_lshl_u32 v7, v5, v4, 4
	s_and_saveexec_b64 s[12:13], s[8:9]
	s_xor_b64 s[8:9], exec, s[12:13]
	s_cbranch_execz .LBB20_90
; %bb.89:
	v_mov_b32_e32 v20, 0
	v_mov_b32_e32 v21, v20
	;; [unrolled: 1-line block ×4, first 2 shown]
	ds_write_b128 v7, v[20:23]
.LBB20_90:
	s_andn2_saveexec_b64 s[8:9], s[8:9]
	s_cbranch_execz .LBB20_92
; %bb.91:
	global_load_dwordx4 v[20:23], v[12:13], off
	s_waitcnt vmcnt(0)
	ds_write2_b64 v7, v[20:21], v[22:23] offset1:1
.LBB20_92:
	s_or_b64 exec, exec, s[8:9]
	v_add_u32_e32 v17, 8, v14
	v_cmp_le_i32_e64 s[8:9], s10, v17
	s_and_saveexec_b64 s[12:13], s[8:9]
	s_xor_b64 s[8:9], exec, s[12:13]
	s_cbranch_execz .LBB20_94
; %bb.93:
	v_mul_u32_u24_e32 v19, 33, v17
	v_mov_b32_e32 v20, 0
	v_add_lshl_u32 v19, v19, v4, 4
	v_mov_b32_e32 v21, v20
	v_mov_b32_e32 v22, v20
	;; [unrolled: 1-line block ×3, first 2 shown]
	ds_write_b128 v19, v[20:23]
.LBB20_94:
	s_andn2_saveexec_b64 s[8:9], s[8:9]
	s_cbranch_execz .LBB20_96
; %bb.95:
	s_lshl_b64 s[12:13], s[20:21], 7
	v_lshl_add_u64 v[20:21], v[12:13], 0, s[12:13]
	global_load_dwordx4 v[20:23], v[20:21], off
	v_add_u32_e32 v19, 0x1080, v7
	s_waitcnt vmcnt(0)
	ds_write2_b64 v19, v[20:21], v[22:23] offset1:1
.LBB20_96:
	s_or_b64 exec, exec, s[8:9]
	v_add_u32_e32 v19, 16, v14
	v_cmp_le_i32_e64 s[8:9], s10, v19
	s_and_saveexec_b64 s[12:13], s[8:9]
	s_xor_b64 s[8:9], exec, s[12:13]
	s_cbranch_execz .LBB20_98
; %bb.97:
	v_mov_b32_e32 v20, 0
	v_mov_b32_e32 v21, v20
	;; [unrolled: 1-line block ×4, first 2 shown]
	ds_write_b128 v7, v[20:23] offset:8448
.LBB20_98:
	s_andn2_saveexec_b64 s[8:9], s[8:9]
	s_cbranch_execz .LBB20_100
; %bb.99:
	s_lshl_b64 s[12:13], s[20:21], 8
	v_lshl_add_u64 v[20:21], v[12:13], 0, s[12:13]
	global_load_dwordx4 v[20:23], v[20:21], off
	v_add_u32_e32 v24, 0x2100, v7
	s_waitcnt vmcnt(0)
	ds_write2_b64 v24, v[20:21], v[22:23] offset1:1
.LBB20_100:
	s_or_b64 exec, exec, s[8:9]
	v_add_u32_e32 v20, 24, v14
	v_cmp_le_i32_e64 s[8:9], s10, v20
	s_and_saveexec_b64 s[10:11], s[8:9]
	s_xor_b64 s[8:9], exec, s[10:11]
	s_cbranch_execz .LBB20_102
; %bb.101:
	v_mov_b32_e32 v22, 0
	v_mov_b32_e32 v23, v22
	;; [unrolled: 1-line block ×4, first 2 shown]
	ds_write_b128 v7, v[22:25] offset:12672
                                        ; implicit-def: $vgpr7
.LBB20_102:
	s_andn2_saveexec_b64 s[8:9], s[8:9]
	s_cbranch_execz .LBB20_104
; %bb.103:
	v_mov_b32_e32 v21, 0x180
	v_mad_u64_u32 v[22:23], s[10:11], s20, v21, v[12:13]
	v_add_u32_e32 v23, s35, v23
	global_load_dwordx4 v[22:25], v[22:23], off
	v_add_u32_e32 v7, 0x3180, v7
	s_waitcnt vmcnt(0)
	ds_write2_b64 v7, v[22:23], v[24:25] offset1:1
.LBB20_104:
	s_or_b64 exec, exec, s[8:9]
	v_mov_b32_e32 v7, 0
	v_lshl_add_u64 v[6:7], v[12:13], 0, v[6:7]
	s_lshl_b64 s[8:9], s[24:25], 4
	v_mov_b32_e32 v12, s9
	v_subrev_co_u32_e64 v6, s[8:9], s8, v6
	s_nop 1
	v_subb_co_u32_e64 v7, s[8:9], v7, v12, s[8:9]
	v_lshl_add_u64 v[6:7], v[6:7], 0, 16
	v_cndmask_b32_e32 v41, v7, v11, vcc
	v_cndmask_b32_e32 v40, v6, v10, vcc
	s_branch .LBB20_122
.LBB20_105:
	v_cmp_eq_u32_e32 vcc, v19, v4
	s_and_saveexec_b64 s[16:17], vcc
	s_cbranch_execz .LBB20_107
; %bb.106:
	v_mul_u32_u24_e32 v7, 34, v4
	v_mov_b32_e32 v10, 0
	v_lshlrev_b32_e32 v7, 4, v7
	v_mov_b32_e32 v11, v10
	ds_write_b64 v7, v[10:11] offset:8
.LBB20_107:
	s_or_b64 exec, exec, s[16:17]
	s_andn2_saveexec_b64 s[6:7], s[6:7]
	s_cbranch_execz .LBB20_78
.LBB20_108:
	ds_read_b128 v[10:13], v16
	s_waitcnt lgkmcnt(0)
	v_xor_b32_e32 v13, 0x80000000, v13
	ds_write_b128 v17, v[10:13]
	s_or_b64 exec, exec, s[6:7]
	s_and_saveexec_b64 s[6:7], s[8:9]
	s_xor_b64 s[6:7], exec, s[6:7]
	s_cbranch_execz .LBB20_79
.LBB20_109:
	ds_read_b128 v[10:13], v45
                                        ; implicit-def: $vgpr18
	s_waitcnt lgkmcnt(0)
	v_xor_b32_e32 v13, 0x80000000, v13
	ds_write_b128 v17, v[10:13] offset:16
	s_andn2_saveexec_b64 s[6:7], s[6:7]
	s_cbranch_execz .LBB20_80
.LBB20_110:
	v_cmp_eq_u32_e32 vcc, v18, v4
	s_and_saveexec_b64 s[8:9], vcc
	s_cbranch_execz .LBB20_112
; %bb.111:
	v_mul_u32_u24_e32 v7, 34, v4
	v_mov_b32_e32 v10, 0
	v_lshlrev_b32_e32 v7, 4, v7
	v_mov_b32_e32 v11, v10
	ds_write_b64 v7, v[10:11] offset:8
.LBB20_112:
	s_or_b64 exec, exec, s[8:9]
	s_or_b64 exec, exec, s[6:7]
	s_and_saveexec_b64 s[6:7], s[10:11]
	s_xor_b64 s[6:7], exec, s[6:7]
	s_cbranch_execz .LBB20_81
.LBB20_113:
	v_cmp_eq_u32_e32 vcc, v20, v4
	s_and_saveexec_b64 s[8:9], vcc
	s_cbranch_execz .LBB20_115
; %bb.114:
	v_mul_u32_u24_e32 v7, 34, v4
	v_mov_b32_e32 v10, 0
	v_lshlrev_b32_e32 v7, 4, v7
	v_mov_b32_e32 v11, v10
	ds_write_b64 v7, v[10:11] offset:8
.LBB20_115:
	s_or_b64 exec, exec, s[8:9]
	s_andn2_saveexec_b64 s[6:7], s[6:7]
	s_cbranch_execz .LBB20_82
.LBB20_116:
	ds_read_b128 v[10:13], v45 offset:528
	s_waitcnt lgkmcnt(0)
	v_xor_b32_e32 v13, 0x80000000, v13
	ds_write_b128 v17, v[10:13] offset:32
	s_or_b64 exec, exec, s[6:7]
	s_and_saveexec_b64 s[6:7], s[12:13]
	s_xor_b64 s[6:7], exec, s[6:7]
	s_cbranch_execz .LBB20_83
.LBB20_117:
	v_cmp_eq_u32_e32 vcc, v21, v4
	s_and_saveexec_b64 s[8:9], vcc
	s_cbranch_execz .LBB20_119
; %bb.118:
	v_mul_u32_u24_e32 v7, 34, v4
	v_mov_b32_e32 v10, 0
	v_lshlrev_b32_e32 v7, 4, v7
	v_mov_b32_e32 v11, v10
	ds_write_b64 v7, v[10:11] offset:8
.LBB20_119:
	s_or_b64 exec, exec, s[8:9]
                                        ; implicit-def: $vgpr17
	s_or_saveexec_b64 s[6:7], s[6:7]
	v_add_u32_e32 v18, 0x4700, v22
	s_xor_b64 exec, exec, s[6:7]
	s_cbranch_execnz .LBB20_84
	s_branch .LBB20_85
.LBB20_120:
                                        ; implicit-def: $vgpr40_vgpr41
                                        ; implicit-def: $vgpr17
                                        ; implicit-def: $vgpr19
                                        ; implicit-def: $vgpr20
	s_cbranch_execz .LBB20_122
; %bb.121:
	s_lshl_b64 s[8:9], s[20:21], 7
	v_lshl_add_u64 v[6:7], v[8:9], 0, s[8:9]
	global_load_dwordx4 v[22:25], v[10:11], off
	global_load_dwordx4 v[26:29], v[6:7], off offset:-512
	v_lshl_add_u64 v[12:13], v[6:7], 0, s[8:9]
	v_mov_b32_e32 v6, 0x180
	v_mad_u64_u32 v[20:21], s[8:9], s20, v6, v[8:9]
	v_add_u32_e32 v21, s35, v21
	global_load_dwordx4 v[6:9], v[12:13], off offset:-512
	global_load_dwordx4 v[30:33], v[20:21], off offset:-512
	v_add_lshl_u32 v4, v5, v4, 4
	v_add_u32_e32 v17, 8, v14
	v_add_u32_e32 v19, 16, v14
	;; [unrolled: 1-line block ×3, first 2 shown]
	v_mov_b64_e32 v[40:41], v[10:11]
	v_add_u32_e32 v5, 0x1080, v4
	v_add_u32_e32 v12, 0x2100, v4
	;; [unrolled: 1-line block ×3, first 2 shown]
	s_waitcnt vmcnt(3)
	ds_write2_b64 v4, v[22:23], v[24:25] offset1:1
	s_waitcnt vmcnt(2)
	ds_write2_b64 v5, v[26:27], v[28:29] offset1:1
	;; [unrolled: 2-line block ×4, first 2 shown]
.LBB20_122:
	v_lshlrev_b32_e32 v4, 4, v14
	s_waitcnt lgkmcnt(0)
	s_barrier
	ds_read_b128 v[46:49], v44
	ds_read_b128 v[50:53], v4 offset:18176
	v_add_lshl_u32 v4, v17, v15, 4
	v_lshlrev_b32_e32 v5, 4, v17
	ds_read_b128 v[54:57], v4
	ds_read_b128 v[58:61], v5 offset:18176
	s_waitcnt lgkmcnt(2)
	v_mul_f64 v[4:5], v[48:49], v[52:53]
	v_fmac_f64_e32 v[4:5], v[46:47], v[50:51]
	v_add_f64 v[4:5], v[4:5], 0
	s_waitcnt lgkmcnt(0)
	v_mul_f64 v[6:7], v[56:57], v[60:61]
	v_fmac_f64_e32 v[6:7], v[54:55], v[58:59]
	v_add_f64 v[4:5], v[4:5], v[6:7]
	v_add_lshl_u32 v6, v19, v15, 4
	v_mul_f64 v[70:71], v[48:49], v[50:51]
	v_mul_f64 v[72:73], v[56:57], v[58:59]
	v_lshlrev_b32_e32 v7, 4, v19
	ds_read_b128 v[48:51], v6
	ds_read_b128 v[56:59], v7 offset:18176
	v_add_lshl_u32 v6, v20, v15, 4
	v_lshlrev_b32_e32 v7, 4, v20
	ds_read_b128 v[62:65], v6
	ds_read_b128 v[66:69], v7 offset:18176
	v_fma_f64 v[46:47], v[46:47], v[52:53], -v[70:71]
	s_waitcnt lgkmcnt(2)
	v_mul_f64 v[6:7], v[50:51], v[58:59]
	v_fmac_f64_e32 v[6:7], v[48:49], v[56:57]
	v_add_f64 v[4:5], v[4:5], v[6:7]
	s_waitcnt lgkmcnt(0)
	v_mul_f64 v[6:7], v[64:65], v[68:69]
	v_fmac_f64_e32 v[6:7], v[62:63], v[66:67]
	v_mul_f64 v[56:57], v[50:51], v[56:57]
	v_add_f64 v[50:51], v[4:5], v[6:7]
	ds_read_b128 v[20:23], v18 offset:528
	ds_read_b128 v[12:15], v18 offset:544
	;; [unrolled: 1-line block ×3, first 2 shown]
	ds_read_b128 v[32:35], v16
	ds_read_b128 v[4:7], v18 offset:560
	ds_read_b128 v[24:27], v45
	ds_read_b128 v[16:19], v45 offset:528
	ds_read_b128 v[8:11], v45 offset:1056
	v_add_f64 v[46:47], v[46:47], 0
	v_fma_f64 v[52:53], v[54:55], v[60:61], -v[72:73]
	v_mul_f64 v[64:65], v[64:65], v[66:67]
	v_add_f64 v[46:47], v[46:47], v[52:53]
	v_fma_f64 v[48:49], v[48:49], v[58:59], -v[56:57]
	v_add_f64 v[46:47], v[46:47], v[48:49]
	v_fma_f64 v[48:49], v[62:63], v[68:69], -v[64:65]
	v_add_f64 v[52:53], v[46:47], v[48:49]
	s_waitcnt lgkmcnt(0)
	s_barrier
	ds_write_b128 v44, v[50:53]
	s_waitcnt lgkmcnt(0)
	s_barrier
	s_and_saveexec_b64 s[8:9], s[6:7]
	s_cbranch_execz .LBB20_124
; %bb.123:
	ds_read_b128 v[46:49], v43
	ds_read_b128 v[50:53], v43 offset:16
	ds_read_b128 v[54:57], v43 offset:32
	;; [unrolled: 1-line block ×3, first 2 shown]
	s_waitcnt lgkmcnt(3)
	v_add_f64 v[0:1], v[0:1], v[46:47]
	v_add_f64 v[2:3], v[2:3], v[48:49]
	s_waitcnt lgkmcnt(2)
	v_add_f64 v[0:1], v[0:1], v[50:51]
	v_add_f64 v[46:47], v[2:3], v[52:53]
	s_waitcnt lgkmcnt(1)
	v_add_f64 v[48:49], v[0:1], v[54:55]
	ds_read_b128 v[0:3], v43 offset:64
	v_add_f64 v[46:47], v[46:47], v[56:57]
	s_waitcnt lgkmcnt(1)
	v_add_f64 v[50:51], v[48:49], v[58:59]
	v_add_f64 v[54:55], v[46:47], v[60:61]
	ds_read_b128 v[46:49], v43 offset:80
	s_waitcnt lgkmcnt(1)
	v_add_f64 v[56:57], v[50:51], v[0:1]
	ds_read_b128 v[50:53], v43 offset:96
	v_add_f64 v[54:55], v[54:55], v[2:3]
	ds_read_b128 v[0:3], v43 offset:112
	s_waitcnt lgkmcnt(2)
	v_add_f64 v[46:47], v[56:57], v[46:47]
	v_add_f64 v[48:49], v[54:55], v[48:49]
	s_waitcnt lgkmcnt(1)
	v_add_f64 v[46:47], v[46:47], v[50:51]
	v_add_f64 v[48:49], v[48:49], v[52:53]
	;; [unrolled: 3-line block ×3, first 2 shown]
.LBB20_124:
	s_or_b64 exec, exec, s[8:9]
	v_mul_f64 v[46:47], v[30:31], v[34:35]
	v_fma_f64 v[46:47], v[28:29], v[32:33], -v[46:47]
	v_mul_f64 v[28:29], v[28:29], v[34:35]
	v_fmac_f64_e32 v[28:29], v[30:31], v[32:33]
	v_mul_f64 v[32:33], v[22:23], v[26:27]
	v_fma_f64 v[32:33], v[20:21], v[24:25], -v[32:33]
	v_mul_f64 v[20:21], v[20:21], v[26:27]
	v_fmac_f64_e32 v[20:21], v[22:23], v[24:25]
	v_mul_f64 v[24:25], v[14:15], v[18:19]
	v_add_f64 v[30:31], v[46:47], 0
	v_add_f64 v[28:29], v[28:29], 0
	v_fma_f64 v[24:25], v[12:13], v[16:17], -v[24:25]
	v_mul_f64 v[12:13], v[12:13], v[18:19]
	v_add_f64 v[22:23], v[30:31], v[32:33]
	v_add_f64 v[20:21], v[28:29], v[20:21]
	v_fmac_f64_e32 v[12:13], v[14:15], v[16:17]
	v_mul_f64 v[16:17], v[6:7], v[10:11]
	v_mul_f64 v[10:11], v[4:5], v[10:11]
	v_add_f64 v[14:15], v[22:23], v[24:25]
	v_add_f64 v[12:13], v[20:21], v[12:13]
	v_fma_f64 v[16:17], v[4:5], v[8:9], -v[16:17]
	v_fmac_f64_e32 v[10:11], v[6:7], v[8:9]
	v_add_f64 v[4:5], v[14:15], v[16:17]
	v_add_f64 v[6:7], v[12:13], v[10:11]
	s_barrier
	ds_write_b128 v44, v[4:7]
	s_waitcnt lgkmcnt(0)
	s_barrier
	s_and_saveexec_b64 s[6:7], s[14:15]
	s_cbranch_execz .LBB20_126
; %bb.125:
	ds_read_b128 v[4:7], v43
	ds_read_b128 v[8:11], v43 offset:16
	ds_read_b128 v[12:15], v43 offset:32
	;; [unrolled: 1-line block ×3, first 2 shown]
	s_waitcnt lgkmcnt(3)
	v_add_f64 v[0:1], v[0:1], v[4:5]
	v_add_f64 v[2:3], v[2:3], v[6:7]
	s_waitcnt lgkmcnt(2)
	v_add_f64 v[0:1], v[0:1], v[8:9]
	v_add_f64 v[4:5], v[2:3], v[10:11]
	s_waitcnt lgkmcnt(1)
	v_add_f64 v[6:7], v[0:1], v[12:13]
	ds_read_b128 v[0:3], v43 offset:64
	v_add_f64 v[4:5], v[4:5], v[14:15]
	s_waitcnt lgkmcnt(1)
	v_add_f64 v[8:9], v[6:7], v[16:17]
	v_add_f64 v[12:13], v[4:5], v[18:19]
	ds_read_b128 v[4:7], v43 offset:80
	s_waitcnt lgkmcnt(1)
	v_add_f64 v[14:15], v[8:9], v[0:1]
	ds_read_b128 v[8:11], v43 offset:96
	v_add_f64 v[12:13], v[12:13], v[2:3]
	ds_read_b128 v[0:3], v43 offset:112
	s_waitcnt lgkmcnt(2)
	v_add_f64 v[4:5], v[14:15], v[4:5]
	v_add_f64 v[6:7], v[12:13], v[6:7]
	s_waitcnt lgkmcnt(1)
	v_add_f64 v[4:5], v[4:5], v[8:9]
	v_add_f64 v[6:7], v[6:7], v[10:11]
	;; [unrolled: 3-line block ×3, first 2 shown]
.LBB20_126:
	s_or_b64 exec, exec, s[6:7]
	s_load_dwordx2 s[0:1], s[0:1], 0x78
	s_mul_hi_u32 s6, s34, s3
	s_mul_i32 s31, s31, s3
	s_add_i32 s6, s6, s31
	s_mul_i32 s3, s34, s3
	s_mul_i32 s6, s6, s33
	s_mul_hi_u32 s7, s3, s33
	s_add_i32 s7, s7, s6
	s_mul_i32 s6, s3, s33
	s_lshl_b64 s[6:7], s[6:7], 4
	s_waitcnt lgkmcnt(0)
	s_add_u32 s3, s0, s6
	s_addc_u32 s6, s1, s7
	s_mul_hi_i32 s1, s34, s2
	s_mul_i32 s0, s34, s2
	s_lshl_b64 s[0:1], s[0:1], 4
	s_add_u32 s8, s3, s0
	s_addc_u32 s9, s6, s1
	s_add_i32 s0, s2, 1
	s_cmp_ge_u32 s0, s33
	v_lshlrev_b32_e32 v168, 4, v204
	s_barrier
	s_cbranch_scc1 .LBB20_184
; %bb.127:
	s_mul_i32 s0, s26, s29
	s_mul_hi_u32 s1, s26, s28
	s_add_i32 s0, s1, s0
	s_mul_i32 s1, s27, s28
	s_add_i32 s1, s0, s1
	s_mul_i32 s0, s26, s28
	s_lshl_b64 s[0:1], s[0:1], 4
	v_mov_b32_e32 v4, s1
	v_subrev_co_u32_e32 v170, vcc, s0, v36
	v_and_b32_e32 v6, 48, v204
	s_nop 0
	v_subb_co_u32_e32 v171, vcc, v37, v4, vcc
	v_and_b32_e32 v4, 15, v204
	v_lshlrev_b32_e32 v7, 4, v6
	s_movk_i32 s0, 0x430
	v_lshrrev_b32_e32 v5, 4, v42
	v_mad_u32_u24 v209, v4, s0, v7
	v_or_b32_e32 v7, 0xf0, v168
	v_mad_u32_u24 v210, v4, s0, v7
	v_lshlrev_b32_e32 v7, 6, v5
	v_lshlrev_b32_e32 v12, 6, v205
	v_mad_u32_u24 v211, v4, s0, v7
	s_movk_i32 s0, 0x10c0
	v_mul_i32_i24_e32 v13, 0xffffffd0, v5
	v_add_u32_e32 v5, 0x200, v12
	v_mad_u32_u24 v216, v205, s0, v168
	v_or_b32_e32 v229, v6, v4
	v_mad_u64_u32 v[6:7], s[0:1], s20, v5, 0
	v_mov_b32_e32 v8, v7
	v_mad_u64_u32 v[8:9], s[0:1], s21, v5, v[8:9]
	v_mov_b32_e32 v5, v8
	v_lshlrev_b64 v[8:9], 4, v[38:39]
	v_sub_co_u32_e32 v6, vcc, v6, v8
	v_lshlrev_b32_e32 v206, 2, v205
	s_nop 0
	v_subb_co_u32_e32 v7, vcc, v5, v9, vcc
	v_lshl_add_u64 v[6:7], v[40:41], 0, v[6:7]
	v_add_u32_e32 v5, 0x530, v12
	v_lshl_add_u64 v[172:173], v[6:7], 0, 8
	v_mad_u64_u32 v[6:7], s[0:1], s20, v5, 0
	v_mov_b32_e32 v10, v7
	v_mad_u64_u32 v[10:11], s[0:1], s21, v5, v[10:11]
	v_mov_b32_e32 v5, v10
	v_sub_co_u32_e32 v6, vcc, v6, v8
	v_mov_b32_e32 v4, 0
	s_nop 0
	v_subb_co_u32_e32 v7, vcc, v5, v9, vcc
	v_add_u32_e32 v5, 0x220, v12
	v_lshl_add_u64 v[174:175], v[40:41], 0, v[6:7]
	v_mad_u64_u32 v[6:7], s[0:1], s20, v5, 0
	v_mov_b32_e32 v10, v7
	v_mad_u64_u32 v[10:11], s[0:1], s21, v5, v[10:11]
	v_mov_b32_e32 v5, v10
	v_sub_co_u32_e32 v6, vcc, v6, v8
	s_add_i32 s3, s33, -2
	s_nop 0
	v_subb_co_u32_e32 v7, vcc, v5, v9, vcc
	v_add_u32_e32 v5, 0x520, v12
	v_lshl_add_u64 v[176:177], v[40:41], 0, v[6:7]
	v_mad_u64_u32 v[6:7], s[0:1], s20, v5, 0
	v_mov_b32_e32 v10, v7
	v_mad_u64_u32 v[10:11], s[0:1], s21, v5, v[10:11]
	v_mov_b32_e32 v5, v10
	v_sub_co_u32_e32 v6, vcc, v6, v8
	v_add_u32_e32 v207, 0x4300, v168
	s_nop 0
	v_subb_co_u32_e32 v7, vcc, v5, v9, vcc
	v_add_u32_e32 v5, 0x210, v12
	v_lshl_add_u64 v[178:179], v[40:41], 0, v[6:7]
	v_mad_u64_u32 v[6:7], s[0:1], s20, v5, 0
	v_mov_b32_e32 v10, v7
	v_mad_u64_u32 v[10:11], s[0:1], s21, v5, v[10:11]
	v_mov_b32_e32 v5, v10
	v_sub_co_u32_e32 v6, vcc, v6, v8
	v_add_u32_e32 v208, 0x4700, v168
	s_nop 0
	v_subb_co_u32_e32 v7, vcc, v5, v9, vcc
	v_lshl_add_u64 v[6:7], v[40:41], 0, v[6:7]
	v_add_u32_e32 v5, 0x510, v12
	v_lshl_add_u64 v[180:181], v[6:7], 0, 8
	v_mad_u64_u32 v[6:7], s[0:1], s20, v5, 0
	v_mov_b32_e32 v10, v7
	v_mad_u64_u32 v[10:11], s[0:1], s21, v5, v[10:11]
	v_mov_b32_e32 v5, v10
	v_sub_co_u32_e32 v6, vcc, v6, v8
	v_cmp_gt_u32_e64 s[6:7], 64, v42
	s_nop 0
	v_subb_co_u32_e32 v7, vcc, v5, v9, vcc
	v_add_u32_e32 v5, 0x230, v12
	v_lshl_add_u64 v[182:183], v[40:41], 0, v[6:7]
	v_mad_u64_u32 v[6:7], s[0:1], s20, v5, 0
	v_mov_b32_e32 v10, v7
	v_mad_u64_u32 v[10:11], s[0:1], s21, v5, v[10:11]
	v_mov_b32_e32 v5, v10
	v_sub_co_u32_e32 v6, vcc, v6, v8
	v_or_b32_e32 v212, 1, v206
	s_nop 0
	v_subb_co_u32_e32 v7, vcc, v5, v9, vcc
	v_lshl_add_u64 v[6:7], v[40:41], 0, v[6:7]
	v_add_u32_e32 v5, 0x500, v12
	v_lshl_add_u64 v[184:185], v[6:7], 0, 8
	v_mad_u64_u32 v[6:7], s[0:1], s20, v5, 0
	v_mov_b32_e32 v10, v7
	v_mad_u64_u32 v[10:11], s[0:1], s21, v5, v[10:11]
	v_mov_b32_e32 v5, v10
	v_sub_co_u32_e32 v6, vcc, v6, v8
	v_or_b32_e32 v213, 2, v206
	s_nop 0
	v_subb_co_u32_e32 v7, vcc, v5, v9, vcc
	v_add_u32_e32 v5, 0x300, v12
	v_lshl_add_u64 v[186:187], v[40:41], 0, v[6:7]
	v_mad_u64_u32 v[6:7], s[0:1], s20, v5, 0
	v_mov_b32_e32 v10, v7
	v_mad_u64_u32 v[10:11], s[0:1], s21, v5, v[10:11]
	v_mov_b32_e32 v5, v10
	v_sub_co_u32_e32 v6, vcc, v6, v8
	v_or_b32_e32 v214, 3, v206
	s_nop 0
	v_subb_co_u32_e32 v7, vcc, v5, v9, vcc
	v_lshl_add_u64 v[6:7], v[40:41], 0, v[6:7]
	v_add_u32_e32 v5, 0x430, v12
	v_lshl_add_u64 v[188:189], v[6:7], 0, 8
	v_mad_u64_u32 v[6:7], s[0:1], s20, v5, 0
	v_mov_b32_e32 v10, v7
	v_mad_u64_u32 v[10:11], s[0:1], s21, v5, v[10:11]
	v_mov_b32_e32 v5, v10
	v_sub_co_u32_e32 v6, vcc, v6, v8
	v_add_u32_e32 v215, 0x4300, v12
	s_nop 0
	v_subb_co_u32_e32 v7, vcc, v5, v9, vcc
	v_add_u32_e32 v5, 0x310, v12
	v_lshl_add_u64 v[190:191], v[40:41], 0, v[6:7]
	v_mad_u64_u32 v[6:7], s[0:1], s20, v5, 0
	v_mov_b32_e32 v10, v7
	v_mad_u64_u32 v[10:11], s[0:1], s21, v5, v[10:11]
	v_mov_b32_e32 v5, v10
	v_sub_co_u32_e32 v6, vcc, v6, v8
	v_add_u32_e32 v217, 16, v206
	s_nop 0
	v_subb_co_u32_e32 v7, vcc, v5, v9, vcc
	v_lshl_add_u64 v[6:7], v[40:41], 0, v[6:7]
	v_add_u32_e32 v5, 0x420, v12
	v_lshl_add_u64 v[192:193], v[6:7], 0, 8
	v_mad_u64_u32 v[6:7], s[0:1], s20, v5, 0
	v_mov_b32_e32 v10, v7
	v_mad_u64_u32 v[10:11], s[0:1], s21, v5, v[10:11]
	v_mov_b32_e32 v5, v10
	v_sub_co_u32_e32 v6, vcc, v6, v8
	v_add_u32_e32 v218, 17, v206
	s_nop 0
	v_subb_co_u32_e32 v7, vcc, v5, v9, vcc
	v_add_u32_e32 v5, 0x320, v12
	v_lshl_add_u64 v[194:195], v[40:41], 0, v[6:7]
	v_mad_u64_u32 v[6:7], s[0:1], s20, v5, 0
	v_mov_b32_e32 v10, v7
	v_mad_u64_u32 v[10:11], s[0:1], s21, v5, v[10:11]
	v_mov_b32_e32 v5, v10
	v_sub_co_u32_e32 v6, vcc, v6, v8
	v_add_u32_e32 v219, 18, v206
	;; [unrolled: 21-line block ×3, first 2 shown]
	s_nop 0
	v_subb_co_u32_e32 v7, vcc, v5, v9, vcc
	v_lshl_add_u64 v[6:7], v[40:41], 0, v[6:7]
	v_add_u32_e32 v5, 0x400, v12
	v_lshl_add_u64 v[200:201], v[6:7], 0, 8
	v_mad_u64_u32 v[6:7], s[0:1], s20, v5, 0
	v_mov_b32_e32 v10, v7
	v_mad_u64_u32 v[10:11], s[0:1], s21, v5, v[10:11]
	v_mov_b32_e32 v5, v10
	v_sub_co_u32_e32 v6, vcc, v6, v8
	v_add_u32_e32 v222, 33, v206
	s_nop 0
	v_subb_co_u32_e32 v7, vcc, v5, v9, vcc
	v_lshl_add_u64 v[6:7], v[40:41], 0, v[6:7]
	v_add_u32_e32 v223, 34, v206
	v_add_u32_e32 v224, 35, v206
	;; [unrolled: 1-line block ×6, first 2 shown]
	s_add_i32 s22, s26, 64
	v_mov_b32_e32 v169, v4
	s_lshl_b64 s[10:11], s[20:21], 10
	v_lshl_add_u64 v[202:203], v[6:7], 0, 8
	v_add_u32_e32 v230, v211, v13
	s_cmp_eq_u32 s3, s2
	s_cselect_b32 s23, s30, 0
	s_and_saveexec_b64 s[0:1], s[4:5]
	s_cbranch_execz .LBB20_132
.LBB20_128:
	s_cmp_lg_u32 s23, 0
	s_cselect_b64 s[12:13], -1, 0
	v_cmp_le_i32_e32 vcc, s23, v204
	s_and_b64 s[12:13], s[12:13], vcc
	s_and_saveexec_b64 s[14:15], s[12:13]
	s_xor_b64 s[12:13], exec, s[14:15]
	s_cbranch_execz .LBB20_130
; %bb.129:
	v_mov_b32_e32 v5, v4
	v_mov_b32_e32 v6, v4
	v_mov_b32_e32 v7, v4
	ds_write_b128 v207, v[4:7]
.LBB20_130:
	s_andn2_saveexec_b64 s[12:13], s[12:13]
	s_cbranch_execz .LBB20_132
; %bb.131:
	s_ashr_i32 s12, s22, 31
	s_mul_i32 s13, s22, s29
	s_mul_hi_u32 s14, s22, s28
	s_add_i32 s13, s14, s13
	s_mul_i32 s12, s12, s28
	s_add_i32 s13, s13, s12
	s_mul_i32 s12, s22, s28
	v_lshl_add_u64 v[6:7], s[12:13], 4, v[170:171]
	global_load_dwordx4 v[6:9], v[6:7], off
	s_waitcnt vmcnt(0)
	ds_write2_b64 v207, v[6:7], v[8:9] offset1:1
.LBB20_132:                             ; =>This Inner Loop Header: Depth=1
	s_or_b64 exec, exec, s[0:1]
	s_cmp_eq_u32 s23, 0
	s_cselect_b64 s[12:13], -1, 0
	s_cmp_lg_u32 s23, 0
	s_cselect_b64 s[14:15], -1, 0
	v_lshl_add_u64 v[18:19], v[172:173], 0, v[168:169]
	s_and_b64 vcc, exec, s[14:15]
	s_waitcnt lgkmcnt(0)
	s_barrier
	s_cbranch_vccz .LBB20_140
; %bb.133:                              ;   in Loop: Header=BB20_132 Depth=1
	v_mov_b64_e32 v[10:11], 0
	v_cmp_gt_i32_e32 vcc, s23, v206
	v_mov_b64_e32 v[6:7], v[10:11]
	v_mov_b64_e32 v[8:9], v[10:11]
	s_and_saveexec_b64 s[0:1], vcc
	s_cbranch_execz .LBB20_135
; %bb.134:                              ;   in Loop: Header=BB20_132 Depth=1
	global_load_dwordx4 v[6:9], v[18:19], off offset:-8
.LBB20_135:                             ;   in Loop: Header=BB20_132 Depth=1
	s_or_b64 exec, exec, s[0:1]
	v_cmp_gt_i32_e32 vcc, s23, v212
	v_mov_b64_e32 v[12:13], v[10:11]
	s_and_saveexec_b64 s[0:1], vcc
	s_cbranch_execz .LBB20_137
; %bb.136:                              ;   in Loop: Header=BB20_132 Depth=1
	v_lshl_add_u64 v[10:11], v[180:181], 0, v[168:169]
	global_load_dwordx4 v[10:13], v[10:11], off offset:-8
.LBB20_137:                             ;   in Loop: Header=BB20_132 Depth=1
	s_or_b64 exec, exec, s[0:1]
	v_mov_b64_e32 v[14:15], 0
	v_cmp_gt_i32_e32 vcc, s23, v213
	s_mov_b64 s[20:21], 0
	v_mov_b64_e32 v[16:17], v[14:15]
	s_and_saveexec_b64 s[0:1], vcc
	s_cbranch_execz .LBB20_139
; %bb.138:                              ;   in Loop: Header=BB20_132 Depth=1
	v_lshl_add_u64 v[14:15], v[176:177], 0, v[168:169]
	global_load_dwordx4 v[14:17], v[14:15], off
.LBB20_139:                             ;   in Loop: Header=BB20_132 Depth=1
	s_or_b64 exec, exec, s[0:1]
	v_cmp_gt_i32_e64 s[0:1], s23, v214
	s_mov_b64 s[16:17], 0
	s_and_b64 vcc, exec, s[20:21]
	s_cbranch_vccnz .LBB20_141
	s_branch .LBB20_142
.LBB20_140:                             ;   in Loop: Header=BB20_132 Depth=1
	s_mov_b64 s[0:1], 0
                                        ; implicit-def: $sgpr16_sgpr17
                                        ; implicit-def: $vgpr16_vgpr17
                                        ; implicit-def: $vgpr12_vgpr13
                                        ; implicit-def: $vgpr8_vgpr9
	s_cbranch_execz .LBB20_142
.LBB20_141:                             ;   in Loop: Header=BB20_132 Depth=1
	s_waitcnt vmcnt(0)
	v_lshl_add_u64 v[10:11], v[180:181], 0, v[168:169]
	v_lshl_add_u64 v[14:15], v[176:177], 0, v[168:169]
	global_load_dwordx4 v[6:9], v[18:19], off offset:-8
	s_or_b64 s[0:1], s[0:1], exec
	global_load_dwordx4 v[10:13], v[10:11], off offset:-8
                                        ; implicit-def: $sgpr16_sgpr17
	s_nop 0
	global_load_dwordx4 v[14:17], v[14:15], off
.LBB20_142:                             ;   in Loop: Header=BB20_132 Depth=1
	v_mov_b64_e32 v[18:19], s[16:17]
	v_mov_b64_e32 v[20:21], s[16:17]
	s_and_saveexec_b64 s[16:17], s[0:1]
	s_cbranch_execz .LBB20_144
; %bb.143:                              ;   in Loop: Header=BB20_132 Depth=1
	v_lshl_add_u64 v[18:19], v[184:185], 0, v[168:169]
	global_load_dwordx4 v[18:21], v[18:19], off offset:-8
.LBB20_144:                             ;   in Loop: Header=BB20_132 Depth=1
	s_or_b64 exec, exec, s[16:17]
	ds_read_b128 v[34:37], v208
	ds_read_b128 v[22:25], v215
	v_cndmask_b32_e64 v5, 0, 1, s[14:15]
	v_cmp_ne_u32_e64 s[0:1], 1, v5
	s_andn2_b64 vcc, exec, s[14:15]
	s_waitcnt vmcnt(0) lgkmcnt(1)
	v_mul_f64 v[26:27], v[8:9], v[36:37]
	v_mul_f64 v[28:29], v[8:9], v[34:35]
	;; [unrolled: 1-line block ×3, first 2 shown]
	v_fmac_f64_e32 v[26:27], v[6:7], v[34:35]
	v_fma_f64 v[28:29], v[6:7], v[36:37], -v[28:29]
	v_mul_f64 v[32:33], v[12:13], v[34:35]
	ds_write_b128 v216, v[26:29]
	v_fmac_f64_e32 v[30:31], v[10:11], v[34:35]
	v_fma_f64 v[32:33], v[10:11], v[36:37], -v[32:33]
	v_mul_f64 v[38:39], v[16:17], v[36:37]
	v_mul_f64 v[40:41], v[16:17], v[34:35]
	;; [unrolled: 1-line block ×3, first 2 shown]
	ds_read_b128 v[26:29], v215 offset:16
	ds_write_b128 v216, v[30:33] offset:1072
	v_fmac_f64_e32 v[38:39], v[14:15], v[34:35]
	v_fma_f64 v[40:41], v[14:15], v[36:37], -v[40:41]
	v_fmac_f64_e32 v[42:43], v[18:19], v[34:35]
	v_mul_f64 v[34:35], v[20:21], v[34:35]
	ds_read_b128 v[30:33], v215 offset:32
	ds_write_b128 v216, v[38:41] offset:2144
	v_fma_f64 v[44:45], v[18:19], v[36:37], -v[34:35]
	ds_read_b128 v[38:41], v215 offset:48
	ds_write_b128 v216, v[42:45] offset:3216
	s_waitcnt lgkmcnt(0)
	s_barrier
	ds_read_b128 v[98:101], v211
	ds_read_b128 v[94:97], v211 offset:16
	ds_read_b128 v[86:89], v211 offset:32
	;; [unrolled: 1-line block ×3, first 2 shown]
	v_lshl_add_u64 v[50:51], v[188:189], 0, v[168:169]
	s_waitcnt lgkmcnt(0)
	s_barrier
	s_cbranch_vccnz .LBB20_152
; %bb.145:                              ;   in Loop: Header=BB20_132 Depth=1
	v_mov_b64_e32 v[42:43], 0
	v_cmp_gt_i32_e32 vcc, s23, v217
	v_mov_b64_e32 v[34:35], v[42:43]
	v_mov_b64_e32 v[36:37], v[42:43]
	s_and_saveexec_b64 s[14:15], vcc
	s_cbranch_execz .LBB20_147
; %bb.146:                              ;   in Loop: Header=BB20_132 Depth=1
	global_load_dwordx4 v[34:37], v[50:51], off offset:-8
.LBB20_147:                             ;   in Loop: Header=BB20_132 Depth=1
	s_or_b64 exec, exec, s[14:15]
	v_cmp_gt_i32_e32 vcc, s23, v218
	v_mov_b64_e32 v[44:45], v[42:43]
	s_and_saveexec_b64 s[14:15], vcc
	s_cbranch_execz .LBB20_149
; %bb.148:                              ;   in Loop: Header=BB20_132 Depth=1
	v_lshl_add_u64 v[42:43], v[192:193], 0, v[168:169]
	global_load_dwordx4 v[42:45], v[42:43], off offset:-8
.LBB20_149:                             ;   in Loop: Header=BB20_132 Depth=1
	s_or_b64 exec, exec, s[14:15]
	v_mov_b64_e32 v[46:47], 0
	v_cmp_gt_i32_e32 vcc, s23, v219
	s_mov_b64 s[20:21], 0
	v_mov_b64_e32 v[48:49], v[46:47]
	s_and_saveexec_b64 s[14:15], vcc
	s_cbranch_execz .LBB20_151
; %bb.150:                              ;   in Loop: Header=BB20_132 Depth=1
	v_lshl_add_u64 v[46:47], v[196:197], 0, v[168:169]
	global_load_dwordx4 v[46:49], v[46:47], off offset:-8
.LBB20_151:                             ;   in Loop: Header=BB20_132 Depth=1
	s_or_b64 exec, exec, s[14:15]
	v_cmp_gt_i32_e64 s[14:15], s23, v220
	s_mov_b64 s[16:17], 0
	s_and_b64 vcc, exec, s[20:21]
	s_cbranch_vccnz .LBB20_153
	s_branch .LBB20_154
.LBB20_152:                             ;   in Loop: Header=BB20_132 Depth=1
	s_mov_b64 s[14:15], 0
                                        ; implicit-def: $sgpr16_sgpr17
                                        ; implicit-def: $vgpr48_vgpr49
                                        ; implicit-def: $vgpr44_vgpr45
                                        ; implicit-def: $vgpr36_vgpr37
	s_cbranch_execz .LBB20_154
.LBB20_153:                             ;   in Loop: Header=BB20_132 Depth=1
	s_waitcnt vmcnt(0)
	v_lshl_add_u64 v[42:43], v[192:193], 0, v[168:169]
	v_lshl_add_u64 v[46:47], v[196:197], 0, v[168:169]
	global_load_dwordx4 v[34:37], v[50:51], off offset:-8
	s_or_b64 s[14:15], s[14:15], exec
	global_load_dwordx4 v[42:45], v[42:43], off offset:-8
                                        ; implicit-def: $sgpr16_sgpr17
	s_nop 0
	global_load_dwordx4 v[46:49], v[46:47], off offset:-8
.LBB20_154:                             ;   in Loop: Header=BB20_132 Depth=1
	v_mov_b64_e32 v[50:51], s[16:17]
	v_mov_b64_e32 v[52:53], s[16:17]
	s_and_saveexec_b64 s[16:17], s[14:15]
	s_cbranch_execz .LBB20_156
; %bb.155:                              ;   in Loop: Header=BB20_132 Depth=1
	v_lshl_add_u64 v[50:51], v[200:201], 0, v[168:169]
	global_load_dwordx4 v[50:53], v[50:51], off offset:-8
.LBB20_156:                             ;   in Loop: Header=BB20_132 Depth=1
	s_or_b64 exec, exec, s[16:17]
	ds_read_b128 v[66:69], v208
	ds_read_b128 v[54:57], v215 offset:256
	s_and_b64 vcc, exec, s[0:1]
	v_lshl_add_u64 v[90:91], v[202:203], 0, v[168:169]
	s_waitcnt vmcnt(0) lgkmcnt(1)
	v_mul_f64 v[58:59], v[36:37], v[68:69]
	v_mul_f64 v[60:61], v[36:37], v[66:67]
	;; [unrolled: 1-line block ×3, first 2 shown]
	v_fmac_f64_e32 v[58:59], v[34:35], v[66:67]
	v_fma_f64 v[60:61], v[34:35], v[68:69], -v[60:61]
	v_mul_f64 v[64:65], v[44:45], v[66:67]
	ds_write_b128 v216, v[58:61]
	v_fmac_f64_e32 v[62:63], v[42:43], v[66:67]
	v_fma_f64 v[64:65], v[42:43], v[68:69], -v[64:65]
	v_mul_f64 v[70:71], v[48:49], v[68:69]
	v_mul_f64 v[72:73], v[48:49], v[66:67]
	ds_read_b128 v[58:61], v215 offset:272
	ds_write_b128 v216, v[62:65] offset:1072
	v_fmac_f64_e32 v[70:71], v[46:47], v[66:67]
	v_fma_f64 v[72:73], v[46:47], v[68:69], -v[72:73]
	ds_read_b128 v[62:65], v215 offset:288
	ds_write_b128 v216, v[70:73] offset:2144
	v_mul_f64 v[70:71], v[52:53], v[68:69]
	v_fmac_f64_e32 v[70:71], v[50:51], v[66:67]
	v_mul_f64 v[66:67], v[52:53], v[66:67]
	v_fma_f64 v[72:73], v[50:51], v[68:69], -v[66:67]
	ds_read_b128 v[74:77], v215 offset:304
	ds_write_b128 v216, v[70:73] offset:3216
	s_waitcnt lgkmcnt(0)
	s_barrier
	ds_read_b128 v[146:149], v211
	ds_read_b128 v[142:145], v211 offset:16
	ds_read_b128 v[138:141], v211 offset:32
	;; [unrolled: 1-line block ×3, first 2 shown]
	s_waitcnt lgkmcnt(0)
	s_barrier
	s_cbranch_vccnz .LBB20_164
; %bb.157:                              ;   in Loop: Header=BB20_132 Depth=1
	v_mov_b64_e32 v[70:71], 0
	v_cmp_gt_i32_e32 vcc, s23, v221
	v_mov_b64_e32 v[66:67], v[70:71]
	v_mov_b64_e32 v[68:69], v[70:71]
	s_and_saveexec_b64 s[14:15], vcc
	s_cbranch_execz .LBB20_159
; %bb.158:                              ;   in Loop: Header=BB20_132 Depth=1
	global_load_dwordx4 v[66:69], v[90:91], off offset:-8
.LBB20_159:                             ;   in Loop: Header=BB20_132 Depth=1
	s_or_b64 exec, exec, s[14:15]
	v_cmp_gt_i32_e32 vcc, s23, v222
	v_mov_b64_e32 v[72:73], v[70:71]
	s_and_saveexec_b64 s[14:15], vcc
	s_cbranch_execz .LBB20_161
; %bb.160:                              ;   in Loop: Header=BB20_132 Depth=1
	v_lshl_add_u64 v[70:71], v[198:199], 0, v[168:169]
	global_load_dwordx4 v[70:73], v[70:71], off
.LBB20_161:                             ;   in Loop: Header=BB20_132 Depth=1
	s_or_b64 exec, exec, s[14:15]
	v_mov_b64_e32 v[78:79], 0
	v_cmp_gt_i32_e32 vcc, s23, v223
	s_mov_b64 s[20:21], 0
	v_mov_b64_e32 v[80:81], v[78:79]
	s_and_saveexec_b64 s[14:15], vcc
	s_cbranch_execz .LBB20_163
; %bb.162:                              ;   in Loop: Header=BB20_132 Depth=1
	v_lshl_add_u64 v[78:79], v[194:195], 0, v[168:169]
	global_load_dwordx4 v[78:81], v[78:79], off
.LBB20_163:                             ;   in Loop: Header=BB20_132 Depth=1
	s_or_b64 exec, exec, s[14:15]
	v_cmp_gt_i32_e64 s[14:15], s23, v224
	s_mov_b64 s[16:17], 0
	s_and_b64 vcc, exec, s[20:21]
	s_cbranch_vccnz .LBB20_165
	s_branch .LBB20_166
.LBB20_164:                             ;   in Loop: Header=BB20_132 Depth=1
	s_mov_b64 s[14:15], 0
                                        ; implicit-def: $sgpr16_sgpr17
                                        ; implicit-def: $vgpr80_vgpr81
                                        ; implicit-def: $vgpr72_vgpr73
                                        ; implicit-def: $vgpr68_vgpr69
	s_cbranch_execz .LBB20_166
.LBB20_165:                             ;   in Loop: Header=BB20_132 Depth=1
	s_waitcnt vmcnt(0)
	v_lshl_add_u64 v[70:71], v[198:199], 0, v[168:169]
	v_lshl_add_u64 v[78:79], v[194:195], 0, v[168:169]
	global_load_dwordx4 v[66:69], v[90:91], off offset:-8
	s_or_b64 s[14:15], s[14:15], exec
	global_load_dwordx4 v[70:73], v[70:71], off
                                        ; implicit-def: $sgpr16_sgpr17
	s_nop 0
	global_load_dwordx4 v[78:81], v[78:79], off
.LBB20_166:                             ;   in Loop: Header=BB20_132 Depth=1
	v_mov_b64_e32 v[90:91], s[16:17]
	v_mov_b64_e32 v[92:93], s[16:17]
	s_and_saveexec_b64 s[16:17], s[14:15]
	s_cbranch_execz .LBB20_168
; %bb.167:                              ;   in Loop: Header=BB20_132 Depth=1
	v_lshl_add_u64 v[90:91], v[190:191], 0, v[168:169]
	global_load_dwordx4 v[90:93], v[90:91], off
.LBB20_168:                             ;   in Loop: Header=BB20_132 Depth=1
	s_or_b64 exec, exec, s[16:17]
	ds_read_b128 v[114:117], v208
	ds_read_b128 v[102:105], v215 offset:512
	s_and_b64 vcc, exec, s[0:1]
	v_lshl_add_u64 v[130:131], v[186:187], 0, v[168:169]
	s_waitcnt vmcnt(0) lgkmcnt(1)
	v_mul_f64 v[106:107], v[68:69], v[116:117]
	v_mul_f64 v[108:109], v[68:69], v[114:115]
	;; [unrolled: 1-line block ×3, first 2 shown]
	v_fmac_f64_e32 v[106:107], v[66:67], v[114:115]
	v_fma_f64 v[108:109], v[66:67], v[116:117], -v[108:109]
	v_mul_f64 v[112:113], v[72:73], v[114:115]
	ds_write_b128 v216, v[106:109]
	v_fmac_f64_e32 v[110:111], v[70:71], v[114:115]
	v_fma_f64 v[112:113], v[70:71], v[116:117], -v[112:113]
	v_mul_f64 v[118:119], v[80:81], v[116:117]
	v_mul_f64 v[120:121], v[80:81], v[114:115]
	;; [unrolled: 1-line block ×3, first 2 shown]
	ds_read_b128 v[106:109], v215 offset:528
	ds_write_b128 v216, v[110:113] offset:1072
	v_fmac_f64_e32 v[118:119], v[78:79], v[114:115]
	v_fma_f64 v[120:121], v[78:79], v[116:117], -v[120:121]
	v_fmac_f64_e32 v[122:123], v[90:91], v[114:115]
	v_mul_f64 v[114:115], v[92:93], v[114:115]
	ds_read_b128 v[110:113], v215 offset:544
	ds_write_b128 v216, v[118:121] offset:2144
	v_fma_f64 v[124:125], v[90:91], v[116:117], -v[114:115]
	ds_read_b128 v[118:121], v215 offset:560
	ds_write_b128 v216, v[122:125] offset:3216
	s_waitcnt lgkmcnt(0)
	s_barrier
	ds_read_b128 v[162:165], v211
	ds_read_b128 v[158:161], v211 offset:16
	ds_read_b128 v[154:157], v211 offset:32
	;; [unrolled: 1-line block ×3, first 2 shown]
	s_waitcnt lgkmcnt(0)
	s_barrier
	s_cbranch_vccnz .LBB20_176
; %bb.169:                              ;   in Loop: Header=BB20_132 Depth=1
	v_mov_b64_e32 v[122:123], 0
	v_cmp_gt_i32_e32 vcc, s23, v225
	v_mov_b64_e32 v[114:115], v[122:123]
	v_mov_b64_e32 v[116:117], v[122:123]
	s_and_saveexec_b64 s[0:1], vcc
	s_cbranch_execz .LBB20_171
; %bb.170:                              ;   in Loop: Header=BB20_132 Depth=1
	global_load_dwordx4 v[114:117], v[130:131], off
.LBB20_171:                             ;   in Loop: Header=BB20_132 Depth=1
	s_or_b64 exec, exec, s[0:1]
	v_cmp_gt_i32_e32 vcc, s23, v226
	v_mov_b64_e32 v[124:125], v[122:123]
	s_and_saveexec_b64 s[0:1], vcc
	s_cbranch_execz .LBB20_173
; %bb.172:                              ;   in Loop: Header=BB20_132 Depth=1
	v_lshl_add_u64 v[122:123], v[182:183], 0, v[168:169]
	global_load_dwordx4 v[122:125], v[122:123], off
.LBB20_173:                             ;   in Loop: Header=BB20_132 Depth=1
	s_or_b64 exec, exec, s[0:1]
	v_mov_b64_e32 v[126:127], 0
	v_cmp_gt_i32_e32 vcc, s23, v227
	s_mov_b64 s[16:17], 0
	v_mov_b64_e32 v[128:129], v[126:127]
	s_and_saveexec_b64 s[0:1], vcc
	s_cbranch_execz .LBB20_175
; %bb.174:                              ;   in Loop: Header=BB20_132 Depth=1
	v_lshl_add_u64 v[126:127], v[178:179], 0, v[168:169]
	global_load_dwordx4 v[126:129], v[126:127], off
.LBB20_175:                             ;   in Loop: Header=BB20_132 Depth=1
	s_or_b64 exec, exec, s[0:1]
	v_cmp_gt_i32_e64 s[0:1], s23, v228
	s_mov_b64 s[14:15], 0
	s_and_b64 vcc, exec, s[16:17]
	s_cbranch_vccnz .LBB20_177
	s_branch .LBB20_178
.LBB20_176:                             ;   in Loop: Header=BB20_132 Depth=1
	s_mov_b64 s[0:1], 0
                                        ; implicit-def: $sgpr14_sgpr15
                                        ; implicit-def: $vgpr128_vgpr129
                                        ; implicit-def: $vgpr124_vgpr125
                                        ; implicit-def: $vgpr116_vgpr117
	s_cbranch_execz .LBB20_178
.LBB20_177:                             ;   in Loop: Header=BB20_132 Depth=1
	s_waitcnt vmcnt(0)
	v_lshl_add_u64 v[122:123], v[182:183], 0, v[168:169]
	v_lshl_add_u64 v[126:127], v[178:179], 0, v[168:169]
	global_load_dwordx4 v[114:117], v[130:131], off
	s_or_b64 s[0:1], s[0:1], exec
	global_load_dwordx4 v[122:125], v[122:123], off
                                        ; implicit-def: $sgpr14_sgpr15
	s_nop 0
	global_load_dwordx4 v[126:129], v[126:127], off
.LBB20_178:                             ;   in Loop: Header=BB20_132 Depth=1
	v_mov_b64_e32 v[130:131], s[14:15]
	v_mov_b64_e32 v[132:133], s[14:15]
	s_and_saveexec_b64 s[14:15], s[0:1]
	s_cbranch_execz .LBB20_180
; %bb.179:                              ;   in Loop: Header=BB20_132 Depth=1
	v_lshl_add_u64 v[130:131], v[174:175], 0, v[168:169]
	global_load_dwordx4 v[130:133], v[130:131], off
.LBB20_180:                             ;   in Loop: Header=BB20_132 Depth=1
	s_or_b64 exec, exec, s[14:15]
	v_add_f64 v[146:147], v[146:147], 0
	v_add_f64 v[148:149], v[148:149], 0
	;; [unrolled: 1-line block ×6, first 2 shown]
	ds_read_b128 v[142:145], v208
	v_add_f64 v[162:163], v[162:163], 0
	v_add_f64 v[98:99], v[98:99], 0
	;; [unrolled: 1-line block ×11, first 2 shown]
	ds_read_b128 v[86:89], v215 offset:768
	s_waitcnt vmcnt(0) lgkmcnt(1)
	v_mul_f64 v[94:95], v[116:117], v[144:145]
	v_mul_f64 v[96:97], v[116:117], v[142:143]
	v_fmac_f64_e32 v[94:95], v[114:115], v[142:143]
	v_fma_f64 v[96:97], v[114:115], v[144:145], -v[96:97]
	v_mul_f64 v[98:99], v[124:125], v[144:145]
	v_mul_f64 v[100:101], v[124:125], v[142:143]
	v_add_f64 v[138:139], v[138:139], v[134:135]
	v_add_f64 v[140:141], v[140:141], v[136:137]
	ds_write_b128 v216, v[94:97]
	v_fmac_f64_e32 v[98:99], v[122:123], v[142:143]
	v_fma_f64 v[100:101], v[122:123], v[144:145], -v[100:101]
	v_mul_f64 v[134:135], v[128:129], v[144:145]
	v_mul_f64 v[136:137], v[128:129], v[142:143]
	;; [unrolled: 1-line block ×3, first 2 shown]
	ds_read_b128 v[94:97], v215 offset:784
	ds_write_b128 v216, v[98:101] offset:1072
	v_fmac_f64_e32 v[134:135], v[126:127], v[142:143]
	v_fma_f64 v[136:137], v[126:127], v[144:145], -v[136:137]
	v_fmac_f64_e32 v[146:147], v[130:131], v[142:143]
	v_mul_f64 v[142:143], v[132:133], v[142:143]
	ds_read_b128 v[98:101], v215 offset:800
	ds_write_b128 v216, v[134:137] offset:2144
	v_fma_f64 v[148:149], v[130:131], v[144:145], -v[142:143]
	v_add_f64 v[164:165], v[164:165], 0
	ds_read_b128 v[134:137], v215 offset:816
	ds_write_b128 v216, v[146:149] offset:3216
	s_waitcnt lgkmcnt(0)
	s_barrier
	ds_read_b128 v[142:145], v211
	v_add_f64 v[160:161], v[164:165], v[160:161]
	v_add_f64 v[156:157], v[160:161], v[156:157]
	;; [unrolled: 1-line block ×4, first 2 shown]
	ds_read_b128 v[146:149], v211 offset:16
	ds_read_b128 v[154:157], v211 offset:32
	;; [unrolled: 1-line block ×3, first 2 shown]
	s_waitcnt lgkmcnt(3)
	v_add_f64 v[142:143], v[142:143], 0
	v_add_f64 v[144:145], v[144:145], 0
	v_cmp_gt_i32_e32 vcc, s23, v204
	s_waitcnt lgkmcnt(2)
	v_add_f64 v[142:143], v[142:143], v[146:147]
	v_add_f64 v[144:145], v[144:145], v[148:149]
	s_or_b64 s[0:1], s[12:13], vcc
	s_waitcnt lgkmcnt(1)
	v_add_f64 v[142:143], v[142:143], v[154:155]
	v_add_f64 v[144:145], v[144:145], v[156:157]
	s_and_b64 s[12:13], s[6:7], s[0:1]
	s_waitcnt lgkmcnt(0)
	v_add_f64 v[142:143], v[142:143], v[158:159]
	v_add_f64 v[144:145], v[144:145], v[160:161]
	s_barrier
	ds_write_b128 v230, v[82:85]
	ds_write_b128 v230, v[138:141] offset:256
	ds_write_b128 v230, v[150:153] offset:512
	;; [unrolled: 1-line block ×3, first 2 shown]
	s_waitcnt lgkmcnt(0)
	s_barrier
	s_and_saveexec_b64 s[0:1], s[12:13]
	s_cbranch_execz .LBB20_182
; %bb.181:                              ;   in Loop: Header=BB20_132 Depth=1
	ds_read_b128 v[82:85], v209
	ds_read_b128 v[138:141], v209 offset:16
	ds_read_b128 v[142:145], v209 offset:32
	;; [unrolled: 1-line block ×3, first 2 shown]
	s_waitcnt lgkmcnt(2)
	v_add_f64 v[82:83], v[138:139], v[82:83]
	v_add_f64 v[138:139], v[140:141], v[84:85]
	s_waitcnt lgkmcnt(1)
	v_add_f64 v[140:141], v[82:83], v[142:143]
	ds_read_b128 v[82:85], v209 offset:64
	v_add_f64 v[142:143], v[138:139], v[144:145]
	s_waitcnt lgkmcnt(1)
	v_add_f64 v[144:145], v[140:141], v[146:147]
	ds_read_b128 v[138:141], v209 offset:80
	;; [unrolled: 4-line block ×9, first 2 shown]
	v_add_f64 v[84:85], v[146:147], v[84:85]
	s_waitcnt lgkmcnt(1)
	v_add_f64 v[138:139], v[82:83], v[138:139]
	v_add_f64 v[146:147], v[84:85], v[140:141]
	ds_read_b128 v[82:85], v209 offset:208
	s_waitcnt lgkmcnt(1)
	v_add_f64 v[148:149], v[138:139], v[142:143]
	ds_read_b128 v[138:141], v209 offset:224
	v_add_f64 v[146:147], v[146:147], v[144:145]
	ds_read_b128 v[142:145], v210
	s_waitcnt lgkmcnt(2)
	v_add_f64 v[82:83], v[148:149], v[82:83]
	v_add_f64 v[84:85], v[146:147], v[84:85]
	s_waitcnt lgkmcnt(1)
	v_add_f64 v[82:83], v[82:83], v[138:139]
	v_add_u32_e32 v138, s22, v229
	v_add_f64 v[84:85], v[84:85], v[140:141]
	v_ashrrev_i32_e32 v139, 31, v138
	s_waitcnt lgkmcnt(0)
	v_add_f64 v[82:83], v[82:83], v[142:143]
	v_add_f64 v[84:85], v[84:85], v[144:145]
	v_lshl_add_u64 v[138:139], v[138:139], 4, s[8:9]
	global_store_dwordx4 v[138:139], v[82:85], off
.LBB20_182:                             ;   in Loop: Header=BB20_132 Depth=1
	s_or_b64 exec, exec, s[0:1]
	s_nop 0
	v_mul_f64 v[82:83], v[8:9], v[24:25]
	v_fma_f64 v[82:83], v[6:7], v[22:23], -v[82:83]
	v_mul_f64 v[6:7], v[6:7], v[24:25]
	v_mul_f64 v[24:25], v[12:13], v[28:29]
	v_add_f64 v[0:1], v[0:1], v[82:83]
	v_fma_f64 v[24:25], v[10:11], v[26:27], -v[24:25]
	v_add_f64 v[0:1], v[0:1], v[24:25]
	v_mul_f64 v[24:25], v[16:17], v[32:33]
	v_fma_f64 v[24:25], v[14:15], v[30:31], -v[24:25]
	v_add_f64 v[0:1], v[0:1], v[24:25]
	v_mul_f64 v[24:25], v[20:21], v[40:41]
	v_fmac_f64_e32 v[6:7], v[8:9], v[22:23]
	v_fma_f64 v[24:25], v[18:19], v[38:39], -v[24:25]
	v_add_f64 v[2:3], v[2:3], v[6:7]
	v_mul_f64 v[6:7], v[36:37], v[56:57]
	v_add_f64 v[0:1], v[0:1], v[24:25]
	v_fma_f64 v[6:7], v[34:35], v[54:55], -v[6:7]
	v_add_f64 v[0:1], v[0:1], v[6:7]
	v_mul_f64 v[6:7], v[44:45], v[60:61]
	v_fma_f64 v[6:7], v[42:43], v[58:59], -v[6:7]
	v_add_f64 v[0:1], v[0:1], v[6:7]
	v_mul_f64 v[6:7], v[48:49], v[64:65]
	;; [unrolled: 3-line block ×3, first 2 shown]
	v_fma_f64 v[6:7], v[50:51], v[74:75], -v[6:7]
	v_mul_f64 v[10:11], v[10:11], v[28:29]
	v_add_f64 v[0:1], v[0:1], v[6:7]
	v_mul_f64 v[6:7], v[68:69], v[104:105]
	v_mul_f64 v[14:15], v[14:15], v[32:33]
	v_fmac_f64_e32 v[10:11], v[12:13], v[26:27]
	v_fma_f64 v[6:7], v[66:67], v[102:103], -v[6:7]
	v_mul_f64 v[18:19], v[18:19], v[40:41]
	v_add_f64 v[2:3], v[2:3], v[10:11]
	v_fmac_f64_e32 v[14:15], v[16:17], v[30:31]
	v_add_f64 v[0:1], v[0:1], v[6:7]
	v_mul_f64 v[6:7], v[72:73], v[108:109]
	v_add_f64 v[2:3], v[2:3], v[14:15]
	v_fmac_f64_e32 v[18:19], v[20:21], v[38:39]
	v_mul_f64 v[8:9], v[34:35], v[56:57]
	v_fma_f64 v[6:7], v[70:71], v[106:107], -v[6:7]
	v_add_f64 v[2:3], v[2:3], v[18:19]
	v_mul_f64 v[10:11], v[42:43], v[60:61]
	v_fmac_f64_e32 v[8:9], v[36:37], v[54:55]
	v_add_f64 v[0:1], v[0:1], v[6:7]
	v_mul_f64 v[6:7], v[80:81], v[112:113]
	v_mul_f64 v[12:13], v[46:47], v[64:65]
	v_add_f64 v[2:3], v[2:3], v[8:9]
	v_fmac_f64_e32 v[10:11], v[44:45], v[58:59]
	v_fma_f64 v[6:7], v[78:79], v[110:111], -v[6:7]
	v_mul_f64 v[14:15], v[50:51], v[76:77]
	v_add_f64 v[2:3], v[2:3], v[10:11]
	v_fmac_f64_e32 v[12:13], v[48:49], v[62:63]
	v_add_f64 v[0:1], v[0:1], v[6:7]
	v_mul_f64 v[6:7], v[92:93], v[120:121]
	v_add_f64 v[2:3], v[2:3], v[12:13]
	v_fmac_f64_e32 v[14:15], v[52:53], v[74:75]
	v_mul_f64 v[8:9], v[66:67], v[104:105]
	v_fma_f64 v[6:7], v[90:91], v[118:119], -v[6:7]
	v_add_f64 v[2:3], v[2:3], v[14:15]
	v_mul_f64 v[10:11], v[70:71], v[108:109]
	v_add_f64 v[0:1], v[0:1], v[6:7]
	v_fmac_f64_e32 v[8:9], v[68:69], v[102:103]
	v_mul_f64 v[6:7], v[116:117], v[88:89]
	v_mul_f64 v[12:13], v[78:79], v[112:113]
	v_add_f64 v[2:3], v[2:3], v[8:9]
	v_fmac_f64_e32 v[10:11], v[72:73], v[106:107]
	v_fma_f64 v[6:7], v[114:115], v[86:87], -v[6:7]
	v_mul_f64 v[14:15], v[90:91], v[120:121]
	v_add_f64 v[2:3], v[2:3], v[10:11]
	v_fmac_f64_e32 v[12:13], v[80:81], v[110:111]
	v_add_f64 v[0:1], v[0:1], v[6:7]
	v_mul_f64 v[6:7], v[124:125], v[96:97]
	v_add_f64 v[2:3], v[2:3], v[12:13]
	v_fmac_f64_e32 v[14:15], v[92:93], v[118:119]
	v_mul_f64 v[8:9], v[114:115], v[88:89]
	v_fma_f64 v[6:7], v[122:123], v[94:95], -v[6:7]
	v_add_f64 v[2:3], v[2:3], v[14:15]
	v_mul_f64 v[10:11], v[122:123], v[96:97]
	v_add_f64 v[0:1], v[0:1], v[6:7]
	v_mul_f64 v[6:7], v[128:129], v[100:101]
	v_fmac_f64_e32 v[8:9], v[116:117], v[86:87]
	v_fma_f64 v[6:7], v[126:127], v[98:99], -v[6:7]
	v_mul_f64 v[12:13], v[126:127], v[100:101]
	v_fmac_f64_e32 v[10:11], v[124:125], v[94:95]
	v_add_f64 v[2:3], v[2:3], v[8:9]
	v_add_f64 v[0:1], v[0:1], v[6:7]
	v_mul_f64 v[6:7], v[132:133], v[136:137]
	v_mul_f64 v[14:15], v[130:131], v[136:137]
	v_fmac_f64_e32 v[12:13], v[128:129], v[98:99]
	v_add_f64 v[2:3], v[2:3], v[10:11]
	v_fma_f64 v[6:7], v[130:131], v[134:135], -v[6:7]
	v_fmac_f64_e32 v[14:15], v[132:133], v[134:135]
	v_add_f64 v[2:3], v[2:3], v[12:13]
	s_add_i32 s0, s2, 1
	s_add_i32 s22, s22, 64
	;; [unrolled: 1-line block ×3, first 2 shown]
	v_add_f64 v[0:1], v[0:1], v[6:7]
	v_add_f64 v[2:3], v[2:3], v[14:15]
	v_lshl_add_u64 v[172:173], v[172:173], 0, s[10:11]
	v_lshl_add_u64 v[174:175], v[174:175], 0, s[10:11]
	;; [unrolled: 1-line block ×15, first 2 shown]
	s_cmp_ge_u32 s1, s33
	v_lshl_add_u64 v[202:203], v[202:203], 0, s[10:11]
	s_barrier
	s_cbranch_scc1 .LBB20_184
; %bb.183:                              ;   in Loop: Header=BB20_132 Depth=1
	s_mov_b32 s2, s0
	s_cmp_eq_u32 s3, s2
	s_cselect_b32 s23, s30, 0
	s_and_saveexec_b64 s[0:1], s[4:5]
	s_cbranch_execnz .LBB20_128
	s_branch .LBB20_132
.LBB20_184:
	s_movk_i32 s0, 0x430
	v_cmp_gt_i32_e32 vcc, s24, v204
	v_mad_u32_u24 v4, v205, s0, v168
	s_or_b64 s[0:1], s[18:19], vcc
	s_and_b64 s[0:1], s[4:5], s[0:1]
	ds_write_b128 v4, v[0:3]
	s_waitcnt lgkmcnt(0)
	s_barrier
	s_and_saveexec_b64 s[2:3], s[0:1]
	s_cbranch_execz .LBB20_186
; %bb.185:
	ds_read_b128 v[0:3], v168 offset:1072
	ds_read_b128 v[4:7], v168
	ds_read_b128 v[8:11], v168 offset:2144
	ds_read_b128 v[12:15], v168 offset:3216
	s_waitcnt lgkmcnt(2)
	v_add_f64 v[0:1], v[0:1], v[4:5]
	v_add_f64 v[2:3], v[2:3], v[6:7]
	s_waitcnt lgkmcnt(1)
	v_add_f64 v[0:1], v[0:1], v[8:9]
	v_add_f64 v[2:3], v[2:3], v[10:11]
	s_waitcnt lgkmcnt(0)
	v_add_f64 v[0:1], v[0:1], v[12:13]
	v_add_f64 v[2:3], v[2:3], v[14:15]
	v_lshl_add_u64 v[4:5], v[166:167], 4, s[8:9]
	global_store_dwordx4 v[4:5], v[0:3], off
.LBB20_186:
	s_endpgm
	.section	.rodata,"a",@progbits
	.p2align	6, 0x0
	.amdhsa_kernel _ZL26rocblas_hemvn_kernel_upperILb1ELi64ELi4ELi33ELi32ELi16El19rocblas_complex_numIdEPKS1_PS1_EviT6_lT7_lT5_lS6_lS7_lS5_lT8_i
		.amdhsa_group_segment_fixed_size 19200
		.amdhsa_private_segment_fixed_size 0
		.amdhsa_kernarg_size 392
		.amdhsa_user_sgpr_count 2
		.amdhsa_user_sgpr_dispatch_ptr 0
		.amdhsa_user_sgpr_queue_ptr 0
		.amdhsa_user_sgpr_kernarg_segment_ptr 1
		.amdhsa_user_sgpr_dispatch_id 0
		.amdhsa_user_sgpr_kernarg_preload_length 0
		.amdhsa_user_sgpr_kernarg_preload_offset 0
		.amdhsa_user_sgpr_private_segment_size 0
		.amdhsa_uses_dynamic_stack 0
		.amdhsa_enable_private_segment 0
		.amdhsa_system_sgpr_workgroup_id_x 1
		.amdhsa_system_sgpr_workgroup_id_y 0
		.amdhsa_system_sgpr_workgroup_id_z 1
		.amdhsa_system_sgpr_workgroup_info 0
		.amdhsa_system_vgpr_workitem_id 1
		.amdhsa_next_free_vgpr 231
		.amdhsa_next_free_sgpr 40
		.amdhsa_accum_offset 232
		.amdhsa_reserve_vcc 1
		.amdhsa_float_round_mode_32 0
		.amdhsa_float_round_mode_16_64 0
		.amdhsa_float_denorm_mode_32 3
		.amdhsa_float_denorm_mode_16_64 3
		.amdhsa_dx10_clamp 1
		.amdhsa_ieee_mode 1
		.amdhsa_fp16_overflow 0
		.amdhsa_tg_split 0
		.amdhsa_exception_fp_ieee_invalid_op 0
		.amdhsa_exception_fp_denorm_src 0
		.amdhsa_exception_fp_ieee_div_zero 0
		.amdhsa_exception_fp_ieee_overflow 0
		.amdhsa_exception_fp_ieee_underflow 0
		.amdhsa_exception_fp_ieee_inexact 0
		.amdhsa_exception_int_div_zero 0
	.end_amdhsa_kernel
	.section	.text._ZL26rocblas_hemvn_kernel_upperILb1ELi64ELi4ELi33ELi32ELi16El19rocblas_complex_numIdEPKS1_PS1_EviT6_lT7_lT5_lS6_lS7_lS5_lT8_i,"axG",@progbits,_ZL26rocblas_hemvn_kernel_upperILb1ELi64ELi4ELi33ELi32ELi16El19rocblas_complex_numIdEPKS1_PS1_EviT6_lT7_lT5_lS6_lS7_lS5_lT8_i,comdat
.Lfunc_end20:
	.size	_ZL26rocblas_hemvn_kernel_upperILb1ELi64ELi4ELi33ELi32ELi16El19rocblas_complex_numIdEPKS1_PS1_EviT6_lT7_lT5_lS6_lS7_lS5_lT8_i, .Lfunc_end20-_ZL26rocblas_hemvn_kernel_upperILb1ELi64ELi4ELi33ELi32ELi16El19rocblas_complex_numIdEPKS1_PS1_EviT6_lT7_lT5_lS6_lS7_lS5_lT8_i
                                        ; -- End function
	.section	.AMDGPU.csdata,"",@progbits
; Kernel info:
; codeLenInByte = 11040
; NumSgprs: 46
; NumVgprs: 231
; NumAgprs: 0
; TotalNumVgprs: 231
; ScratchSize: 0
; MemoryBound: 1
; FloatMode: 240
; IeeeMode: 1
; LDSByteSize: 19200 bytes/workgroup (compile time only)
; SGPRBlocks: 5
; VGPRBlocks: 28
; NumSGPRsForWavesPerEU: 46
; NumVGPRsForWavesPerEU: 231
; AccumOffset: 232
; Occupancy: 2
; WaveLimiterHint : 0
; COMPUTE_PGM_RSRC2:SCRATCH_EN: 0
; COMPUTE_PGM_RSRC2:USER_SGPR: 2
; COMPUTE_PGM_RSRC2:TRAP_HANDLER: 0
; COMPUTE_PGM_RSRC2:TGID_X_EN: 1
; COMPUTE_PGM_RSRC2:TGID_Y_EN: 0
; COMPUTE_PGM_RSRC2:TGID_Z_EN: 1
; COMPUTE_PGM_RSRC2:TIDIG_COMP_CNT: 1
; COMPUTE_PGM_RSRC3_GFX90A:ACCUM_OFFSET: 57
; COMPUTE_PGM_RSRC3_GFX90A:TG_SPLIT: 0
	.section	.text._ZL36rocblas_hemvn_kernel_upper_block_sumILi64El19rocblas_complex_numIdEPS1_S1_EviT1_lS3_lT2_lT0_lPT3_i,"axG",@progbits,_ZL36rocblas_hemvn_kernel_upper_block_sumILi64El19rocblas_complex_numIdEPS1_S1_EviT1_lS3_lT2_lT0_lPT3_i,comdat
	.globl	_ZL36rocblas_hemvn_kernel_upper_block_sumILi64El19rocblas_complex_numIdEPS1_S1_EviT1_lS3_lT2_lT0_lPT3_i ; -- Begin function _ZL36rocblas_hemvn_kernel_upper_block_sumILi64El19rocblas_complex_numIdEPS1_S1_EviT1_lS3_lT2_lT0_lPT3_i
	.p2align	8
	.type	_ZL36rocblas_hemvn_kernel_upper_block_sumILi64El19rocblas_complex_numIdEPS1_S1_EviT1_lS3_lT2_lT0_lPT3_i,@function
_ZL36rocblas_hemvn_kernel_upper_block_sumILi64El19rocblas_complex_numIdEPS1_S1_EviT1_lS3_lT2_lT0_lPT3_i: ; @_ZL36rocblas_hemvn_kernel_upper_block_sumILi64El19rocblas_complex_numIdEPS1_S1_EviT1_lS3_lT2_lT0_lPT3_i
; %bb.0:
	s_load_dwordx4 s[16:19], s[0:1], 0x8
	s_load_dwordx4 s[12:15], s[0:1], 0x20
	s_waitcnt lgkmcnt(0)
	v_cmp_neq_f64_e64 s[4:5], s[16:17], 0
	v_cmp_neq_f64_e64 s[6:7], s[18:19], 0
	s_or_b64 s[20:21], s[4:5], s[6:7]
	s_mov_b64 s[4:5], -1
	s_and_b64 vcc, exec, s[20:21]
	s_cbranch_vccnz .LBB21_2
; %bb.1:
	v_cmp_neq_f64_e64 s[4:5], s[12:13], 1.0
	v_cmp_neq_f64_e64 s[6:7], s[14:15], 0
	s_or_b64 s[4:5], s[4:5], s[6:7]
.LBB21_2:
	s_andn2_b64 vcc, exec, s[4:5]
	s_cbranch_vccnz .LBB21_22
; %bb.3:
	s_load_dwordx8 s[4:11], s[0:1], 0x40
	s_load_dwordx2 s[24:25], s[0:1], 0x38
	s_load_dword s22, s[0:1], 0x0
	s_xor_b64 s[20:21], s[20:21], -1
	v_lshl_or_b32 v4, s2, 6, v0
	s_waitcnt lgkmcnt(0)
	s_mul_i32 s9, s3, s9
	s_mul_hi_u32 s23, s3, s8
	s_mul_i32 s8, s3, s8
	s_add_i32 s9, s23, s9
	s_lshl_b64 s[8:9], s[8:9], 4
	s_add_u32 s8, s24, s8
	s_addc_u32 s9, s25, s9
	s_lshl_b64 s[4:5], s[4:5], 4
	s_add_u32 s8, s8, s4
	s_addc_u32 s9, s9, s5
	s_andn2_b64 vcc, exec, s[20:21]
	v_cmp_gt_i32_e64 s[4:5], s22, v4
	s_cbranch_vccnz .LBB21_8
; %bb.4:
	s_mov_b64 s[24:25], 0
	s_mov_b64 s[20:21], 0
                                        ; implicit-def: $vgpr2_vgpr3
                                        ; implicit-def: $vgpr6_vgpr7
	s_and_saveexec_b64 s[26:27], s[4:5]
	s_cbranch_execz .LBB21_9
; %bb.5:
	v_cmp_neq_f64_e64 s[4:5], s[12:13], 0
	v_cmp_neq_f64_e64 s[20:21], s[14:15], 0
	v_ashrrev_i32_e32 v0, 31, v4
	v_mov_b64_e32 v[2:3], 0
	v_mul_lo_u32 v1, v4, s7
	v_mul_lo_u32 v0, v0, s6
	v_mad_u64_u32 v[6:7], s[28:29], v4, s6, 0
	s_or_b64 s[4:5], s[4:5], s[20:21]
	v_add3_u32 v7, v7, v1, v0
	s_andn2_b64 vcc, exec, s[4:5]
	v_mov_b64_e32 v[0:1], v[2:3]
	s_cbranch_vccnz .LBB21_7
; %bb.6:
	v_lshl_add_u64 v[0:1], v[6:7], 4, s[8:9]
	global_load_dwordx4 v[8:11], v[0:1], off
	s_waitcnt vmcnt(0)
	v_mul_f64 v[0:1], s[14:15], v[10:11]
	v_mul_f64 v[2:3], s[12:13], v[10:11]
	v_fma_f64 v[0:1], s[12:13], v[8:9], -v[0:1]
	v_fmac_f64_e32 v[2:3], s[14:15], v[8:9]
.LBB21_7:
	s_mov_b64 s[20:21], exec
	s_or_b64 exec, exec, s[26:27]
	s_and_b64 vcc, exec, s[24:25]
	s_cbranch_vccnz .LBB21_10
	s_branch .LBB21_20
.LBB21_8:
	s_mov_b64 s[20:21], 0
                                        ; implicit-def: $vgpr2_vgpr3
                                        ; implicit-def: $vgpr6_vgpr7
	s_cbranch_execnz .LBB21_10
	s_branch .LBB21_20
.LBB21_9:
	s_or_b64 exec, exec, s[26:27]
	s_and_b64 vcc, exec, s[24:25]
	s_cbranch_vccz .LBB21_20
.LBB21_10:
	v_cmp_gt_i32_e32 vcc, s22, v4
                                        ; implicit-def: $vgpr2_vgpr3
                                        ; implicit-def: $vgpr6_vgpr7
	s_and_saveexec_b64 s[4:5], vcc
	s_cbranch_execz .LBB21_19
; %bb.11:
	v_mov_b64_e32 v[0:1], 0
	v_ashrrev_i32_e32 v5, 31, v4
	s_cmp_lt_i32 s2, 0
	v_mov_b64_e32 v[6:7], v[0:1]
	s_cbranch_scc1 .LBB21_14
; %bb.12:
	s_load_dword s0, s[0:1], 0x68
	s_ashr_i32 s23, s22, 31
	s_mul_hi_u32 s1, s22, s3
	s_mul_i32 s24, s23, s3
	s_add_i32 s1, s1, s24
	s_mul_i32 s3, s22, s3
	s_waitcnt lgkmcnt(0)
	s_mul_i32 s1, s1, s0
	s_mul_hi_u32 s24, s3, s0
	s_add_i32 s1, s24, s1
	s_mul_i32 s0, s3, s0
	s_add_i32 s2, s2, 1
	s_lshl_b64 s[0:1], s[0:1], 4
	s_add_u32 s0, s10, s0
	s_addc_u32 s1, s11, s1
	v_lshl_add_u64 v[0:1], v[4:5], 4, s[0:1]
	v_lshl_add_u64 v[2:3], v[0:1], 0, 8
	v_mov_b64_e32 v[0:1], 0
	s_lshl_b64 s[0:1], s[22:23], 4
	v_mov_b64_e32 v[6:7], v[0:1]
.LBB21_13:                              ; =>This Inner Loop Header: Depth=1
	global_load_dwordx4 v[8:11], v[2:3], off offset:-8
	s_add_i32 s2, s2, -1
	v_lshl_add_u64 v[2:3], v[2:3], 0, s[0:1]
	s_cmp_eq_u32 s2, 0
	s_waitcnt vmcnt(0)
	v_add_f64 v[6:7], v[6:7], v[8:9]
	v_add_f64 v[0:1], v[0:1], v[10:11]
	s_cbranch_scc0 .LBB21_13
.LBB21_14:
	v_cmp_neq_f64_e64 s[2:3], s[12:13], 0
	v_cmp_neq_f64_e64 s[10:11], s[14:15], 0
	s_or_b64 s[2:3], s[2:3], s[10:11]
	v_mul_f64 v[8:9], s[18:19], v[0:1]
	v_mul_f64 v[2:3], s[16:17], v[0:1]
	s_mov_b64 s[0:1], 0
	s_andn2_b64 vcc, exec, s[2:3]
	v_fma_f64 v[0:1], s[16:17], v[6:7], -v[8:9]
	v_fmac_f64_e32 v[2:3], s[18:19], v[6:7]
	v_mul_lo_u32 v5, v5, s6
	v_mul_lo_u32 v8, v4, s7
	s_cbranch_vccz .LBB21_16
; %bb.15:
	v_mad_u64_u32 v[6:7], s[2:3], v4, s6, 0
	v_add3_u32 v7, v7, v8, v5
	s_andn2_b64 vcc, exec, s[0:1]
	s_cbranch_vccz .LBB21_17
	s_branch .LBB21_18
.LBB21_16:
                                        ; implicit-def: $vgpr6_vgpr7
.LBB21_17:
	v_mad_u64_u32 v[6:7], s[0:1], v4, s6, 0
	v_add3_u32 v7, v7, v8, v5
	v_lshl_add_u64 v[4:5], v[6:7], 4, s[8:9]
	global_load_dwordx4 v[8:11], v[4:5], off
	s_waitcnt vmcnt(0)
	v_mul_f64 v[4:5], s[14:15], v[10:11]
	v_mul_f64 v[10:11], s[12:13], v[10:11]
	v_fma_f64 v[4:5], s[12:13], v[8:9], -v[4:5]
	v_fmac_f64_e32 v[10:11], s[14:15], v[8:9]
	v_add_f64 v[0:1], v[0:1], v[4:5]
	v_add_f64 v[2:3], v[2:3], v[10:11]
.LBB21_18:
	s_or_b64 s[20:21], s[20:21], exec
.LBB21_19:
	s_or_b64 exec, exec, s[4:5]
.LBB21_20:
	s_and_saveexec_b64 s[0:1], s[20:21]
	s_cbranch_execz .LBB21_22
; %bb.21:
	v_lshl_add_u64 v[4:5], v[6:7], 4, s[8:9]
	global_store_dwordx4 v[4:5], v[0:3], off
.LBB21_22:
	s_endpgm
	.section	.rodata,"a",@progbits
	.p2align	6, 0x0
	.amdhsa_kernel _ZL36rocblas_hemvn_kernel_upper_block_sumILi64El19rocblas_complex_numIdEPS1_S1_EviT1_lS3_lT2_lT0_lPT3_i
		.amdhsa_group_segment_fixed_size 0
		.amdhsa_private_segment_fixed_size 0
		.amdhsa_kernarg_size 360
		.amdhsa_user_sgpr_count 2
		.amdhsa_user_sgpr_dispatch_ptr 0
		.amdhsa_user_sgpr_queue_ptr 0
		.amdhsa_user_sgpr_kernarg_segment_ptr 1
		.amdhsa_user_sgpr_dispatch_id 0
		.amdhsa_user_sgpr_kernarg_preload_length 0
		.amdhsa_user_sgpr_kernarg_preload_offset 0
		.amdhsa_user_sgpr_private_segment_size 0
		.amdhsa_uses_dynamic_stack 0
		.amdhsa_enable_private_segment 0
		.amdhsa_system_sgpr_workgroup_id_x 1
		.amdhsa_system_sgpr_workgroup_id_y 0
		.amdhsa_system_sgpr_workgroup_id_z 1
		.amdhsa_system_sgpr_workgroup_info 0
		.amdhsa_system_vgpr_workitem_id 0
		.amdhsa_next_free_vgpr 12
		.amdhsa_next_free_sgpr 30
		.amdhsa_accum_offset 12
		.amdhsa_reserve_vcc 1
		.amdhsa_float_round_mode_32 0
		.amdhsa_float_round_mode_16_64 0
		.amdhsa_float_denorm_mode_32 3
		.amdhsa_float_denorm_mode_16_64 3
		.amdhsa_dx10_clamp 1
		.amdhsa_ieee_mode 1
		.amdhsa_fp16_overflow 0
		.amdhsa_tg_split 0
		.amdhsa_exception_fp_ieee_invalid_op 0
		.amdhsa_exception_fp_denorm_src 0
		.amdhsa_exception_fp_ieee_div_zero 0
		.amdhsa_exception_fp_ieee_overflow 0
		.amdhsa_exception_fp_ieee_underflow 0
		.amdhsa_exception_fp_ieee_inexact 0
		.amdhsa_exception_int_div_zero 0
	.end_amdhsa_kernel
	.section	.text._ZL36rocblas_hemvn_kernel_upper_block_sumILi64El19rocblas_complex_numIdEPS1_S1_EviT1_lS3_lT2_lT0_lPT3_i,"axG",@progbits,_ZL36rocblas_hemvn_kernel_upper_block_sumILi64El19rocblas_complex_numIdEPS1_S1_EviT1_lS3_lT2_lT0_lPT3_i,comdat
.Lfunc_end21:
	.size	_ZL36rocblas_hemvn_kernel_upper_block_sumILi64El19rocblas_complex_numIdEPS1_S1_EviT1_lS3_lT2_lT0_lPT3_i, .Lfunc_end21-_ZL36rocblas_hemvn_kernel_upper_block_sumILi64El19rocblas_complex_numIdEPS1_S1_EviT1_lS3_lT2_lT0_lPT3_i
                                        ; -- End function
	.section	.AMDGPU.csdata,"",@progbits
; Kernel info:
; codeLenInByte = 748
; NumSgprs: 36
; NumVgprs: 12
; NumAgprs: 0
; TotalNumVgprs: 12
; ScratchSize: 0
; MemoryBound: 0
; FloatMode: 240
; IeeeMode: 1
; LDSByteSize: 0 bytes/workgroup (compile time only)
; SGPRBlocks: 4
; VGPRBlocks: 1
; NumSGPRsForWavesPerEU: 36
; NumVGPRsForWavesPerEU: 12
; AccumOffset: 12
; Occupancy: 8
; WaveLimiterHint : 0
; COMPUTE_PGM_RSRC2:SCRATCH_EN: 0
; COMPUTE_PGM_RSRC2:USER_SGPR: 2
; COMPUTE_PGM_RSRC2:TRAP_HANDLER: 0
; COMPUTE_PGM_RSRC2:TGID_X_EN: 1
; COMPUTE_PGM_RSRC2:TGID_Y_EN: 0
; COMPUTE_PGM_RSRC2:TGID_Z_EN: 1
; COMPUTE_PGM_RSRC2:TIDIG_COMP_CNT: 0
; COMPUTE_PGM_RSRC3_GFX90A:ACCUM_OFFSET: 2
; COMPUTE_PGM_RSRC3_GFX90A:TG_SPLIT: 0
	.section	.text._ZL26rocblas_hemvn_kernel_upperILb1ELi64ELi4ELi33ELi32ELi16Ei19rocblas_complex_numIdEPKS1_PS1_EviT6_lT7_lT5_lS6_lS7_lS5_lT8_i,"axG",@progbits,_ZL26rocblas_hemvn_kernel_upperILb1ELi64ELi4ELi33ELi32ELi16Ei19rocblas_complex_numIdEPKS1_PS1_EviT6_lT7_lT5_lS6_lS7_lS5_lT8_i,comdat
	.globl	_ZL26rocblas_hemvn_kernel_upperILb1ELi64ELi4ELi33ELi32ELi16Ei19rocblas_complex_numIdEPKS1_PS1_EviT6_lT7_lT5_lS6_lS7_lS5_lT8_i ; -- Begin function _ZL26rocblas_hemvn_kernel_upperILb1ELi64ELi4ELi33ELi32ELi16Ei19rocblas_complex_numIdEPKS1_PS1_EviT6_lT7_lT5_lS6_lS7_lS5_lT8_i
	.p2align	8
	.type	_ZL26rocblas_hemvn_kernel_upperILb1ELi64ELi4ELi33ELi32ELi16Ei19rocblas_complex_numIdEPKS1_PS1_EviT6_lT7_lT5_lS6_lS7_lS5_lT8_i,@function
_ZL26rocblas_hemvn_kernel_upperILb1ELi64ELi4ELi33ELi32ELi16Ei19rocblas_complex_numIdEPKS1_PS1_EviT6_lT7_lT5_lS6_lS7_lS5_lT8_i: ; @_ZL26rocblas_hemvn_kernel_upperILb1ELi64ELi4ELi33ELi32ELi16Ei19rocblas_complex_numIdEPKS1_PS1_EviT6_lT7_lT5_lS6_lS7_lS5_lT8_i
; %bb.0:
	s_load_dwordx2 s[4:5], s[0:1], 0x94
	s_add_u32 s12, s0, 0x88
	s_addc_u32 s13, s1, 0
	s_waitcnt lgkmcnt(0)
	s_lshr_b32 s6, s4, 16
	s_and_b32 s4, s4, 0xffff
	s_and_b32 s5, s5, 0xffff
	s_mul_i32 s4, s6, s4
	s_mul_i32 s4, s4, s5
	s_cmpk_lg_i32 s4, 0x100
	s_cbranch_scc1 .LBB22_186
; %bb.1:
	s_load_dwordx4 s[16:19], s[0:1], 0x8
	s_load_dwordx4 s[4:7], s[0:1], 0x58
	s_load_dwordx2 s[10:11], s[0:1], 0x68
	s_waitcnt lgkmcnt(0)
	v_cmp_neq_f64_e64 s[8:9], s[16:17], 0
	v_cmp_neq_f64_e64 s[14:15], s[18:19], 0
	s_or_b64 s[8:9], s[8:9], s[14:15]
	s_mov_b64 s[14:15], -1
	s_and_b64 vcc, exec, s[8:9]
	s_cbranch_vccnz .LBB22_3
; %bb.2:
	v_cmp_neq_f64_e64 s[6:7], s[6:7], 1.0
	v_cmp_neq_f64_e64 s[10:11], s[10:11], 0
	s_or_b64 s[14:15], s[6:7], s[10:11]
.LBB22_3:
	s_andn2_b64 vcc, exec, s[14:15]
	s_cbranch_vccnz .LBB22_186
; %bb.4:
	s_andn2_b64 vcc, exec, s[8:9]
	s_cbranch_vccnz .LBB22_186
; %bb.5:
	s_load_dword s30, s[12:13], 0x0
	s_load_dword s34, s[0:1], 0x0
	s_load_dwordx4 s[8:11], s[0:1], 0x38
	s_load_dwordx2 s[6:7], s[0:1], 0x48
	s_load_dword s33, s[0:1], 0x50
	s_mul_i32 s5, s3, s5
	s_mul_hi_u32 s12, s3, s4
	s_add_i32 s5, s12, s5
	s_mul_i32 s4, s3, s4
	s_lshl_b64 s[4:5], s[4:5], 4
	s_waitcnt lgkmcnt(0)
	s_add_u32 s10, s10, s4
	s_addc_u32 s11, s11, s5
	s_lshl_b64 s[4:5], s[6:7], 4
	s_add_u32 s4, s10, s4
	s_addc_u32 s5, s11, s5
	s_ashr_i32 s35, s34, 31
	s_lshr_b32 s7, s35, 26
	v_and_b32_e32 v168, 0x3ff, v0
	s_lshl_b32 s22, s2, 6
	s_add_i32 s7, s34, s7
	s_andn2_b32 s7, s7, 63
	v_add_u32_e32 v166, s22, v168
	v_bfe_u32 v167, v0, 10, 10
	s_add_i32 s6, s30, -1
	s_sub_i32 s31, s34, s7
	v_mul_lo_u32 v0, v166, s33
	s_cmp_eq_u32 s2, s6
	v_ashrrev_i32_e32 v1, 31, v0
	s_cselect_b32 s18, s31, 0
	v_lshl_add_u64 v[36:37], v[0:1], 4, s[4:5]
	v_cmp_eq_u32_e64 s[4:5], 0, v167
	s_and_saveexec_b64 s[6:7], s[4:5]
	s_cbranch_execz .LBB22_10
; %bb.6:
	s_cmp_lg_u32 s18, 0
	s_cselect_b64 s[10:11], -1, 0
	v_cmp_le_i32_e32 vcc, s18, v168
	v_mov_b32_e32 v0, 0x4700
	s_and_b64 s[10:11], s[10:11], vcc
	v_lshl_add_u32 v0, v168, 4, v0
	s_and_saveexec_b64 s[12:13], s[10:11]
	s_xor_b64 s[10:11], exec, s[12:13]
	s_cbranch_execz .LBB22_8
; %bb.7:
	v_mov_b32_e32 v2, 0
	v_mov_b32_e32 v3, v2
	v_mov_b32_e32 v4, v2
	v_mov_b32_e32 v5, v2
	ds_write_b128 v0, v[2:5]
                                        ; implicit-def: $vgpr0
.LBB22_8:
	s_andn2_saveexec_b64 s[10:11], s[10:11]
	s_cbranch_execz .LBB22_10
; %bb.9:
	global_load_dwordx4 v[2:5], v[36:37], off
	s_waitcnt vmcnt(0)
	ds_write2_b64 v0, v[2:3], v[4:5] offset1:1
.LBB22_10:
	s_or_b64 exec, exec, s[6:7]
	s_load_dwordx4 s[12:15], s[0:1], 0x20
	s_load_dword s24, s[0:1], 0x30
	s_mul_i32 s6, s3, s9
	s_mul_hi_u32 s7, s3, s8
	s_add_i32 s7, s7, s6
	s_mul_i32 s6, s3, s8
	s_lshl_b64 s[6:7], s[6:7], 4
	s_waitcnt lgkmcnt(0)
	s_add_u32 s8, s12, s6
	s_addc_u32 s9, s13, s7
	s_lshl_b64 s[6:7], s[14:15], 4
	s_add_u32 s8, s8, s6
	s_addc_u32 s9, s9, s7
	s_ashr_i32 s23, s22, 31
	v_lshl_add_u32 v42, v167, 6, v168
	s_lshl_b64 s[6:7], s[22:23], 4
	v_and_b32_e32 v4, 31, v168
	v_lshrrev_b32_e32 v5, 5, v42
	s_add_u32 s8, s8, s6
	s_addc_u32 s9, s9, s7
	v_mad_u64_u32 v[38:39], s[6:7], v5, s24, v[4:5]
	s_mul_i32 s6, s22, s24
	s_ashr_i32 s7, s6, 31
	s_lshl_b64 s[6:7], s[6:7], 4
	s_add_u32 s6, s6, s8
	s_addc_u32 s7, s7, s9
	s_cmp_eq_u32 s18, 0
	s_cselect_b64 s[20:21], -1, 0
	s_cmp_lg_u32 s18, 0
	v_ashrrev_i32_e32 v39, 31, v38
	s_cselect_b64 s[28:29], -1, 0
	v_lshl_add_u64 v[0:1], v[38:39], 4, s[6:7]
	s_and_b64 vcc, exec, s[28:29]
	v_cmp_gt_i32_e64 s[6:7], s18, v4
	v_lshlrev_b32_e32 v6, 4, v4
	v_mul_u32_u24_e32 v14, 33, v5
	s_cbranch_vccz .LBB22_28
; %bb.11:
	v_sub_co_u32_e32 v2, vcc, v0, v6
	s_ashr_i32 s19, s18, 31
	s_nop 0
	v_subbrev_co_u32_e32 v3, vcc, 0, v1, vcc
	v_lshl_add_u64 v[2:3], s[18:19], 4, v[2:3]
	v_lshl_add_u64 v[2:3], v[2:3], 0, -16
	v_cndmask_b32_e64 v3, v3, v1, s[6:7]
	v_cndmask_b32_e64 v2, v2, v0, s[6:7]
	v_cmp_le_i32_e32 vcc, s18, v5
	v_add_lshl_u32 v7, v14, v4, 4
	s_and_saveexec_b64 s[8:9], vcc
	s_xor_b64 s[8:9], exec, s[8:9]
	s_cbranch_execz .LBB22_13
; %bb.12:
	v_mov_b32_e32 v8, 0
	v_mov_b32_e32 v9, v8
	;; [unrolled: 1-line block ×4, first 2 shown]
	ds_write_b128 v7, v[8:11]
.LBB22_13:
	s_andn2_saveexec_b64 s[8:9], s[8:9]
	s_cbranch_execz .LBB22_15
; %bb.14:
	global_load_dwordx4 v[8:11], v[2:3], off
	s_waitcnt vmcnt(0)
	ds_write2_b64 v7, v[8:9], v[10:11] offset1:1
.LBB22_15:
	s_or_b64 exec, exec, s[8:9]
	v_add_u32_e32 v8, 8, v5
	v_cmp_le_i32_e32 vcc, s18, v8
	s_and_saveexec_b64 s[8:9], vcc
	s_xor_b64 s[8:9], exec, s[8:9]
	s_cbranch_execz .LBB22_17
; %bb.16:
	v_mul_u32_u24_e32 v8, 33, v8
	v_add_lshl_u32 v12, v8, v4, 4
	v_mov_b32_e32 v8, 0
	v_mov_b32_e32 v9, v8
	;; [unrolled: 1-line block ×4, first 2 shown]
	ds_write_b128 v12, v[8:11]
.LBB22_17:
	s_andn2_saveexec_b64 s[8:9], s[8:9]
	s_cbranch_execz .LBB22_19
; %bb.18:
	s_lshl_b32 s10, s24, 3
	s_ashr_i32 s11, s10, 31
	v_lshl_add_u64 v[8:9], s[10:11], 4, v[2:3]
	global_load_dwordx4 v[8:11], v[8:9], off
	v_add_u32_e32 v12, 0x1080, v7
	s_waitcnt vmcnt(0)
	ds_write2_b64 v12, v[8:9], v[10:11] offset1:1
.LBB22_19:
	s_or_b64 exec, exec, s[8:9]
	v_add_u32_e32 v8, 16, v5
	v_cmp_le_i32_e32 vcc, s18, v8
	s_and_saveexec_b64 s[8:9], vcc
	s_xor_b64 s[8:9], exec, s[8:9]
	s_cbranch_execz .LBB22_21
; %bb.20:
	v_mul_u32_u24_e32 v8, 33, v8
	v_add_lshl_u32 v12, v8, v4, 4
	v_mov_b32_e32 v8, 0
	v_mov_b32_e32 v9, v8
	;; [unrolled: 1-line block ×4, first 2 shown]
	ds_write_b128 v12, v[8:11]
.LBB22_21:
	s_andn2_saveexec_b64 s[8:9], s[8:9]
	s_cbranch_execz .LBB22_23
; %bb.22:
	s_lshl_b32 s10, s24, 4
	s_ashr_i32 s11, s10, 31
	v_lshl_add_u64 v[8:9], s[10:11], 4, v[2:3]
	global_load_dwordx4 v[8:11], v[8:9], off
	v_add_u32_e32 v12, 0x2100, v7
	s_waitcnt vmcnt(0)
	ds_write2_b64 v12, v[8:9], v[10:11] offset1:1
.LBB22_23:
	s_or_b64 exec, exec, s[8:9]
	v_add_u32_e32 v8, 24, v5
	v_cmp_le_i32_e32 vcc, s18, v8
	s_and_saveexec_b64 s[8:9], vcc
	s_xor_b64 s[8:9], exec, s[8:9]
	s_cbranch_execz .LBB22_25
; %bb.24:
	v_mov_b32_e32 v8, 0
	v_mov_b32_e32 v9, v8
	;; [unrolled: 1-line block ×4, first 2 shown]
	ds_write_b128 v7, v[8:11] offset:12672
                                        ; implicit-def: $vgpr7
.LBB22_25:
	s_andn2_saveexec_b64 s[8:9], s[8:9]
	s_cbranch_execz .LBB22_27
; %bb.26:
	s_mul_i32 s10, s24, 24
	s_ashr_i32 s11, s10, 31
	v_lshl_add_u64 v[8:9], s[10:11], 4, v[2:3]
	global_load_dwordx4 v[8:11], v[8:9], off
	v_add_u32_e32 v7, 0x3180, v7
	s_waitcnt vmcnt(0)
	ds_write2_b64 v7, v[8:9], v[10:11] offset1:1
.LBB22_27:
	s_or_b64 exec, exec, s[8:9]
	v_mov_b32_e32 v7, 0
	v_lshl_add_u64 v[2:3], v[2:3], 0, v[6:7]
	s_lshl_b64 s[8:9], s[18:19], 4
	v_mov_b32_e32 v7, s9
	v_subrev_co_u32_e32 v2, vcc, s8, v2
	s_nop 1
	v_subb_co_u32_e32 v3, vcc, v3, v7, vcc
	v_lshl_add_u64 v[2:3], v[2:3], 0, 16
	v_cndmask_b32_e64 v9, v3, v1, s[6:7]
	v_cndmask_b32_e64 v8, v2, v0, s[6:7]
	s_branch .LBB22_30
.LBB22_28:
                                        ; implicit-def: $vgpr8_vgpr9
	s_cbranch_execz .LBB22_30
; %bb.29:
	s_lshl_b32 s6, s24, 3
	s_ashr_i32 s7, s6, 31
	s_ashr_i32 s25, s24, 31
	v_lshl_add_u64 v[2:3], s[6:7], 4, v[0:1]
	global_load_dwordx4 v[8:11], v[0:1], off
	global_load_dwordx4 v[16:19], v[2:3], off
	s_lshl_b64 s[6:7], s[24:25], 7
	v_lshl_add_u64 v[2:3], v[2:3], 0, s[6:7]
	global_load_dwordx4 v[20:23], v[2:3], off
	v_lshl_add_u64 v[2:3], v[2:3], 0, s[6:7]
	global_load_dwordx4 v[24:27], v[2:3], off
	v_add_lshl_u32 v2, v14, v4, 4
	v_add_u32_e32 v3, 0x1080, v2
	v_add_u32_e32 v7, 0x2100, v2
	v_add_u32_e32 v12, 0x3180, v2
	s_waitcnt vmcnt(3)
	ds_write2_b64 v2, v[8:9], v[10:11] offset1:1
	s_waitcnt vmcnt(2)
	ds_write2_b64 v3, v[16:17], v[18:19] offset1:1
	;; [unrolled: 2-line block ×4, first 2 shown]
	v_mov_b64_e32 v[8:9], v[0:1]
.LBB22_30:
	v_lshlrev_b32_e32 v19, 2, v5
	v_cmp_le_u32_e64 s[6:7], v19, v4
	s_waitcnt lgkmcnt(0)
	s_barrier
	s_and_saveexec_b64 s[8:9], s[6:7]
	s_xor_b64 s[8:9], exec, s[8:9]
	s_cbranch_execz .LBB22_34
; %bb.31:
	v_cmp_eq_u32_e32 vcc, v19, v4
	s_and_saveexec_b64 s[10:11], vcc
	s_cbranch_execz .LBB22_33
; %bb.32:
	v_mul_u32_u24_e32 v0, 34, v4
	v_lshlrev_b32_e32 v2, 4, v0
	v_mov_b32_e32 v0, 0
	v_mov_b32_e32 v1, v0
	ds_write_b64 v2, v[0:1] offset:8
.LBB22_33:
	s_or_b64 exec, exec, s[10:11]
.LBB22_34:
	s_or_saveexec_b64 s[8:9], s[8:9]
	v_mul_u32_u24_e32 v15, 33, v4
	v_add_lshl_u32 v17, v19, v15, 4
	s_xor_b64 exec, exec, s[8:9]
	s_cbranch_execz .LBB22_36
; %bb.35:
	v_mul_u32_u24_e32 v0, 0x84, v5
	v_add_lshl_u32 v0, v0, v4, 4
	ds_read_b128 v[0:3], v0
	s_waitcnt lgkmcnt(0)
	v_xor_b32_e32 v3, 0x80000000, v3
	ds_write_b128 v17, v[0:3]
.LBB22_36:
	s_or_b64 exec, exec, s[8:9]
	v_or_b32_e32 v18, 1, v19
	v_cmp_ge_u32_e64 s[8:9], v19, v4
	v_mul_u32_u24_e32 v0, 33, v18
	s_and_saveexec_b64 s[10:11], s[8:9]
	s_xor_b64 s[10:11], exec, s[10:11]
	s_cbranch_execz .LBB22_38
; %bb.37:
	v_add_lshl_u32 v1, v0, v4, 4
	ds_read_b128 v[10:13], v1
	s_waitcnt lgkmcnt(0)
	v_xor_b32_e32 v13, 0x80000000, v13
	ds_write_b128 v17, v[10:13] offset:16
.LBB22_38:
	s_andn2_saveexec_b64 s[10:11], s[10:11]
	s_cbranch_execz .LBB22_42
; %bb.39:
	v_cmp_eq_u32_e32 vcc, v18, v4
	s_and_saveexec_b64 s[12:13], vcc
	s_cbranch_execz .LBB22_41
; %bb.40:
	v_mul_u32_u24_e32 v1, 34, v4
	v_mov_b32_e32 v2, 0
	v_lshlrev_b32_e32 v1, 4, v1
	v_mov_b32_e32 v3, v2
	ds_write_b64 v1, v[2:3] offset:8
.LBB22_41:
	s_or_b64 exec, exec, s[12:13]
.LBB22_42:
	s_or_b64 exec, exec, s[10:11]
	v_or_b32_e32 v20, 2, v19
	v_cmp_le_u32_e64 s[10:11], v20, v4
	s_and_saveexec_b64 s[12:13], s[10:11]
	s_xor_b64 s[12:13], exec, s[12:13]
	s_cbranch_execz .LBB22_46
; %bb.43:
	v_cmp_eq_u32_e32 vcc, v20, v4
	s_and_saveexec_b64 s[14:15], vcc
	s_cbranch_execz .LBB22_45
; %bb.44:
	v_mul_u32_u24_e32 v1, 34, v4
	v_mov_b32_e32 v2, 0
	v_lshlrev_b32_e32 v1, 4, v1
	v_mov_b32_e32 v3, v2
	ds_write_b64 v1, v[2:3] offset:8
.LBB22_45:
	s_or_b64 exec, exec, s[14:15]
.LBB22_46:
	s_andn2_saveexec_b64 s[12:13], s[12:13]
	s_cbranch_execz .LBB22_48
; %bb.47:
	v_mul_u32_u24_e32 v1, 33, v20
	v_add_lshl_u32 v1, v1, v4, 4
	ds_read_b128 v[10:13], v1
	s_waitcnt lgkmcnt(0)
	v_xor_b32_e32 v13, 0x80000000, v13
	ds_write_b128 v17, v[10:13] offset:32
.LBB22_48:
	s_or_b64 exec, exec, s[12:13]
	v_or_b32_e32 v21, 3, v19
	v_cmp_le_u32_e64 s[12:13], v21, v4
	s_and_saveexec_b64 s[14:15], s[12:13]
	s_xor_b64 s[14:15], exec, s[14:15]
	s_cbranch_execz .LBB22_52
; %bb.49:
	v_cmp_eq_u32_e32 vcc, v21, v4
	s_and_saveexec_b64 s[16:17], vcc
	s_cbranch_execz .LBB22_51
; %bb.50:
	v_mul_u32_u24_e32 v1, 34, v4
	v_mov_b32_e32 v2, 0
	v_lshlrev_b32_e32 v1, 4, v1
	v_mov_b32_e32 v3, v2
	ds_write_b64 v1, v[2:3] offset:8
.LBB22_51:
	s_or_b64 exec, exec, s[16:17]
.LBB22_52:
	s_andn2_saveexec_b64 s[14:15], s[14:15]
	s_cbranch_execz .LBB22_54
; %bb.53:
	v_mul_u32_u24_e32 v1, 33, v21
	v_add_lshl_u32 v1, v1, v4, 4
	ds_read_b128 v[10:13], v1
	s_waitcnt lgkmcnt(0)
	v_xor_b32_e32 v13, 0x80000000, v13
	ds_write_b128 v17, v[10:13] offset:48
.LBB22_54:
	s_or_b64 exec, exec, s[14:15]
	v_mul_u32_u24_e32 v1, 0x84, v5
	v_lshlrev_b32_e32 v22, 4, v19
	s_waitcnt lgkmcnt(0)
	s_barrier
	v_add_lshl_u32 v16, v1, v4, 4
	ds_read_b128 v[10:13], v22 offset:18176
	ds_read_b128 v[24:27], v22 offset:18192
	ds_read_b128 v[28:31], v16
	ds_read_b128 v[32:35], v22 offset:18208
	ds_read_b128 v[46:49], v22 offset:18224
	v_add_lshl_u32 v45, v0, v4, 4
	ds_read_b128 v[0:3], v45
	s_waitcnt lgkmcnt(3)
	v_mul_f64 v[40:41], v[12:13], v[30:31]
	v_fma_f64 v[40:41], v[10:11], v[28:29], -v[40:41]
	v_mul_f64 v[10:11], v[10:11], v[30:31]
	v_fmac_f64_e32 v[10:11], v[12:13], v[28:29]
	v_add_f64 v[30:31], v[10:11], 0
	s_waitcnt lgkmcnt(0)
	v_mul_f64 v[10:11], v[26:27], v[2:3]
	v_add_f64 v[28:29], v[40:41], 0
	v_fma_f64 v[40:41], v[24:25], v[0:1], -v[10:11]
	v_mul_f64 v[2:3], v[24:25], v[2:3]
	ds_read_b128 v[10:13], v45 offset:528
	v_fmac_f64_e32 v[2:3], v[26:27], v[0:1]
	v_add_f64 v[26:27], v[30:31], v[2:3]
	ds_read_b128 v[0:3], v45 offset:1056
	v_add_f64 v[24:25], v[28:29], v[40:41]
	s_waitcnt lgkmcnt(1)
	v_mul_f64 v[28:29], v[34:35], v[12:13]
	v_fma_f64 v[28:29], v[32:33], v[10:11], -v[28:29]
	v_mul_f64 v[12:13], v[32:33], v[12:13]
	v_fmac_f64_e32 v[12:13], v[34:35], v[10:11]
	v_add_f64 v[10:11], v[24:25], v[28:29]
	s_waitcnt lgkmcnt(0)
	v_mul_f64 v[24:25], v[48:49], v[2:3]
	v_mul_f64 v[2:3], v[46:47], v[2:3]
	v_add_f64 v[12:13], v[26:27], v[12:13]
	v_fma_f64 v[24:25], v[46:47], v[0:1], -v[24:25]
	v_fmac_f64_e32 v[2:3], v[48:49], v[0:1]
	v_add_f64 v[0:1], v[10:11], v[24:25]
	v_add_f64 v[2:3], v[12:13], v[2:3]
	v_add_lshl_u32 v44, v5, v15, 4
	s_barrier
	ds_write_b128 v44, v[0:3]
	v_mov_b64_e32 v[0:1], 0
	v_cmp_gt_u32_e64 s[14:15], 32, v42
	v_lshlrev_b32_e32 v43, 4, v15
	v_mov_b64_e32 v[2:3], v[0:1]
	s_waitcnt lgkmcnt(0)
	s_barrier
	s_and_saveexec_b64 s[16:17], s[14:15]
	s_cbranch_execz .LBB22_56
; %bb.55:
	ds_read_b128 v[0:3], v43
	ds_read_b128 v[10:13], v43 offset:16
	ds_read_b128 v[24:27], v43 offset:32
	;; [unrolled: 1-line block ×3, first 2 shown]
	s_waitcnt lgkmcnt(2)
	v_add_f64 v[0:1], v[10:11], v[0:1]
	v_add_f64 v[10:11], v[12:13], v[2:3]
	s_waitcnt lgkmcnt(1)
	v_add_f64 v[12:13], v[0:1], v[24:25]
	ds_read_b128 v[0:3], v43 offset:64
	v_add_f64 v[10:11], v[10:11], v[26:27]
	s_waitcnt lgkmcnt(1)
	v_add_f64 v[24:25], v[12:13], v[28:29]
	v_add_f64 v[28:29], v[10:11], v[30:31]
	ds_read_b128 v[10:13], v43 offset:80
	s_waitcnt lgkmcnt(1)
	v_add_f64 v[30:31], v[24:25], v[0:1]
	ds_read_b128 v[24:27], v43 offset:96
	v_add_f64 v[28:29], v[28:29], v[2:3]
	ds_read_b128 v[0:3], v43 offset:112
	s_waitcnt lgkmcnt(2)
	v_add_f64 v[10:11], v[30:31], v[10:11]
	v_add_f64 v[12:13], v[28:29], v[12:13]
	s_waitcnt lgkmcnt(1)
	v_add_f64 v[10:11], v[10:11], v[24:25]
	v_add_f64 v[12:13], v[12:13], v[26:27]
	;; [unrolled: 3-line block ×3, first 2 shown]
.LBB22_56:
	s_or_b64 exec, exec, s[16:17]
	s_lshl_b32 s26, s24, 5
	s_ashr_i32 s27, s26, 31
	v_lshl_add_u64 v[12:13], s[26:27], 4, v[8:9]
	s_mov_b64 s[16:17], 0x200
	v_lshl_add_u64 v[10:11], v[12:13], 0, s[16:17]
	s_and_b64 vcc, exec, s[28:29]
	s_barrier
	s_cbranch_vccz .LBB22_74
; %bb.57:
	v_sub_co_u32_e32 v8, vcc, v10, v6
	s_ashr_i32 s19, s18, 31
	s_nop 0
	v_subbrev_co_u32_e32 v9, vcc, 0, v11, vcc
	s_movk_i32 s16, 0xfdf0
	v_or_b32_e32 v7, 32, v4
	v_lshl_add_u64 v[8:9], s[18:19], 4, v[8:9]
	s_mov_b32 s17, -1
	v_lshl_add_u64 v[8:9], v[8:9], 0, s[16:17]
	v_cmp_gt_i32_e32 vcc, s18, v7
	s_sub_i32 s23, s18, 32
	v_cmp_le_i32_e64 s[16:17], s23, v5
	v_cndmask_b32_e32 v9, v9, v11, vcc
	v_cndmask_b32_e32 v8, v8, v10, vcc
	v_add_lshl_u32 v7, v14, v4, 4
	s_and_saveexec_b64 s[36:37], s[16:17]
	s_xor_b64 s[16:17], exec, s[36:37]
	s_cbranch_execz .LBB22_59
; %bb.58:
	v_mov_b32_e32 v24, 0
	v_mov_b32_e32 v25, v24
	;; [unrolled: 1-line block ×4, first 2 shown]
	ds_write_b128 v7, v[24:27]
.LBB22_59:
	s_andn2_saveexec_b64 s[16:17], s[16:17]
	s_cbranch_execz .LBB22_61
; %bb.60:
	global_load_dwordx4 v[24:27], v[8:9], off
	s_waitcnt vmcnt(0)
	ds_write2_b64 v7, v[24:25], v[26:27] offset1:1
.LBB22_61:
	s_or_b64 exec, exec, s[16:17]
	v_add_u32_e32 v23, 8, v5
	v_cmp_le_i32_e64 s[16:17], s23, v23
	s_and_saveexec_b64 s[36:37], s[16:17]
	s_xor_b64 s[16:17], exec, s[36:37]
	s_cbranch_execz .LBB22_63
; %bb.62:
	v_mul_u32_u24_e32 v23, 33, v23
	v_mov_b32_e32 v24, 0
	v_add_lshl_u32 v23, v23, v4, 4
	v_mov_b32_e32 v25, v24
	v_mov_b32_e32 v26, v24
	;; [unrolled: 1-line block ×3, first 2 shown]
	ds_write_b128 v23, v[24:27]
.LBB22_63:
	s_andn2_saveexec_b64 s[16:17], s[16:17]
	s_cbranch_execz .LBB22_65
; %bb.64:
	s_lshl_b32 s36, s24, 3
	s_ashr_i32 s37, s36, 31
	v_lshl_add_u64 v[24:25], s[36:37], 4, v[8:9]
	global_load_dwordx4 v[24:27], v[24:25], off
	v_add_u32_e32 v23, 0x1080, v7
	s_waitcnt vmcnt(0)
	ds_write2_b64 v23, v[24:25], v[26:27] offset1:1
.LBB22_65:
	s_or_b64 exec, exec, s[16:17]
	v_add_u32_e32 v23, 16, v5
	v_cmp_le_i32_e64 s[16:17], s23, v23
	s_and_saveexec_b64 s[36:37], s[16:17]
	s_xor_b64 s[16:17], exec, s[36:37]
	s_cbranch_execz .LBB22_67
; %bb.66:
	v_mul_u32_u24_e32 v23, 33, v23
	v_mov_b32_e32 v24, 0
	v_add_lshl_u32 v23, v23, v4, 4
	v_mov_b32_e32 v25, v24
	v_mov_b32_e32 v26, v24
	;; [unrolled: 1-line block ×3, first 2 shown]
	ds_write_b128 v23, v[24:27]
.LBB22_67:
	s_andn2_saveexec_b64 s[16:17], s[16:17]
	s_cbranch_execz .LBB22_69
; %bb.68:
	s_lshl_b32 s36, s24, 4
	s_ashr_i32 s37, s36, 31
	v_lshl_add_u64 v[24:25], s[36:37], 4, v[8:9]
	global_load_dwordx4 v[24:27], v[24:25], off
	v_add_u32_e32 v23, 0x2100, v7
	s_waitcnt vmcnt(0)
	ds_write2_b64 v23, v[24:25], v[26:27] offset1:1
.LBB22_69:
	s_or_b64 exec, exec, s[16:17]
	v_add_u32_e32 v23, 24, v5
	v_cmp_le_i32_e64 s[16:17], s23, v23
	s_and_saveexec_b64 s[36:37], s[16:17]
	s_xor_b64 s[16:17], exec, s[36:37]
	s_cbranch_execz .LBB22_71
; %bb.70:
	v_mov_b32_e32 v24, 0
	v_mov_b32_e32 v25, v24
	v_mov_b32_e32 v26, v24
	v_mov_b32_e32 v27, v24
	ds_write_b128 v7, v[24:27] offset:12672
                                        ; implicit-def: $vgpr7
.LBB22_71:
	s_andn2_saveexec_b64 s[16:17], s[16:17]
	s_cbranch_execz .LBB22_73
; %bb.72:
	s_mul_i32 s36, s24, 24
	s_ashr_i32 s37, s36, 31
	v_lshl_add_u64 v[24:25], s[36:37], 4, v[8:9]
	global_load_dwordx4 v[24:27], v[24:25], off
	v_add_u32_e32 v7, 0x3180, v7
	s_waitcnt vmcnt(0)
	ds_write2_b64 v7, v[24:25], v[26:27] offset1:1
.LBB22_73:
	s_or_b64 exec, exec, s[16:17]
	v_mov_b32_e32 v7, 0
	v_lshl_add_u64 v[8:9], v[8:9], 0, v[6:7]
	s_lshl_b64 s[16:17], s[18:19], 4
	v_mov_b32_e32 v7, s17
	v_subrev_co_u32_e64 v8, s[16:17], s16, v8
	s_nop 1
	v_subb_co_u32_e64 v9, s[16:17], v9, v7, s[16:17]
	s_mov_b64 s[16:17], 0x210
	s_nop 0
	v_lshl_add_u64 v[8:9], v[8:9], 0, s[16:17]
	v_cndmask_b32_e32 v9, v9, v11, vcc
	v_cndmask_b32_e32 v8, v8, v10, vcc
	s_branch .LBB22_76
.LBB22_74:
                                        ; implicit-def: $vgpr8_vgpr9
	s_cbranch_execz .LBB22_76
; %bb.75:
	s_lshl_b32 s16, s24, 3
	s_ashr_i32 s17, s16, 31
	s_ashr_i32 s25, s24, 31
	v_lshl_add_u64 v[8:9], s[16:17], 4, v[12:13]
	s_lshl_b64 s[16:17], s[24:25], 7
	global_load_dwordx4 v[24:27], v[10:11], off
	global_load_dwordx4 v[28:31], v[8:9], off offset:512
	v_lshl_add_u64 v[8:9], v[8:9], 0, s[16:17]
	v_lshl_add_u64 v[12:13], v[8:9], 0, s[16:17]
	global_load_dwordx4 v[32:35], v[8:9], off offset:512
	global_load_dwordx4 v[46:49], v[12:13], off offset:512
	v_add_lshl_u32 v7, v14, v4, 4
	v_add_u32_e32 v8, 0x1080, v7
	v_add_u32_e32 v9, 0x2100, v7
	;; [unrolled: 1-line block ×3, first 2 shown]
	s_waitcnt vmcnt(3)
	ds_write2_b64 v7, v[24:25], v[26:27] offset1:1
	s_waitcnt vmcnt(2)
	ds_write2_b64 v8, v[28:29], v[30:31] offset1:1
	;; [unrolled: 2-line block ×4, first 2 shown]
	v_mov_b64_e32 v[8:9], v[10:11]
.LBB22_76:
	s_waitcnt lgkmcnt(0)
	s_barrier
	s_and_saveexec_b64 s[16:17], s[6:7]
	s_xor_b64 s[6:7], exec, s[16:17]
	s_cbranch_execnz .LBB22_105
; %bb.77:
	s_andn2_saveexec_b64 s[6:7], s[6:7]
	s_cbranch_execnz .LBB22_108
.LBB22_78:
	s_or_b64 exec, exec, s[6:7]
	s_and_saveexec_b64 s[6:7], s[8:9]
	s_xor_b64 s[6:7], exec, s[6:7]
	s_cbranch_execnz .LBB22_109
.LBB22_79:
	s_andn2_saveexec_b64 s[6:7], s[6:7]
	s_cbranch_execnz .LBB22_110
.LBB22_80:
	s_or_b64 exec, exec, s[6:7]
	s_and_saveexec_b64 s[6:7], s[10:11]
	s_xor_b64 s[6:7], exec, s[6:7]
	s_cbranch_execnz .LBB22_113
.LBB22_81:
	s_andn2_saveexec_b64 s[6:7], s[6:7]
	s_cbranch_execnz .LBB22_116
.LBB22_82:
	s_or_b64 exec, exec, s[6:7]
	s_and_saveexec_b64 s[6:7], s[12:13]
	s_xor_b64 s[6:7], exec, s[6:7]
	s_cbranch_execnz .LBB22_117
.LBB22_83:
	s_or_saveexec_b64 s[6:7], s[6:7]
	v_add_u32_e32 v18, 0x4700, v22
	s_xor_b64 exec, exec, s[6:7]
	s_cbranch_execz .LBB22_85
.LBB22_84:
	ds_read_b128 v[10:13], v45 offset:1056
	s_waitcnt lgkmcnt(0)
	v_xor_b32_e32 v13, 0x80000000, v13
	ds_write_b128 v17, v[10:13] offset:48
.LBB22_85:
	s_or_b64 exec, exec, s[6:7]
	s_waitcnt lgkmcnt(0)
	s_barrier
	ds_read_b128 v[10:13], v18 offset:512
	ds_read_b128 v[20:23], v16
	ds_read_b128 v[24:27], v18 offset:528
	ds_read_b128 v[28:31], v18 offset:544
	v_cmp_eq_u32_e64 s[6:7], 1, v5
	s_waitcnt lgkmcnt(2)
	v_mul_f64 v[32:33], v[12:13], v[22:23]
	v_fma_f64 v[40:41], v[10:11], v[20:21], -v[32:33]
	ds_read_b128 v[32:35], v18 offset:560
	ds_read_b128 v[46:49], v45
	v_mul_f64 v[10:11], v[10:11], v[22:23]
	v_fmac_f64_e32 v[10:11], v[12:13], v[20:21]
	v_add_f64 v[22:23], v[10:11], 0
	v_add_f64 v[20:21], v[40:41], 0
	s_waitcnt lgkmcnt(0)
	v_mul_f64 v[10:11], v[26:27], v[48:49]
	v_fma_f64 v[40:41], v[24:25], v[46:47], -v[10:11]
	v_mul_f64 v[24:25], v[24:25], v[48:49]
	ds_read_b128 v[10:13], v45 offset:528
	v_fmac_f64_e32 v[24:25], v[26:27], v[46:47]
	v_add_f64 v[26:27], v[20:21], v[40:41]
	v_add_f64 v[24:25], v[22:23], v[24:25]
	ds_read_b128 v[20:23], v45 offset:1056
	s_waitcnt lgkmcnt(1)
	v_mul_f64 v[40:41], v[30:31], v[12:13]
	v_mul_f64 v[12:13], v[28:29], v[12:13]
	v_fmac_f64_e32 v[12:13], v[30:31], v[10:11]
	v_fma_f64 v[40:41], v[28:29], v[10:11], -v[40:41]
	v_add_f64 v[12:13], v[24:25], v[12:13]
	s_waitcnt lgkmcnt(0)
	v_mul_f64 v[24:25], v[34:35], v[22:23]
	v_mul_f64 v[22:23], v[32:33], v[22:23]
	v_add_f64 v[10:11], v[26:27], v[40:41]
	v_fma_f64 v[24:25], v[32:33], v[20:21], -v[24:25]
	v_fmac_f64_e32 v[22:23], v[34:35], v[20:21]
	v_add_f64 v[10:11], v[10:11], v[24:25]
	v_add_f64 v[12:13], v[12:13], v[22:23]
	s_barrier
	ds_write_b128 v44, v[10:13]
	s_waitcnt lgkmcnt(0)
	s_barrier
	s_and_saveexec_b64 s[8:9], s[6:7]
	s_cbranch_execz .LBB22_87
; %bb.86:
	ds_read_b128 v[0:3], v43
	ds_read_b128 v[10:13], v43 offset:16
	ds_read_b128 v[20:23], v43 offset:32
	;; [unrolled: 1-line block ×3, first 2 shown]
	s_waitcnt lgkmcnt(2)
	v_add_f64 v[0:1], v[10:11], v[0:1]
	v_add_f64 v[10:11], v[12:13], v[2:3]
	s_waitcnt lgkmcnt(1)
	v_add_f64 v[12:13], v[0:1], v[20:21]
	ds_read_b128 v[0:3], v43 offset:64
	v_add_f64 v[10:11], v[10:11], v[22:23]
	s_waitcnt lgkmcnt(1)
	v_add_f64 v[20:21], v[12:13], v[24:25]
	v_add_f64 v[24:25], v[10:11], v[26:27]
	ds_read_b128 v[10:13], v43 offset:80
	s_waitcnt lgkmcnt(1)
	v_add_f64 v[26:27], v[20:21], v[0:1]
	ds_read_b128 v[20:23], v43 offset:96
	v_add_f64 v[24:25], v[24:25], v[2:3]
	ds_read_b128 v[0:3], v43 offset:112
	s_waitcnt lgkmcnt(2)
	v_add_f64 v[10:11], v[26:27], v[10:11]
	v_add_f64 v[12:13], v[24:25], v[12:13]
	s_waitcnt lgkmcnt(1)
	v_add_f64 v[10:11], v[10:11], v[20:21]
	v_add_f64 v[12:13], v[12:13], v[22:23]
	;; [unrolled: 3-line block ×3, first 2 shown]
.LBB22_87:
	s_or_b64 exec, exec, s[8:9]
	s_movk_i32 s8, 0xfe00
	s_mov_b32 s9, -1
	v_lshl_add_u64 v[10:11], v[8:9], 0, s[8:9]
	s_and_b64 vcc, exec, s[28:29]
	s_barrier
	s_cbranch_vccz .LBB22_120
; %bb.88:
	v_sub_co_u32_e32 v12, vcc, v8, v6
	s_ashr_i32 s19, s18, 31
	s_nop 0
	v_subbrev_co_u32_e32 v13, vcc, 0, v9, vcc
	s_movk_i32 s8, 0xfdf0
	v_lshl_add_u64 v[12:13], s[18:19], 4, v[12:13]
	s_mov_b32 s9, -1
	v_lshl_add_u64 v[12:13], v[12:13], 0, s[8:9]
	v_cmp_gt_i32_e32 vcc, s18, v4
	s_sub_i32 s10, s18, 32
	v_cmp_le_i32_e64 s[8:9], s10, v5
	v_cndmask_b32_e32 v13, v13, v11, vcc
	v_cndmask_b32_e32 v12, v12, v10, vcc
	v_add_lshl_u32 v7, v14, v4, 4
	s_and_saveexec_b64 s[12:13], s[8:9]
	s_xor_b64 s[8:9], exec, s[12:13]
	s_cbranch_execz .LBB22_90
; %bb.89:
	v_mov_b32_e32 v20, 0
	v_mov_b32_e32 v21, v20
	;; [unrolled: 1-line block ×4, first 2 shown]
	ds_write_b128 v7, v[20:23]
.LBB22_90:
	s_andn2_saveexec_b64 s[8:9], s[8:9]
	s_cbranch_execz .LBB22_92
; %bb.91:
	global_load_dwordx4 v[20:23], v[12:13], off
	s_waitcnt vmcnt(0)
	ds_write2_b64 v7, v[20:21], v[22:23] offset1:1
.LBB22_92:
	s_or_b64 exec, exec, s[8:9]
	v_add_u32_e32 v17, 8, v5
	v_cmp_le_i32_e64 s[8:9], s10, v17
	s_and_saveexec_b64 s[12:13], s[8:9]
	s_xor_b64 s[8:9], exec, s[12:13]
	s_cbranch_execz .LBB22_94
; %bb.93:
	v_mul_u32_u24_e32 v19, 33, v17
	v_mov_b32_e32 v20, 0
	v_add_lshl_u32 v19, v19, v4, 4
	v_mov_b32_e32 v21, v20
	v_mov_b32_e32 v22, v20
	;; [unrolled: 1-line block ×3, first 2 shown]
	ds_write_b128 v19, v[20:23]
.LBB22_94:
	s_andn2_saveexec_b64 s[8:9], s[8:9]
	s_cbranch_execz .LBB22_96
; %bb.95:
	s_lshl_b32 s12, s24, 3
	s_ashr_i32 s13, s12, 31
	v_lshl_add_u64 v[20:21], s[12:13], 4, v[12:13]
	global_load_dwordx4 v[20:23], v[20:21], off
	v_add_u32_e32 v19, 0x1080, v7
	s_waitcnt vmcnt(0)
	ds_write2_b64 v19, v[20:21], v[22:23] offset1:1
.LBB22_96:
	s_or_b64 exec, exec, s[8:9]
	v_add_u32_e32 v19, 16, v5
	v_cmp_le_i32_e64 s[8:9], s10, v19
	s_and_saveexec_b64 s[12:13], s[8:9]
	s_xor_b64 s[8:9], exec, s[12:13]
	s_cbranch_execz .LBB22_98
; %bb.97:
	v_mul_u32_u24_e32 v20, 33, v19
	v_add_lshl_u32 v24, v20, v4, 4
	v_mov_b32_e32 v20, 0
	v_mov_b32_e32 v21, v20
	;; [unrolled: 1-line block ×4, first 2 shown]
	ds_write_b128 v24, v[20:23]
.LBB22_98:
	s_andn2_saveexec_b64 s[8:9], s[8:9]
	s_cbranch_execz .LBB22_100
; %bb.99:
	s_lshl_b32 s12, s24, 4
	s_ashr_i32 s13, s12, 31
	v_lshl_add_u64 v[20:21], s[12:13], 4, v[12:13]
	global_load_dwordx4 v[20:23], v[20:21], off
	v_add_u32_e32 v24, 0x2100, v7
	s_waitcnt vmcnt(0)
	ds_write2_b64 v24, v[20:21], v[22:23] offset1:1
.LBB22_100:
	s_or_b64 exec, exec, s[8:9]
	v_add_u32_e32 v20, 24, v5
	v_cmp_le_i32_e64 s[8:9], s10, v20
	s_and_saveexec_b64 s[10:11], s[8:9]
	s_xor_b64 s[8:9], exec, s[10:11]
	s_cbranch_execz .LBB22_102
; %bb.101:
	v_mov_b32_e32 v22, 0
	v_mov_b32_e32 v23, v22
	;; [unrolled: 1-line block ×4, first 2 shown]
	ds_write_b128 v7, v[22:25] offset:12672
                                        ; implicit-def: $vgpr7
.LBB22_102:
	s_andn2_saveexec_b64 s[8:9], s[8:9]
	s_cbranch_execz .LBB22_104
; %bb.103:
	s_mul_i32 s10, s24, 24
	s_ashr_i32 s11, s10, 31
	v_lshl_add_u64 v[22:23], s[10:11], 4, v[12:13]
	global_load_dwordx4 v[22:25], v[22:23], off
	v_add_u32_e32 v7, 0x3180, v7
	s_waitcnt vmcnt(0)
	ds_write2_b64 v7, v[22:23], v[24:25] offset1:1
.LBB22_104:
	s_or_b64 exec, exec, s[8:9]
	v_mov_b32_e32 v7, 0
	v_lshl_add_u64 v[6:7], v[12:13], 0, v[6:7]
	s_lshl_b64 s[8:9], s[18:19], 4
	v_mov_b32_e32 v12, s9
	v_subrev_co_u32_e64 v6, s[8:9], s8, v6
	s_nop 1
	v_subb_co_u32_e64 v7, s[8:9], v7, v12, s[8:9]
	v_lshl_add_u64 v[6:7], v[6:7], 0, 16
	v_cndmask_b32_e32 v41, v7, v11, vcc
	v_cndmask_b32_e32 v40, v6, v10, vcc
	s_branch .LBB22_122
.LBB22_105:
	v_cmp_eq_u32_e32 vcc, v19, v4
	s_and_saveexec_b64 s[16:17], vcc
	s_cbranch_execz .LBB22_107
; %bb.106:
	v_mul_u32_u24_e32 v7, 34, v4
	v_mov_b32_e32 v10, 0
	v_lshlrev_b32_e32 v7, 4, v7
	v_mov_b32_e32 v11, v10
	ds_write_b64 v7, v[10:11] offset:8
.LBB22_107:
	s_or_b64 exec, exec, s[16:17]
	s_andn2_saveexec_b64 s[6:7], s[6:7]
	s_cbranch_execz .LBB22_78
.LBB22_108:
	ds_read_b128 v[10:13], v16
	s_waitcnt lgkmcnt(0)
	v_xor_b32_e32 v13, 0x80000000, v13
	ds_write_b128 v17, v[10:13]
	s_or_b64 exec, exec, s[6:7]
	s_and_saveexec_b64 s[6:7], s[8:9]
	s_xor_b64 s[6:7], exec, s[6:7]
	s_cbranch_execz .LBB22_79
.LBB22_109:
	ds_read_b128 v[10:13], v45
                                        ; implicit-def: $vgpr18
	s_waitcnt lgkmcnt(0)
	v_xor_b32_e32 v13, 0x80000000, v13
	ds_write_b128 v17, v[10:13] offset:16
	s_andn2_saveexec_b64 s[6:7], s[6:7]
	s_cbranch_execz .LBB22_80
.LBB22_110:
	v_cmp_eq_u32_e32 vcc, v18, v4
	s_and_saveexec_b64 s[8:9], vcc
	s_cbranch_execz .LBB22_112
; %bb.111:
	v_mul_u32_u24_e32 v7, 34, v4
	v_mov_b32_e32 v10, 0
	v_lshlrev_b32_e32 v7, 4, v7
	v_mov_b32_e32 v11, v10
	ds_write_b64 v7, v[10:11] offset:8
.LBB22_112:
	s_or_b64 exec, exec, s[8:9]
	s_or_b64 exec, exec, s[6:7]
	s_and_saveexec_b64 s[6:7], s[10:11]
	s_xor_b64 s[6:7], exec, s[6:7]
	s_cbranch_execz .LBB22_81
.LBB22_113:
	v_cmp_eq_u32_e32 vcc, v20, v4
	s_and_saveexec_b64 s[8:9], vcc
	s_cbranch_execz .LBB22_115
; %bb.114:
	v_mul_u32_u24_e32 v7, 34, v4
	v_mov_b32_e32 v10, 0
	v_lshlrev_b32_e32 v7, 4, v7
	v_mov_b32_e32 v11, v10
	ds_write_b64 v7, v[10:11] offset:8
.LBB22_115:
	s_or_b64 exec, exec, s[8:9]
	s_andn2_saveexec_b64 s[6:7], s[6:7]
	s_cbranch_execz .LBB22_82
.LBB22_116:
	ds_read_b128 v[10:13], v45 offset:528
	s_waitcnt lgkmcnt(0)
	v_xor_b32_e32 v13, 0x80000000, v13
	ds_write_b128 v17, v[10:13] offset:32
	s_or_b64 exec, exec, s[6:7]
	s_and_saveexec_b64 s[6:7], s[12:13]
	s_xor_b64 s[6:7], exec, s[6:7]
	s_cbranch_execz .LBB22_83
.LBB22_117:
	v_cmp_eq_u32_e32 vcc, v21, v4
	s_and_saveexec_b64 s[8:9], vcc
	s_cbranch_execz .LBB22_119
; %bb.118:
	v_mul_u32_u24_e32 v7, 34, v4
	v_mov_b32_e32 v10, 0
	v_lshlrev_b32_e32 v7, 4, v7
	v_mov_b32_e32 v11, v10
	ds_write_b64 v7, v[10:11] offset:8
.LBB22_119:
	s_or_b64 exec, exec, s[8:9]
                                        ; implicit-def: $vgpr17
	s_or_saveexec_b64 s[6:7], s[6:7]
	v_add_u32_e32 v18, 0x4700, v22
	s_xor_b64 exec, exec, s[6:7]
	s_cbranch_execnz .LBB22_84
	s_branch .LBB22_85
.LBB22_120:
                                        ; implicit-def: $vgpr40_vgpr41
                                        ; implicit-def: $vgpr17
                                        ; implicit-def: $vgpr19
                                        ; implicit-def: $vgpr20
	s_cbranch_execz .LBB22_122
; %bb.121:
	s_lshl_b32 s8, s24, 3
	s_ashr_i32 s9, s8, 31
	s_ashr_i32 s25, s24, 31
	v_lshl_add_u64 v[12:13], s[8:9], 4, v[8:9]
	s_lshl_b64 s[8:9], s[24:25], 7
	global_load_dwordx4 v[6:9], v[10:11], off
	global_load_dwordx4 v[22:25], v[12:13], off offset:-512
	v_lshl_add_u64 v[12:13], v[12:13], 0, s[8:9]
	v_lshl_add_u64 v[20:21], v[12:13], 0, s[8:9]
	global_load_dwordx4 v[26:29], v[12:13], off offset:-512
	global_load_dwordx4 v[30:33], v[20:21], off offset:-512
	v_add_lshl_u32 v4, v14, v4, 4
	v_add_u32_e32 v17, 8, v5
	v_add_u32_e32 v19, 16, v5
	;; [unrolled: 1-line block ×3, first 2 shown]
	v_mov_b64_e32 v[40:41], v[10:11]
	v_add_u32_e32 v12, 0x1080, v4
	v_add_u32_e32 v13, 0x2100, v4
	;; [unrolled: 1-line block ×3, first 2 shown]
	s_waitcnt vmcnt(3)
	ds_write2_b64 v4, v[6:7], v[8:9] offset1:1
	s_waitcnt vmcnt(2)
	ds_write2_b64 v12, v[22:23], v[24:25] offset1:1
	;; [unrolled: 2-line block ×4, first 2 shown]
.LBB22_122:
	v_lshlrev_b32_e32 v4, 4, v5
	s_waitcnt lgkmcnt(0)
	s_barrier
	ds_read_b128 v[46:49], v44
	ds_read_b128 v[50:53], v4 offset:18176
	v_add_lshl_u32 v4, v17, v15, 4
	v_lshlrev_b32_e32 v5, 4, v17
	ds_read_b128 v[54:57], v4
	ds_read_b128 v[58:61], v5 offset:18176
	s_waitcnt lgkmcnt(2)
	v_mul_f64 v[4:5], v[48:49], v[52:53]
	v_fmac_f64_e32 v[4:5], v[46:47], v[50:51]
	v_add_f64 v[4:5], v[4:5], 0
	s_waitcnt lgkmcnt(0)
	v_mul_f64 v[6:7], v[56:57], v[60:61]
	v_fmac_f64_e32 v[6:7], v[54:55], v[58:59]
	v_add_f64 v[4:5], v[4:5], v[6:7]
	v_add_lshl_u32 v6, v19, v15, 4
	v_mul_f64 v[70:71], v[48:49], v[50:51]
	v_mul_f64 v[72:73], v[56:57], v[58:59]
	v_lshlrev_b32_e32 v7, 4, v19
	ds_read_b128 v[48:51], v6
	ds_read_b128 v[56:59], v7 offset:18176
	v_add_lshl_u32 v6, v20, v15, 4
	v_lshlrev_b32_e32 v7, 4, v20
	ds_read_b128 v[62:65], v6
	ds_read_b128 v[66:69], v7 offset:18176
	v_fma_f64 v[46:47], v[46:47], v[52:53], -v[70:71]
	s_waitcnt lgkmcnt(2)
	v_mul_f64 v[6:7], v[50:51], v[58:59]
	v_fmac_f64_e32 v[6:7], v[48:49], v[56:57]
	v_add_f64 v[4:5], v[4:5], v[6:7]
	s_waitcnt lgkmcnt(0)
	v_mul_f64 v[6:7], v[64:65], v[68:69]
	v_fmac_f64_e32 v[6:7], v[62:63], v[66:67]
	v_mul_f64 v[56:57], v[50:51], v[56:57]
	v_add_f64 v[50:51], v[4:5], v[6:7]
	ds_read_b128 v[20:23], v18 offset:528
	ds_read_b128 v[12:15], v18 offset:544
	;; [unrolled: 1-line block ×3, first 2 shown]
	ds_read_b128 v[32:35], v16
	ds_read_b128 v[4:7], v18 offset:560
	ds_read_b128 v[24:27], v45
	ds_read_b128 v[16:19], v45 offset:528
	ds_read_b128 v[8:11], v45 offset:1056
	v_add_f64 v[46:47], v[46:47], 0
	v_fma_f64 v[52:53], v[54:55], v[60:61], -v[72:73]
	v_mul_f64 v[64:65], v[64:65], v[66:67]
	v_add_f64 v[46:47], v[46:47], v[52:53]
	v_fma_f64 v[48:49], v[48:49], v[58:59], -v[56:57]
	v_add_f64 v[46:47], v[46:47], v[48:49]
	v_fma_f64 v[48:49], v[62:63], v[68:69], -v[64:65]
	v_add_f64 v[52:53], v[46:47], v[48:49]
	s_waitcnt lgkmcnt(0)
	s_barrier
	ds_write_b128 v44, v[50:53]
	s_waitcnt lgkmcnt(0)
	s_barrier
	s_and_saveexec_b64 s[8:9], s[6:7]
	s_cbranch_execz .LBB22_124
; %bb.123:
	ds_read_b128 v[46:49], v43
	ds_read_b128 v[50:53], v43 offset:16
	ds_read_b128 v[54:57], v43 offset:32
	;; [unrolled: 1-line block ×3, first 2 shown]
	s_waitcnt lgkmcnt(3)
	v_add_f64 v[0:1], v[0:1], v[46:47]
	v_add_f64 v[2:3], v[2:3], v[48:49]
	s_waitcnt lgkmcnt(2)
	v_add_f64 v[0:1], v[0:1], v[50:51]
	v_add_f64 v[46:47], v[2:3], v[52:53]
	s_waitcnt lgkmcnt(1)
	v_add_f64 v[48:49], v[0:1], v[54:55]
	ds_read_b128 v[0:3], v43 offset:64
	v_add_f64 v[46:47], v[46:47], v[56:57]
	s_waitcnt lgkmcnt(1)
	v_add_f64 v[50:51], v[48:49], v[58:59]
	v_add_f64 v[54:55], v[46:47], v[60:61]
	ds_read_b128 v[46:49], v43 offset:80
	s_waitcnt lgkmcnt(1)
	v_add_f64 v[56:57], v[50:51], v[0:1]
	ds_read_b128 v[50:53], v43 offset:96
	v_add_f64 v[54:55], v[54:55], v[2:3]
	ds_read_b128 v[0:3], v43 offset:112
	s_waitcnt lgkmcnt(2)
	v_add_f64 v[46:47], v[56:57], v[46:47]
	v_add_f64 v[48:49], v[54:55], v[48:49]
	s_waitcnt lgkmcnt(1)
	v_add_f64 v[46:47], v[46:47], v[50:51]
	v_add_f64 v[48:49], v[48:49], v[52:53]
	;; [unrolled: 3-line block ×3, first 2 shown]
.LBB22_124:
	s_or_b64 exec, exec, s[8:9]
	v_mul_f64 v[46:47], v[30:31], v[34:35]
	v_fma_f64 v[46:47], v[28:29], v[32:33], -v[46:47]
	v_mul_f64 v[28:29], v[28:29], v[34:35]
	v_fmac_f64_e32 v[28:29], v[30:31], v[32:33]
	v_mul_f64 v[32:33], v[22:23], v[26:27]
	v_fma_f64 v[32:33], v[20:21], v[24:25], -v[32:33]
	v_mul_f64 v[20:21], v[20:21], v[26:27]
	v_fmac_f64_e32 v[20:21], v[22:23], v[24:25]
	v_mul_f64 v[24:25], v[14:15], v[18:19]
	v_add_f64 v[30:31], v[46:47], 0
	v_add_f64 v[28:29], v[28:29], 0
	v_fma_f64 v[24:25], v[12:13], v[16:17], -v[24:25]
	v_mul_f64 v[12:13], v[12:13], v[18:19]
	v_add_f64 v[22:23], v[30:31], v[32:33]
	v_add_f64 v[20:21], v[28:29], v[20:21]
	v_fmac_f64_e32 v[12:13], v[14:15], v[16:17]
	v_mul_f64 v[16:17], v[6:7], v[10:11]
	v_mul_f64 v[10:11], v[4:5], v[10:11]
	v_add_f64 v[14:15], v[22:23], v[24:25]
	v_add_f64 v[12:13], v[20:21], v[12:13]
	v_fma_f64 v[16:17], v[4:5], v[8:9], -v[16:17]
	v_fmac_f64_e32 v[10:11], v[6:7], v[8:9]
	v_add_f64 v[4:5], v[14:15], v[16:17]
	v_add_f64 v[6:7], v[12:13], v[10:11]
	s_barrier
	ds_write_b128 v44, v[4:7]
	s_waitcnt lgkmcnt(0)
	s_barrier
	s_and_saveexec_b64 s[6:7], s[14:15]
	s_cbranch_execz .LBB22_126
; %bb.125:
	ds_read_b128 v[4:7], v43
	ds_read_b128 v[8:11], v43 offset:16
	ds_read_b128 v[12:15], v43 offset:32
	;; [unrolled: 1-line block ×3, first 2 shown]
	s_waitcnt lgkmcnt(3)
	v_add_f64 v[0:1], v[0:1], v[4:5]
	v_add_f64 v[2:3], v[2:3], v[6:7]
	s_waitcnt lgkmcnt(2)
	v_add_f64 v[0:1], v[0:1], v[8:9]
	v_add_f64 v[4:5], v[2:3], v[10:11]
	s_waitcnt lgkmcnt(1)
	v_add_f64 v[6:7], v[0:1], v[12:13]
	ds_read_b128 v[0:3], v43 offset:64
	v_add_f64 v[4:5], v[4:5], v[14:15]
	s_waitcnt lgkmcnt(1)
	v_add_f64 v[8:9], v[6:7], v[16:17]
	v_add_f64 v[12:13], v[4:5], v[18:19]
	ds_read_b128 v[4:7], v43 offset:80
	s_waitcnt lgkmcnt(1)
	v_add_f64 v[14:15], v[8:9], v[0:1]
	ds_read_b128 v[8:11], v43 offset:96
	v_add_f64 v[12:13], v[12:13], v[2:3]
	ds_read_b128 v[0:3], v43 offset:112
	s_waitcnt lgkmcnt(2)
	v_add_f64 v[4:5], v[14:15], v[4:5]
	v_add_f64 v[6:7], v[12:13], v[6:7]
	s_waitcnt lgkmcnt(1)
	v_add_f64 v[4:5], v[4:5], v[8:9]
	v_add_f64 v[6:7], v[6:7], v[10:11]
	;; [unrolled: 3-line block ×3, first 2 shown]
.LBB22_126:
	s_or_b64 exec, exec, s[6:7]
	s_load_dwordx2 s[0:1], s[0:1], 0x78
	s_mul_hi_u32 s6, s34, s3
	s_mul_i32 s35, s35, s3
	s_add_i32 s6, s6, s35
	s_mul_i32 s3, s34, s3
	s_mul_i32 s6, s6, s30
	s_mul_hi_u32 s7, s3, s30
	s_add_i32 s7, s7, s6
	s_mul_i32 s6, s3, s30
	s_lshl_b64 s[6:7], s[6:7], 4
	s_waitcnt lgkmcnt(0)
	s_add_u32 s3, s0, s6
	s_addc_u32 s6, s1, s7
	s_mul_hi_i32 s1, s34, s2
	s_mul_i32 s0, s34, s2
	s_lshl_b64 s[0:1], s[0:1], 4
	s_add_u32 s8, s3, s0
	s_addc_u32 s9, s6, s1
	s_add_i32 s10, s2, 1
	s_cmp_ge_u32 s10, s30
	v_lshlrev_b32_e32 v169, 4, v168
	s_barrier
	s_cbranch_scc1 .LBB22_184
; %bb.127:
	s_mul_i32 s0, s22, s33
	s_ashr_i32 s1, s0, 31
	s_lshl_b64 s[0:1], s[0:1], 4
	v_lshlrev_b32_e32 v216, 2, v167
	v_mov_b32_e32 v4, s1
	v_subrev_co_u32_e32 v170, vcc, s0, v36
	v_and_b32_e32 v8, 48, v168
	s_nop 0
	v_subb_co_u32_e32 v171, vcc, v37, v4, vcc
	v_mad_u64_u32 v[4:5], s[0:1], v216, s24, v[168:169]
	v_and_b32_e32 v6, 15, v168
	v_lshlrev_b32_e32 v9, 4, v8
	s_movk_i32 s0, 0x430
	v_lshrrev_b32_e32 v7, 4, v42
	v_mad_u32_u24 v219, v6, s0, v9
	v_or_b32_e32 v9, 0xf0, v169
	v_mad_u32_u24 v220, v6, s0, v9
	v_lshlrev_b32_e32 v9, 6, v7
	v_mul_i32_i24_e32 v12, 0xffffffd0, v7
	v_add_u32_e32 v7, s22, v8
	v_mad_u32_u24 v221, v6, s0, v9
	v_add3_u32 v172, v7, v6, 64
	v_lshlrev_b64 v[6:7], 4, v[38:39]
	v_ashrrev_i32_e32 v5, 31, v4
	v_sub_co_u32_e32 v174, vcc, 0, v6
	v_mov_b32_e32 v9, 0x4300
	s_nop 0
	v_subb_co_u32_e32 v175, vcc, 0, v7, vcc
	s_lshl_b64 s[22:23], s[26:27], 4
	v_lshlrev_b64 v[6:7], 4, v[4:5]
	s_lshl_b32 s14, s24, 4
	v_lshl_add_u32 v225, v167, 6, v9
	s_mul_i32 s16, s24, 3
	v_lshl_add_u64 v[8:9], s[22:23], 0, v[6:7]
	v_lshl_add_u64 v[4:5], s[26:27], 0, v[4:5]
	s_lshl_b32 s19, s33, 6
	s_ashr_i32 s15, s14, 31
	s_ashr_i32 s25, s24, 31
	s_lshl_b32 s28, s24, 1
	s_movk_i32 s0, 0x10c0
	s_ashr_i32 s17, s16, 31
	s_mul_i32 s33, s33, s10
	v_lshl_add_u64 v[8:9], v[8:9], 0, v[40:41]
	v_lshlrev_b64 v[4:5], 4, v[4:5]
	s_add_i32 s3, s30, -2
	s_ashr_i32 s29, s28, 31
	v_mad_u32_u24 v226, v167, s0, v169
	s_lshl_b64 s[0:1], s[24:25], 4
	s_lshl_b32 s10, s33, 6
	v_lshl_add_u64 v[176:177], v[8:9], 0, 8
	s_lshl_b64 s[12:13], s[14:15], 6
	s_mul_i32 s11, s24, 0x300
	v_mad_i64_i32 v[8:9], s[26:27], s14, 48, v[4:5]
	s_lshl_b64 s[16:17], s[16:17], 4
	s_lshl_b64 s[24:25], s[24:25], 5
	s_add_u32 s26, s24, s22
	s_addc_u32 s27, s25, s23
	s_mul_hi_i32 s33, s14, 48
	s_add_u32 s24, s11, s24
	s_addc_u32 s25, s33, s25
	v_lshl_add_u64 v[4:5], s[24:25], 0, v[4:5]
	s_add_u32 s24, s0, s22
	v_lshl_add_u64 v[4:5], v[4:5], 0, v[40:41]
	s_addc_u32 s25, s1, s23
	v_lshl_add_u64 v[182:183], v[4:5], 0, 8
	v_lshl_add_u64 v[4:5], s[24:25], 0, v[6:7]
	s_lshl_b64 s[28:29], s[28:29], 4
	v_lshl_add_u64 v[4:5], v[4:5], 0, v[40:41]
	s_add_u32 s34, s22, s28
	v_lshl_add_u64 v[184:185], v[4:5], 0, 8
	v_lshl_add_u64 v[4:5], v[8:9], 0, s[28:29]
	s_addc_u32 s35, s23, s29
	v_lshl_add_u64 v[186:187], v[40:41], 0, v[4:5]
	v_lshl_add_u64 v[4:5], s[34:35], 0, v[6:7]
	;; [unrolled: 1-line block ×3, first 2 shown]
	s_add_u32 s34, s22, s16
	v_lshl_add_u64 v[188:189], v[4:5], 0, 8
	v_lshl_add_u64 v[4:5], v[8:9], 0, s[0:1]
	s_addc_u32 s35, s23, s17
	v_lshl_add_u64 v[190:191], v[40:41], 0, v[4:5]
	v_lshl_add_u64 v[4:5], s[34:35], 0, v[6:7]
	s_lshl_b64 s[34:35], s[14:15], 4
	s_add_u32 s36, s22, s34
	s_addc_u32 s37, s23, s35
	s_lshl_b64 s[14:15], s[14:15], 5
	s_add_u32 s22, s14, s22
	s_addc_u32 s23, s15, s23
	v_lshl_add_u64 v[4:5], v[4:5], 0, v[40:41]
	s_add_u32 s38, s22, s16
	v_lshl_add_u64 v[192:193], v[4:5], 0, 8
	v_lshl_add_u64 v[4:5], s[36:37], 0, v[6:7]
	s_addc_u32 s39, s23, s17
	v_lshl_add_u64 v[4:5], v[4:5], 0, v[40:41]
	s_add_u32 s24, s24, s34
	v_lshl_add_u64 v[196:197], v[4:5], 0, 8
	v_lshl_add_u64 v[4:5], s[38:39], 0, v[6:7]
	s_addc_u32 s25, s25, s35
	v_lshl_add_u64 v[198:199], v[40:41], 0, v[4:5]
	v_lshl_add_u64 v[4:5], s[24:25], 0, v[6:7]
	s_add_u32 s14, s26, s14
	v_lshl_add_u64 v[4:5], v[4:5], 0, v[40:41]
	s_addc_u32 s15, s27, s15
	v_lshl_add_u64 v[200:201], v[4:5], 0, 8
	v_lshl_add_u64 v[4:5], s[14:15], 0, v[6:7]
	s_add_u32 s14, s36, s28
	;; [unrolled: 5-line block ×4, first 2 shown]
	s_addc_u32 s15, s27, s35
	s_add_u32 s0, s22, s0
	v_lshl_add_u64 v[206:207], v[40:41], 0, v[4:5]
	v_lshl_add_u64 v[4:5], s[14:15], 0, v[6:7]
	s_addc_u32 s1, s23, s1
	v_lshl_add_u64 v[208:209], v[40:41], 0, v[4:5]
	v_lshl_add_u64 v[4:5], s[0:1], 0, v[6:7]
	s_add_u32 s0, s36, s16
	s_addc_u32 s1, s37, s17
	v_lshl_add_u64 v[210:211], v[40:41], 0, v[4:5]
	v_lshl_add_u64 v[4:5], s[0:1], 0, v[6:7]
	;; [unrolled: 1-line block ×9, first 2 shown]
	v_add_u32_e32 v217, 0x4300, v169
	v_add_u32_e32 v218, 0x4700, v169
	v_cmp_gt_u32_e64 s[6:7], 64, v42
	v_or_b32_e32 v222, 1, v216
	v_or_b32_e32 v223, 2, v216
	;; [unrolled: 1-line block ×3, first 2 shown]
	v_add_u32_e32 v227, 16, v216
	v_add_u32_e32 v228, 17, v216
	;; [unrolled: 1-line block ×12, first 2 shown]
	v_lshl_add_u64 v[180:181], v[40:41], 0, v[10:11]
	v_lshl_add_u64 v[194:195], v[40:41], 0, v[8:9]
	;; [unrolled: 1-line block ×3, first 2 shown]
	v_add_u32_e32 v239, v221, v12
	v_mov_b32_e32 v4, 0
	s_cmp_eq_u32 s3, s2
	s_cselect_b32 s26, s31, 0
	s_and_saveexec_b64 s[0:1], s[4:5]
	s_cbranch_execz .LBB22_132
.LBB22_128:
	s_cmp_lg_u32 s26, 0
	s_cselect_b64 s[14:15], -1, 0
	v_cmp_le_i32_e32 vcc, s26, v168
	s_and_b64 s[14:15], s[14:15], vcc
	s_and_saveexec_b64 s[16:17], s[14:15]
	s_xor_b64 s[14:15], exec, s[16:17]
	s_cbranch_execz .LBB22_130
; %bb.129:
	v_mov_b32_e32 v5, v4
	v_mov_b32_e32 v6, v4
	;; [unrolled: 1-line block ×3, first 2 shown]
	ds_write_b128 v217, v[4:7]
.LBB22_130:
	s_andn2_saveexec_b64 s[14:15], s[14:15]
	s_cbranch_execz .LBB22_132
; %bb.131:
	s_ashr_i32 s11, s10, 31
	v_lshl_add_u64 v[6:7], s[10:11], 4, v[170:171]
	global_load_dwordx4 v[6:9], v[6:7], off
	s_waitcnt vmcnt(0)
	ds_write2_b64 v217, v[6:7], v[8:9] offset1:1
.LBB22_132:                             ; =>This Inner Loop Header: Depth=1
	s_or_b64 exec, exec, s[0:1]
	s_cmp_eq_u32 s26, 0
	s_cselect_b64 s[14:15], -1, 0
	s_cmp_lg_u32 s26, 0
	s_cselect_b64 s[16:17], -1, 0
	v_lshl_add_u64 v[18:19], v[176:177], 0, v[174:175]
	s_and_b64 vcc, exec, s[16:17]
	s_waitcnt lgkmcnt(0)
	s_barrier
	s_cbranch_vccz .LBB22_140
; %bb.133:                              ;   in Loop: Header=BB22_132 Depth=1
	v_mov_b64_e32 v[10:11], 0
	v_cmp_gt_i32_e32 vcc, s26, v216
	v_mov_b64_e32 v[6:7], v[10:11]
	v_mov_b64_e32 v[8:9], v[10:11]
	s_and_saveexec_b64 s[0:1], vcc
	s_cbranch_execz .LBB22_135
; %bb.134:                              ;   in Loop: Header=BB22_132 Depth=1
	global_load_dwordx4 v[6:9], v[18:19], off offset:-8
.LBB22_135:                             ;   in Loop: Header=BB22_132 Depth=1
	s_or_b64 exec, exec, s[0:1]
	v_cmp_gt_i32_e32 vcc, s26, v222
	v_mov_b64_e32 v[12:13], v[10:11]
	s_and_saveexec_b64 s[0:1], vcc
	s_cbranch_execz .LBB22_137
; %bb.136:                              ;   in Loop: Header=BB22_132 Depth=1
	v_lshl_add_u64 v[10:11], v[184:185], 0, v[174:175]
	global_load_dwordx4 v[10:13], v[10:11], off offset:-8
.LBB22_137:                             ;   in Loop: Header=BB22_132 Depth=1
	s_or_b64 exec, exec, s[0:1]
	v_mov_b64_e32 v[14:15], 0
	v_cmp_gt_i32_e32 vcc, s26, v223
	s_mov_b64 s[24:25], 0
	v_mov_b64_e32 v[16:17], v[14:15]
	s_and_saveexec_b64 s[0:1], vcc
	s_cbranch_execz .LBB22_139
; %bb.138:                              ;   in Loop: Header=BB22_132 Depth=1
	v_lshl_add_u64 v[14:15], v[188:189], 0, v[174:175]
	global_load_dwordx4 v[14:17], v[14:15], off offset:-8
.LBB22_139:                             ;   in Loop: Header=BB22_132 Depth=1
	s_or_b64 exec, exec, s[0:1]
	v_cmp_gt_i32_e64 s[0:1], s26, v224
	s_mov_b64 s[22:23], 0
	s_and_b64 vcc, exec, s[24:25]
	s_cbranch_vccnz .LBB22_141
	s_branch .LBB22_142
.LBB22_140:                             ;   in Loop: Header=BB22_132 Depth=1
	s_mov_b64 s[0:1], 0
                                        ; implicit-def: $sgpr22_sgpr23
                                        ; implicit-def: $vgpr16_vgpr17
                                        ; implicit-def: $vgpr12_vgpr13
                                        ; implicit-def: $vgpr8_vgpr9
	s_cbranch_execz .LBB22_142
.LBB22_141:                             ;   in Loop: Header=BB22_132 Depth=1
	s_waitcnt vmcnt(0)
	v_lshl_add_u64 v[10:11], v[184:185], 0, v[174:175]
	v_lshl_add_u64 v[14:15], v[180:181], 0, v[174:175]
	global_load_dwordx4 v[6:9], v[18:19], off offset:-8
	s_or_b64 s[0:1], s[0:1], exec
	global_load_dwordx4 v[10:13], v[10:11], off offset:-8
                                        ; implicit-def: $sgpr22_sgpr23
	s_nop 0
	global_load_dwordx4 v[14:17], v[14:15], off
.LBB22_142:                             ;   in Loop: Header=BB22_132 Depth=1
	v_mov_b64_e32 v[18:19], s[22:23]
	v_mov_b64_e32 v[20:21], s[22:23]
	s_and_saveexec_b64 s[22:23], s[0:1]
	s_cbranch_execz .LBB22_144
; %bb.143:                              ;   in Loop: Header=BB22_132 Depth=1
	v_lshl_add_u64 v[18:19], v[192:193], 0, v[174:175]
	global_load_dwordx4 v[18:21], v[18:19], off offset:-8
.LBB22_144:                             ;   in Loop: Header=BB22_132 Depth=1
	s_or_b64 exec, exec, s[22:23]
	ds_read_b128 v[34:37], v218
	ds_read_b128 v[22:25], v225
	v_cndmask_b32_e64 v5, 0, 1, s[16:17]
	v_cmp_ne_u32_e64 s[0:1], 1, v5
	s_andn2_b64 vcc, exec, s[16:17]
	s_waitcnt vmcnt(0) lgkmcnt(1)
	v_mul_f64 v[26:27], v[8:9], v[36:37]
	v_mul_f64 v[28:29], v[8:9], v[34:35]
	;; [unrolled: 1-line block ×3, first 2 shown]
	v_fmac_f64_e32 v[26:27], v[6:7], v[34:35]
	v_fma_f64 v[28:29], v[6:7], v[36:37], -v[28:29]
	v_mul_f64 v[32:33], v[12:13], v[34:35]
	ds_write_b128 v226, v[26:29]
	v_fmac_f64_e32 v[30:31], v[10:11], v[34:35]
	v_fma_f64 v[32:33], v[10:11], v[36:37], -v[32:33]
	v_mul_f64 v[38:39], v[16:17], v[36:37]
	v_mul_f64 v[40:41], v[16:17], v[34:35]
	;; [unrolled: 1-line block ×3, first 2 shown]
	ds_read_b128 v[26:29], v225 offset:16
	ds_write_b128 v226, v[30:33] offset:1072
	v_fmac_f64_e32 v[38:39], v[14:15], v[34:35]
	v_fma_f64 v[40:41], v[14:15], v[36:37], -v[40:41]
	v_fmac_f64_e32 v[42:43], v[18:19], v[34:35]
	v_mul_f64 v[34:35], v[20:21], v[34:35]
	ds_read_b128 v[30:33], v225 offset:32
	ds_write_b128 v226, v[38:41] offset:2144
	v_fma_f64 v[44:45], v[18:19], v[36:37], -v[34:35]
	ds_read_b128 v[38:41], v225 offset:48
	ds_write_b128 v226, v[42:45] offset:3216
	s_waitcnt lgkmcnt(0)
	s_barrier
	ds_read_b128 v[98:101], v221
	ds_read_b128 v[94:97], v221 offset:16
	ds_read_b128 v[86:89], v221 offset:32
	;; [unrolled: 1-line block ×3, first 2 shown]
	v_lshl_add_u64 v[50:51], v[196:197], 0, v[174:175]
	s_waitcnt lgkmcnt(0)
	s_barrier
	s_cbranch_vccnz .LBB22_152
; %bb.145:                              ;   in Loop: Header=BB22_132 Depth=1
	v_mov_b64_e32 v[42:43], 0
	v_cmp_gt_i32_e32 vcc, s26, v227
	v_mov_b64_e32 v[34:35], v[42:43]
	v_mov_b64_e32 v[36:37], v[42:43]
	s_and_saveexec_b64 s[16:17], vcc
	s_cbranch_execz .LBB22_147
; %bb.146:                              ;   in Loop: Header=BB22_132 Depth=1
	global_load_dwordx4 v[34:37], v[50:51], off offset:-8
.LBB22_147:                             ;   in Loop: Header=BB22_132 Depth=1
	s_or_b64 exec, exec, s[16:17]
	v_cmp_gt_i32_e32 vcc, s26, v228
	v_mov_b64_e32 v[44:45], v[42:43]
	s_and_saveexec_b64 s[16:17], vcc
	s_cbranch_execz .LBB22_149
; %bb.148:                              ;   in Loop: Header=BB22_132 Depth=1
	v_lshl_add_u64 v[42:43], v[200:201], 0, v[174:175]
	global_load_dwordx4 v[42:45], v[42:43], off offset:-8
.LBB22_149:                             ;   in Loop: Header=BB22_132 Depth=1
	s_or_b64 exec, exec, s[16:17]
	v_mov_b64_e32 v[46:47], 0
	v_cmp_gt_i32_e32 vcc, s26, v229
	s_mov_b64 s[24:25], 0
	v_mov_b64_e32 v[48:49], v[46:47]
	s_and_saveexec_b64 s[16:17], vcc
	s_cbranch_execz .LBB22_151
; %bb.150:                              ;   in Loop: Header=BB22_132 Depth=1
	v_lshl_add_u64 v[46:47], v[204:205], 0, v[174:175]
	global_load_dwordx4 v[46:49], v[46:47], off offset:-8
.LBB22_151:                             ;   in Loop: Header=BB22_132 Depth=1
	s_or_b64 exec, exec, s[16:17]
	v_cmp_gt_i32_e64 s[16:17], s26, v230
	s_mov_b64 s[22:23], 0
	s_and_b64 vcc, exec, s[24:25]
	s_cbranch_vccnz .LBB22_153
	s_branch .LBB22_154
.LBB22_152:                             ;   in Loop: Header=BB22_132 Depth=1
	s_mov_b64 s[16:17], 0
                                        ; implicit-def: $sgpr22_sgpr23
                                        ; implicit-def: $vgpr48_vgpr49
                                        ; implicit-def: $vgpr44_vgpr45
                                        ; implicit-def: $vgpr36_vgpr37
	s_cbranch_execz .LBB22_154
.LBB22_153:                             ;   in Loop: Header=BB22_132 Depth=1
	s_waitcnt vmcnt(0)
	v_lshl_add_u64 v[42:43], v[200:201], 0, v[174:175]
	v_lshl_add_u64 v[46:47], v[208:209], 0, v[174:175]
	global_load_dwordx4 v[34:37], v[50:51], off offset:-8
	s_or_b64 s[16:17], s[16:17], exec
	global_load_dwordx4 v[42:45], v[42:43], off offset:-8
                                        ; implicit-def: $sgpr22_sgpr23
	s_nop 0
	global_load_dwordx4 v[46:49], v[46:47], off
.LBB22_154:                             ;   in Loop: Header=BB22_132 Depth=1
	v_mov_b64_e32 v[50:51], s[22:23]
	v_mov_b64_e32 v[52:53], s[22:23]
	s_and_saveexec_b64 s[22:23], s[16:17]
	s_cbranch_execz .LBB22_156
; %bb.155:                              ;   in Loop: Header=BB22_132 Depth=1
	v_lshl_add_u64 v[50:51], v[212:213], 0, v[174:175]
	global_load_dwordx4 v[50:53], v[50:51], off offset:-8
.LBB22_156:                             ;   in Loop: Header=BB22_132 Depth=1
	s_or_b64 exec, exec, s[22:23]
	ds_read_b128 v[66:69], v218
	ds_read_b128 v[54:57], v225 offset:256
	s_and_b64 vcc, exec, s[0:1]
	v_lshl_add_u64 v[90:91], v[214:215], 0, v[174:175]
	s_waitcnt vmcnt(0) lgkmcnt(1)
	v_mul_f64 v[58:59], v[36:37], v[68:69]
	v_mul_f64 v[60:61], v[36:37], v[66:67]
	;; [unrolled: 1-line block ×3, first 2 shown]
	v_fmac_f64_e32 v[58:59], v[34:35], v[66:67]
	v_fma_f64 v[60:61], v[34:35], v[68:69], -v[60:61]
	v_mul_f64 v[64:65], v[44:45], v[66:67]
	ds_write_b128 v226, v[58:61]
	v_fmac_f64_e32 v[62:63], v[42:43], v[66:67]
	v_fma_f64 v[64:65], v[42:43], v[68:69], -v[64:65]
	v_mul_f64 v[70:71], v[48:49], v[68:69]
	v_mul_f64 v[72:73], v[48:49], v[66:67]
	ds_read_b128 v[58:61], v225 offset:272
	ds_write_b128 v226, v[62:65] offset:1072
	v_fmac_f64_e32 v[70:71], v[46:47], v[66:67]
	v_fma_f64 v[72:73], v[46:47], v[68:69], -v[72:73]
	ds_read_b128 v[62:65], v225 offset:288
	ds_write_b128 v226, v[70:73] offset:2144
	v_mul_f64 v[70:71], v[52:53], v[68:69]
	v_fmac_f64_e32 v[70:71], v[50:51], v[66:67]
	v_mul_f64 v[66:67], v[52:53], v[66:67]
	v_fma_f64 v[72:73], v[50:51], v[68:69], -v[66:67]
	ds_read_b128 v[74:77], v225 offset:304
	ds_write_b128 v226, v[70:73] offset:3216
	s_waitcnt lgkmcnt(0)
	s_barrier
	ds_read_b128 v[146:149], v221
	ds_read_b128 v[142:145], v221 offset:16
	ds_read_b128 v[138:141], v221 offset:32
	;; [unrolled: 1-line block ×3, first 2 shown]
	s_waitcnt lgkmcnt(0)
	s_barrier
	s_cbranch_vccnz .LBB22_164
; %bb.157:                              ;   in Loop: Header=BB22_132 Depth=1
	v_mov_b64_e32 v[70:71], 0
	v_cmp_gt_i32_e32 vcc, s26, v231
	v_mov_b64_e32 v[66:67], v[70:71]
	v_mov_b64_e32 v[68:69], v[70:71]
	s_and_saveexec_b64 s[16:17], vcc
	s_cbranch_execz .LBB22_159
; %bb.158:                              ;   in Loop: Header=BB22_132 Depth=1
	global_load_dwordx4 v[66:69], v[90:91], off offset:-8
.LBB22_159:                             ;   in Loop: Header=BB22_132 Depth=1
	s_or_b64 exec, exec, s[16:17]
	v_cmp_gt_i32_e32 vcc, s26, v232
	v_mov_b64_e32 v[72:73], v[70:71]
	s_and_saveexec_b64 s[16:17], vcc
	s_cbranch_execz .LBB22_161
; %bb.160:                              ;   in Loop: Header=BB22_132 Depth=1
	v_lshl_add_u64 v[70:71], v[210:211], 0, v[174:175]
	global_load_dwordx4 v[70:73], v[70:71], off
.LBB22_161:                             ;   in Loop: Header=BB22_132 Depth=1
	s_or_b64 exec, exec, s[16:17]
	v_mov_b64_e32 v[78:79], 0
	v_cmp_gt_i32_e32 vcc, s26, v233
	s_mov_b64 s[24:25], 0
	v_mov_b64_e32 v[80:81], v[78:79]
	s_and_saveexec_b64 s[16:17], vcc
	s_cbranch_execz .LBB22_163
; %bb.162:                              ;   in Loop: Header=BB22_132 Depth=1
	v_lshl_add_u64 v[78:79], v[206:207], 0, v[174:175]
	global_load_dwordx4 v[78:81], v[78:79], off
.LBB22_163:                             ;   in Loop: Header=BB22_132 Depth=1
	s_or_b64 exec, exec, s[16:17]
	v_cmp_gt_i32_e64 s[16:17], s26, v234
	s_mov_b64 s[22:23], 0
	s_and_b64 vcc, exec, s[24:25]
	s_cbranch_vccnz .LBB22_165
	s_branch .LBB22_166
.LBB22_164:                             ;   in Loop: Header=BB22_132 Depth=1
	s_mov_b64 s[16:17], 0
                                        ; implicit-def: $sgpr22_sgpr23
                                        ; implicit-def: $vgpr80_vgpr81
                                        ; implicit-def: $vgpr72_vgpr73
                                        ; implicit-def: $vgpr68_vgpr69
	s_cbranch_execz .LBB22_166
.LBB22_165:                             ;   in Loop: Header=BB22_132 Depth=1
	s_waitcnt vmcnt(0)
	v_lshl_add_u64 v[70:71], v[210:211], 0, v[174:175]
	v_lshl_add_u64 v[78:79], v[202:203], 0, v[174:175]
	global_load_dwordx4 v[66:69], v[90:91], off offset:-8
	s_or_b64 s[16:17], s[16:17], exec
	global_load_dwordx4 v[70:73], v[70:71], off
                                        ; implicit-def: $sgpr22_sgpr23
	s_nop 0
	global_load_dwordx4 v[78:81], v[78:79], off offset:-8
.LBB22_166:                             ;   in Loop: Header=BB22_132 Depth=1
	v_mov_b64_e32 v[90:91], s[22:23]
	v_mov_b64_e32 v[92:93], s[22:23]
	s_and_saveexec_b64 s[22:23], s[16:17]
	s_cbranch_execz .LBB22_168
; %bb.167:                              ;   in Loop: Header=BB22_132 Depth=1
	v_lshl_add_u64 v[90:91], v[198:199], 0, v[174:175]
	global_load_dwordx4 v[90:93], v[90:91], off
.LBB22_168:                             ;   in Loop: Header=BB22_132 Depth=1
	s_or_b64 exec, exec, s[22:23]
	ds_read_b128 v[114:117], v218
	ds_read_b128 v[102:105], v225 offset:512
	s_and_b64 vcc, exec, s[0:1]
	v_lshl_add_u64 v[130:131], v[194:195], 0, v[174:175]
	s_waitcnt vmcnt(0) lgkmcnt(1)
	v_mul_f64 v[106:107], v[68:69], v[116:117]
	v_mul_f64 v[108:109], v[68:69], v[114:115]
	;; [unrolled: 1-line block ×3, first 2 shown]
	v_fmac_f64_e32 v[106:107], v[66:67], v[114:115]
	v_fma_f64 v[108:109], v[66:67], v[116:117], -v[108:109]
	v_mul_f64 v[112:113], v[72:73], v[114:115]
	ds_write_b128 v226, v[106:109]
	v_fmac_f64_e32 v[110:111], v[70:71], v[114:115]
	v_fma_f64 v[112:113], v[70:71], v[116:117], -v[112:113]
	v_mul_f64 v[118:119], v[80:81], v[116:117]
	v_mul_f64 v[120:121], v[80:81], v[114:115]
	;; [unrolled: 1-line block ×3, first 2 shown]
	ds_read_b128 v[106:109], v225 offset:528
	ds_write_b128 v226, v[110:113] offset:1072
	v_fmac_f64_e32 v[118:119], v[78:79], v[114:115]
	v_fma_f64 v[120:121], v[78:79], v[116:117], -v[120:121]
	v_fmac_f64_e32 v[122:123], v[90:91], v[114:115]
	v_mul_f64 v[114:115], v[92:93], v[114:115]
	ds_read_b128 v[110:113], v225 offset:544
	ds_write_b128 v226, v[118:121] offset:2144
	v_fma_f64 v[124:125], v[90:91], v[116:117], -v[114:115]
	ds_read_b128 v[118:121], v225 offset:560
	ds_write_b128 v226, v[122:125] offset:3216
	s_waitcnt lgkmcnt(0)
	s_barrier
	ds_read_b128 v[162:165], v221
	ds_read_b128 v[158:161], v221 offset:16
	ds_read_b128 v[154:157], v221 offset:32
	;; [unrolled: 1-line block ×3, first 2 shown]
	s_waitcnt lgkmcnt(0)
	s_barrier
	s_cbranch_vccnz .LBB22_176
; %bb.169:                              ;   in Loop: Header=BB22_132 Depth=1
	v_mov_b64_e32 v[122:123], 0
	v_cmp_gt_i32_e32 vcc, s26, v235
	v_mov_b64_e32 v[114:115], v[122:123]
	v_mov_b64_e32 v[116:117], v[122:123]
	s_and_saveexec_b64 s[0:1], vcc
	s_cbranch_execz .LBB22_171
; %bb.170:                              ;   in Loop: Header=BB22_132 Depth=1
	global_load_dwordx4 v[114:117], v[130:131], off
.LBB22_171:                             ;   in Loop: Header=BB22_132 Depth=1
	s_or_b64 exec, exec, s[0:1]
	v_cmp_gt_i32_e32 vcc, s26, v236
	v_mov_b64_e32 v[124:125], v[122:123]
	s_and_saveexec_b64 s[0:1], vcc
	s_cbranch_execz .LBB22_173
; %bb.172:                              ;   in Loop: Header=BB22_132 Depth=1
	v_lshl_add_u64 v[122:123], v[190:191], 0, v[174:175]
	global_load_dwordx4 v[122:125], v[122:123], off
.LBB22_173:                             ;   in Loop: Header=BB22_132 Depth=1
	s_or_b64 exec, exec, s[0:1]
	v_mov_b64_e32 v[126:127], 0
	v_cmp_gt_i32_e32 vcc, s26, v237
	s_mov_b64 s[22:23], 0
	v_mov_b64_e32 v[128:129], v[126:127]
	s_and_saveexec_b64 s[0:1], vcc
	s_cbranch_execz .LBB22_175
; %bb.174:                              ;   in Loop: Header=BB22_132 Depth=1
	v_lshl_add_u64 v[126:127], v[186:187], 0, v[174:175]
	global_load_dwordx4 v[126:129], v[126:127], off
.LBB22_175:                             ;   in Loop: Header=BB22_132 Depth=1
	s_or_b64 exec, exec, s[0:1]
	v_cmp_gt_i32_e64 s[0:1], s26, v238
	s_mov_b64 s[16:17], 0
	s_and_b64 vcc, exec, s[22:23]
	s_cbranch_vccnz .LBB22_177
	s_branch .LBB22_178
.LBB22_176:                             ;   in Loop: Header=BB22_132 Depth=1
	s_mov_b64 s[0:1], 0
                                        ; implicit-def: $sgpr16_sgpr17
                                        ; implicit-def: $vgpr128_vgpr129
                                        ; implicit-def: $vgpr124_vgpr125
                                        ; implicit-def: $vgpr116_vgpr117
	s_cbranch_execz .LBB22_178
.LBB22_177:                             ;   in Loop: Header=BB22_132 Depth=1
	s_waitcnt vmcnt(0)
	v_lshl_add_u64 v[122:123], v[190:191], 0, v[174:175]
	v_lshl_add_u64 v[126:127], v[182:183], 0, v[174:175]
	global_load_dwordx4 v[114:117], v[130:131], off
	s_or_b64 s[0:1], s[0:1], exec
	global_load_dwordx4 v[122:125], v[122:123], off
                                        ; implicit-def: $sgpr16_sgpr17
	s_nop 0
	global_load_dwordx4 v[126:129], v[126:127], off offset:-8
.LBB22_178:                             ;   in Loop: Header=BB22_132 Depth=1
	v_mov_b64_e32 v[130:131], s[16:17]
	v_mov_b64_e32 v[132:133], s[16:17]
	s_and_saveexec_b64 s[16:17], s[0:1]
	s_cbranch_execz .LBB22_180
; %bb.179:                              ;   in Loop: Header=BB22_132 Depth=1
	v_lshl_add_u64 v[130:131], v[178:179], 0, v[174:175]
	global_load_dwordx4 v[130:133], v[130:131], off
.LBB22_180:                             ;   in Loop: Header=BB22_132 Depth=1
	s_or_b64 exec, exec, s[16:17]
	v_add_f64 v[146:147], v[146:147], 0
	v_add_f64 v[148:149], v[148:149], 0
	;; [unrolled: 1-line block ×6, first 2 shown]
	ds_read_b128 v[142:145], v218
	v_add_f64 v[162:163], v[162:163], 0
	v_add_f64 v[98:99], v[98:99], 0
	;; [unrolled: 1-line block ×11, first 2 shown]
	ds_read_b128 v[86:89], v225 offset:768
	s_waitcnt vmcnt(0) lgkmcnt(1)
	v_mul_f64 v[94:95], v[116:117], v[144:145]
	v_mul_f64 v[96:97], v[116:117], v[142:143]
	v_fmac_f64_e32 v[94:95], v[114:115], v[142:143]
	v_fma_f64 v[96:97], v[114:115], v[144:145], -v[96:97]
	v_mul_f64 v[98:99], v[124:125], v[144:145]
	v_mul_f64 v[100:101], v[124:125], v[142:143]
	v_add_f64 v[138:139], v[138:139], v[134:135]
	v_add_f64 v[140:141], v[140:141], v[136:137]
	ds_write_b128 v226, v[94:97]
	v_fmac_f64_e32 v[98:99], v[122:123], v[142:143]
	v_fma_f64 v[100:101], v[122:123], v[144:145], -v[100:101]
	v_mul_f64 v[134:135], v[128:129], v[144:145]
	v_mul_f64 v[136:137], v[128:129], v[142:143]
	;; [unrolled: 1-line block ×3, first 2 shown]
	ds_read_b128 v[94:97], v225 offset:784
	ds_write_b128 v226, v[98:101] offset:1072
	v_fmac_f64_e32 v[134:135], v[126:127], v[142:143]
	v_fma_f64 v[136:137], v[126:127], v[144:145], -v[136:137]
	v_fmac_f64_e32 v[146:147], v[130:131], v[142:143]
	v_mul_f64 v[142:143], v[132:133], v[142:143]
	ds_read_b128 v[98:101], v225 offset:800
	ds_write_b128 v226, v[134:137] offset:2144
	v_fma_f64 v[148:149], v[130:131], v[144:145], -v[142:143]
	v_add_f64 v[164:165], v[164:165], 0
	ds_read_b128 v[134:137], v225 offset:816
	ds_write_b128 v226, v[146:149] offset:3216
	s_waitcnt lgkmcnt(0)
	s_barrier
	ds_read_b128 v[142:145], v221
	v_add_f64 v[160:161], v[164:165], v[160:161]
	v_add_f64 v[156:157], v[160:161], v[156:157]
	;; [unrolled: 1-line block ×4, first 2 shown]
	ds_read_b128 v[146:149], v221 offset:16
	ds_read_b128 v[154:157], v221 offset:32
	;; [unrolled: 1-line block ×3, first 2 shown]
	s_waitcnt lgkmcnt(3)
	v_add_f64 v[142:143], v[142:143], 0
	v_add_f64 v[144:145], v[144:145], 0
	v_cmp_gt_i32_e32 vcc, s26, v168
	s_waitcnt lgkmcnt(2)
	v_add_f64 v[142:143], v[142:143], v[146:147]
	v_add_f64 v[144:145], v[144:145], v[148:149]
	s_or_b64 s[0:1], s[14:15], vcc
	s_waitcnt lgkmcnt(1)
	v_add_f64 v[142:143], v[142:143], v[154:155]
	v_add_f64 v[144:145], v[144:145], v[156:157]
	s_and_b64 s[14:15], s[6:7], s[0:1]
	s_waitcnt lgkmcnt(0)
	v_add_f64 v[142:143], v[142:143], v[158:159]
	v_add_f64 v[144:145], v[144:145], v[160:161]
	s_barrier
	ds_write_b128 v239, v[82:85]
	ds_write_b128 v239, v[138:141] offset:256
	ds_write_b128 v239, v[150:153] offset:512
	;; [unrolled: 1-line block ×3, first 2 shown]
	s_waitcnt lgkmcnt(0)
	s_barrier
	s_and_saveexec_b64 s[0:1], s[14:15]
	s_cbranch_execz .LBB22_182
; %bb.181:                              ;   in Loop: Header=BB22_132 Depth=1
	ds_read_b128 v[82:85], v219
	ds_read_b128 v[138:141], v219 offset:16
	ds_read_b128 v[142:145], v219 offset:32
	;; [unrolled: 1-line block ×3, first 2 shown]
	v_ashrrev_i32_e32 v173, 31, v172
	s_waitcnt lgkmcnt(2)
	v_add_f64 v[82:83], v[138:139], v[82:83]
	v_add_f64 v[138:139], v[140:141], v[84:85]
	s_waitcnt lgkmcnt(1)
	v_add_f64 v[140:141], v[82:83], v[142:143]
	ds_read_b128 v[82:85], v219 offset:64
	v_add_f64 v[142:143], v[138:139], v[144:145]
	s_waitcnt lgkmcnt(1)
	v_add_f64 v[144:145], v[140:141], v[146:147]
	ds_read_b128 v[138:141], v219 offset:80
	;; [unrolled: 4-line block ×9, first 2 shown]
	v_add_f64 v[84:85], v[146:147], v[84:85]
	s_waitcnt lgkmcnt(1)
	v_add_f64 v[138:139], v[82:83], v[138:139]
	v_add_f64 v[146:147], v[84:85], v[140:141]
	ds_read_b128 v[82:85], v219 offset:208
	s_waitcnt lgkmcnt(1)
	v_add_f64 v[148:149], v[138:139], v[142:143]
	ds_read_b128 v[138:141], v219 offset:224
	v_add_f64 v[146:147], v[146:147], v[144:145]
	ds_read_b128 v[142:145], v220
	s_waitcnt lgkmcnt(2)
	v_add_f64 v[82:83], v[148:149], v[82:83]
	v_add_f64 v[84:85], v[146:147], v[84:85]
	s_waitcnt lgkmcnt(1)
	v_add_f64 v[82:83], v[82:83], v[138:139]
	v_add_f64 v[84:85], v[84:85], v[140:141]
	;; [unrolled: 3-line block ×3, first 2 shown]
	v_lshl_add_u64 v[138:139], v[172:173], 4, s[8:9]
	global_store_dwordx4 v[138:139], v[82:85], off
.LBB22_182:                             ;   in Loop: Header=BB22_132 Depth=1
	s_or_b64 exec, exec, s[0:1]
	s_nop 0
	v_mul_f64 v[82:83], v[8:9], v[24:25]
	v_fma_f64 v[82:83], v[6:7], v[22:23], -v[82:83]
	v_mul_f64 v[6:7], v[6:7], v[24:25]
	v_mul_f64 v[24:25], v[12:13], v[28:29]
	v_add_f64 v[0:1], v[0:1], v[82:83]
	v_fma_f64 v[24:25], v[10:11], v[26:27], -v[24:25]
	v_add_f64 v[0:1], v[0:1], v[24:25]
	v_mul_f64 v[24:25], v[16:17], v[32:33]
	v_fma_f64 v[24:25], v[14:15], v[30:31], -v[24:25]
	v_add_f64 v[0:1], v[0:1], v[24:25]
	v_mul_f64 v[24:25], v[20:21], v[40:41]
	v_fmac_f64_e32 v[6:7], v[8:9], v[22:23]
	v_fma_f64 v[24:25], v[18:19], v[38:39], -v[24:25]
	v_add_f64 v[2:3], v[2:3], v[6:7]
	v_mul_f64 v[6:7], v[36:37], v[56:57]
	v_add_f64 v[0:1], v[0:1], v[24:25]
	v_fma_f64 v[6:7], v[34:35], v[54:55], -v[6:7]
	v_add_f64 v[0:1], v[0:1], v[6:7]
	v_mul_f64 v[6:7], v[44:45], v[60:61]
	v_fma_f64 v[6:7], v[42:43], v[58:59], -v[6:7]
	v_add_f64 v[0:1], v[0:1], v[6:7]
	v_mul_f64 v[6:7], v[48:49], v[64:65]
	;; [unrolled: 3-line block ×3, first 2 shown]
	v_fma_f64 v[6:7], v[50:51], v[74:75], -v[6:7]
	v_mul_f64 v[10:11], v[10:11], v[28:29]
	v_add_f64 v[0:1], v[0:1], v[6:7]
	v_mul_f64 v[6:7], v[68:69], v[104:105]
	v_mul_f64 v[14:15], v[14:15], v[32:33]
	v_fmac_f64_e32 v[10:11], v[12:13], v[26:27]
	v_fma_f64 v[6:7], v[66:67], v[102:103], -v[6:7]
	v_mul_f64 v[18:19], v[18:19], v[40:41]
	v_add_f64 v[2:3], v[2:3], v[10:11]
	v_fmac_f64_e32 v[14:15], v[16:17], v[30:31]
	v_add_f64 v[0:1], v[0:1], v[6:7]
	v_mul_f64 v[6:7], v[72:73], v[108:109]
	v_add_f64 v[2:3], v[2:3], v[14:15]
	v_fmac_f64_e32 v[18:19], v[20:21], v[38:39]
	v_mul_f64 v[8:9], v[34:35], v[56:57]
	v_fma_f64 v[6:7], v[70:71], v[106:107], -v[6:7]
	v_add_f64 v[2:3], v[2:3], v[18:19]
	v_mul_f64 v[10:11], v[42:43], v[60:61]
	v_fmac_f64_e32 v[8:9], v[36:37], v[54:55]
	v_add_f64 v[0:1], v[0:1], v[6:7]
	v_mul_f64 v[6:7], v[80:81], v[112:113]
	v_mul_f64 v[12:13], v[46:47], v[64:65]
	v_add_f64 v[2:3], v[2:3], v[8:9]
	v_fmac_f64_e32 v[10:11], v[44:45], v[58:59]
	v_fma_f64 v[6:7], v[78:79], v[110:111], -v[6:7]
	v_mul_f64 v[14:15], v[50:51], v[76:77]
	v_add_f64 v[2:3], v[2:3], v[10:11]
	v_fmac_f64_e32 v[12:13], v[48:49], v[62:63]
	v_add_f64 v[0:1], v[0:1], v[6:7]
	v_mul_f64 v[6:7], v[92:93], v[120:121]
	v_add_f64 v[2:3], v[2:3], v[12:13]
	v_fmac_f64_e32 v[14:15], v[52:53], v[74:75]
	v_mul_f64 v[8:9], v[66:67], v[104:105]
	v_fma_f64 v[6:7], v[90:91], v[118:119], -v[6:7]
	v_add_f64 v[2:3], v[2:3], v[14:15]
	v_mul_f64 v[10:11], v[70:71], v[108:109]
	v_add_f64 v[0:1], v[0:1], v[6:7]
	v_fmac_f64_e32 v[8:9], v[68:69], v[102:103]
	v_mul_f64 v[6:7], v[116:117], v[88:89]
	v_mul_f64 v[12:13], v[78:79], v[112:113]
	v_add_f64 v[2:3], v[2:3], v[8:9]
	v_fmac_f64_e32 v[10:11], v[72:73], v[106:107]
	v_fma_f64 v[6:7], v[114:115], v[86:87], -v[6:7]
	v_mul_f64 v[14:15], v[90:91], v[120:121]
	v_add_f64 v[2:3], v[2:3], v[10:11]
	v_fmac_f64_e32 v[12:13], v[80:81], v[110:111]
	v_add_f64 v[0:1], v[0:1], v[6:7]
	v_mul_f64 v[6:7], v[124:125], v[96:97]
	v_add_f64 v[2:3], v[2:3], v[12:13]
	v_fmac_f64_e32 v[14:15], v[92:93], v[118:119]
	v_mul_f64 v[8:9], v[114:115], v[88:89]
	v_fma_f64 v[6:7], v[122:123], v[94:95], -v[6:7]
	v_add_f64 v[2:3], v[2:3], v[14:15]
	v_mul_f64 v[10:11], v[122:123], v[96:97]
	v_add_f64 v[0:1], v[0:1], v[6:7]
	v_mul_f64 v[6:7], v[128:129], v[100:101]
	v_fmac_f64_e32 v[8:9], v[116:117], v[86:87]
	v_fma_f64 v[6:7], v[126:127], v[98:99], -v[6:7]
	v_mul_f64 v[12:13], v[126:127], v[100:101]
	v_fmac_f64_e32 v[10:11], v[124:125], v[94:95]
	v_add_f64 v[2:3], v[2:3], v[8:9]
	v_add_f64 v[0:1], v[0:1], v[6:7]
	v_mul_f64 v[6:7], v[132:133], v[136:137]
	v_mul_f64 v[14:15], v[130:131], v[136:137]
	v_fmac_f64_e32 v[12:13], v[128:129], v[98:99]
	v_add_f64 v[2:3], v[2:3], v[10:11]
	v_fma_f64 v[6:7], v[130:131], v[134:135], -v[6:7]
	v_fmac_f64_e32 v[14:15], v[132:133], v[134:135]
	v_add_f64 v[2:3], v[2:3], v[12:13]
	s_add_i32 s0, s2, 1
	s_add_i32 s10, s10, s19
	;; [unrolled: 1-line block ×3, first 2 shown]
	v_add_f64 v[0:1], v[0:1], v[6:7]
	v_add_f64 v[2:3], v[2:3], v[14:15]
	v_add_u32_e32 v172, 64, v172
	v_lshl_add_u64 v[176:177], v[176:177], 0, s[12:13]
	v_lshl_add_u64 v[178:179], v[178:179], 0, s[12:13]
	;; [unrolled: 1-line block ×19, first 2 shown]
	s_cmp_ge_u32 s1, s30
	v_lshl_add_u64 v[214:215], v[214:215], 0, s[12:13]
	s_barrier
	s_cbranch_scc1 .LBB22_184
; %bb.183:                              ;   in Loop: Header=BB22_132 Depth=1
	s_mov_b32 s2, s0
	s_cmp_eq_u32 s3, s2
	s_cselect_b32 s26, s31, 0
	s_and_saveexec_b64 s[0:1], s[4:5]
	s_cbranch_execnz .LBB22_128
	s_branch .LBB22_132
.LBB22_184:
	s_movk_i32 s0, 0x430
	v_cmp_gt_i32_e32 vcc, s18, v168
	v_mad_u32_u24 v4, v167, s0, v169
	s_or_b64 s[0:1], s[20:21], vcc
	s_and_b64 s[0:1], s[4:5], s[0:1]
	ds_write_b128 v4, v[0:3]
	s_waitcnt lgkmcnt(0)
	s_barrier
	s_and_saveexec_b64 s[2:3], s[0:1]
	s_cbranch_execz .LBB22_186
; %bb.185:
	ds_read_b128 v[0:3], v169 offset:1072
	ds_read_b128 v[4:7], v169
	ds_read_b128 v[8:11], v169 offset:2144
	ds_read_b128 v[12:15], v169 offset:3216
	v_ashrrev_i32_e32 v167, 31, v166
	s_waitcnt lgkmcnt(2)
	v_add_f64 v[0:1], v[0:1], v[4:5]
	v_add_f64 v[2:3], v[2:3], v[6:7]
	s_waitcnt lgkmcnt(1)
	v_add_f64 v[0:1], v[0:1], v[8:9]
	v_add_f64 v[2:3], v[2:3], v[10:11]
	;; [unrolled: 3-line block ×3, first 2 shown]
	v_lshl_add_u64 v[4:5], v[166:167], 4, s[8:9]
	global_store_dwordx4 v[4:5], v[0:3], off
.LBB22_186:
	s_endpgm
	.section	.rodata,"a",@progbits
	.p2align	6, 0x0
	.amdhsa_kernel _ZL26rocblas_hemvn_kernel_upperILb1ELi64ELi4ELi33ELi32ELi16Ei19rocblas_complex_numIdEPKS1_PS1_EviT6_lT7_lT5_lS6_lS7_lS5_lT8_i
		.amdhsa_group_segment_fixed_size 19200
		.amdhsa_private_segment_fixed_size 0
		.amdhsa_kernarg_size 392
		.amdhsa_user_sgpr_count 2
		.amdhsa_user_sgpr_dispatch_ptr 0
		.amdhsa_user_sgpr_queue_ptr 0
		.amdhsa_user_sgpr_kernarg_segment_ptr 1
		.amdhsa_user_sgpr_dispatch_id 0
		.amdhsa_user_sgpr_kernarg_preload_length 0
		.amdhsa_user_sgpr_kernarg_preload_offset 0
		.amdhsa_user_sgpr_private_segment_size 0
		.amdhsa_uses_dynamic_stack 0
		.amdhsa_enable_private_segment 0
		.amdhsa_system_sgpr_workgroup_id_x 1
		.amdhsa_system_sgpr_workgroup_id_y 0
		.amdhsa_system_sgpr_workgroup_id_z 1
		.amdhsa_system_sgpr_workgroup_info 0
		.amdhsa_system_vgpr_workitem_id 1
		.amdhsa_next_free_vgpr 240
		.amdhsa_next_free_sgpr 40
		.amdhsa_accum_offset 240
		.amdhsa_reserve_vcc 1
		.amdhsa_float_round_mode_32 0
		.amdhsa_float_round_mode_16_64 0
		.amdhsa_float_denorm_mode_32 3
		.amdhsa_float_denorm_mode_16_64 3
		.amdhsa_dx10_clamp 1
		.amdhsa_ieee_mode 1
		.amdhsa_fp16_overflow 0
		.amdhsa_tg_split 0
		.amdhsa_exception_fp_ieee_invalid_op 0
		.amdhsa_exception_fp_denorm_src 0
		.amdhsa_exception_fp_ieee_div_zero 0
		.amdhsa_exception_fp_ieee_overflow 0
		.amdhsa_exception_fp_ieee_underflow 0
		.amdhsa_exception_fp_ieee_inexact 0
		.amdhsa_exception_int_div_zero 0
	.end_amdhsa_kernel
	.section	.text._ZL26rocblas_hemvn_kernel_upperILb1ELi64ELi4ELi33ELi32ELi16Ei19rocblas_complex_numIdEPKS1_PS1_EviT6_lT7_lT5_lS6_lS7_lS5_lT8_i,"axG",@progbits,_ZL26rocblas_hemvn_kernel_upperILb1ELi64ELi4ELi33ELi32ELi16Ei19rocblas_complex_numIdEPKS1_PS1_EviT6_lT7_lT5_lS6_lS7_lS5_lT8_i,comdat
.Lfunc_end22:
	.size	_ZL26rocblas_hemvn_kernel_upperILb1ELi64ELi4ELi33ELi32ELi16Ei19rocblas_complex_numIdEPKS1_PS1_EviT6_lT7_lT5_lS6_lS7_lS5_lT8_i, .Lfunc_end22-_ZL26rocblas_hemvn_kernel_upperILb1ELi64ELi4ELi33ELi32ELi16Ei19rocblas_complex_numIdEPKS1_PS1_EviT6_lT7_lT5_lS6_lS7_lS5_lT8_i
                                        ; -- End function
	.section	.AMDGPU.csdata,"",@progbits
; Kernel info:
; codeLenInByte = 10828
; NumSgprs: 46
; NumVgprs: 240
; NumAgprs: 0
; TotalNumVgprs: 240
; ScratchSize: 0
; MemoryBound: 1
; FloatMode: 240
; IeeeMode: 1
; LDSByteSize: 19200 bytes/workgroup (compile time only)
; SGPRBlocks: 5
; VGPRBlocks: 29
; NumSGPRsForWavesPerEU: 46
; NumVGPRsForWavesPerEU: 240
; AccumOffset: 240
; Occupancy: 2
; WaveLimiterHint : 1
; COMPUTE_PGM_RSRC2:SCRATCH_EN: 0
; COMPUTE_PGM_RSRC2:USER_SGPR: 2
; COMPUTE_PGM_RSRC2:TRAP_HANDLER: 0
; COMPUTE_PGM_RSRC2:TGID_X_EN: 1
; COMPUTE_PGM_RSRC2:TGID_Y_EN: 0
; COMPUTE_PGM_RSRC2:TGID_Z_EN: 1
; COMPUTE_PGM_RSRC2:TIDIG_COMP_CNT: 1
; COMPUTE_PGM_RSRC3_GFX90A:ACCUM_OFFSET: 59
; COMPUTE_PGM_RSRC3_GFX90A:TG_SPLIT: 0
	.section	.text._ZL36rocblas_hemvn_kernel_upper_block_sumILi64Ei19rocblas_complex_numIdEPS1_S1_EviT1_lS3_lT2_lT0_lPT3_i,"axG",@progbits,_ZL36rocblas_hemvn_kernel_upper_block_sumILi64Ei19rocblas_complex_numIdEPS1_S1_EviT1_lS3_lT2_lT0_lPT3_i,comdat
	.globl	_ZL36rocblas_hemvn_kernel_upper_block_sumILi64Ei19rocblas_complex_numIdEPS1_S1_EviT1_lS3_lT2_lT0_lPT3_i ; -- Begin function _ZL36rocblas_hemvn_kernel_upper_block_sumILi64Ei19rocblas_complex_numIdEPS1_S1_EviT1_lS3_lT2_lT0_lPT3_i
	.p2align	8
	.type	_ZL36rocblas_hemvn_kernel_upper_block_sumILi64Ei19rocblas_complex_numIdEPS1_S1_EviT1_lS3_lT2_lT0_lPT3_i,@function
_ZL36rocblas_hemvn_kernel_upper_block_sumILi64Ei19rocblas_complex_numIdEPS1_S1_EviT1_lS3_lT2_lT0_lPT3_i: ; @_ZL36rocblas_hemvn_kernel_upper_block_sumILi64Ei19rocblas_complex_numIdEPS1_S1_EviT1_lS3_lT2_lT0_lPT3_i
; %bb.0:
	s_load_dwordx4 s[12:15], s[0:1], 0x8
	s_load_dwordx4 s[8:11], s[0:1], 0x20
	s_waitcnt lgkmcnt(0)
	v_cmp_neq_f64_e64 s[4:5], s[12:13], 0
	v_cmp_neq_f64_e64 s[6:7], s[14:15], 0
	s_or_b64 s[16:17], s[4:5], s[6:7]
	s_mov_b64 s[4:5], -1
	s_and_b64 vcc, exec, s[16:17]
	s_cbranch_vccnz .LBB23_2
; %bb.1:
	v_cmp_neq_f64_e64 s[4:5], s[8:9], 1.0
	v_cmp_neq_f64_e64 s[6:7], s[10:11], 0
	s_or_b64 s[4:5], s[4:5], s[6:7]
.LBB23_2:
	s_andn2_b64 vcc, exec, s[4:5]
	s_cbranch_vccnz .LBB23_22
; %bb.3:
	s_load_dwordx4 s[4:7], s[0:1], 0x50
	s_load_dword s26, s[0:1], 0x48
	s_load_dwordx4 s[28:31], s[0:1], 0x38
	s_load_dword s20, s[0:1], 0x0
	v_lshl_or_b32 v4, s2, 6, v0
	s_waitcnt lgkmcnt(0)
	s_mul_i32 s5, s3, s5
	s_mul_hi_u32 s18, s3, s4
	s_add_i32 s5, s18, s5
	s_mul_i32 s4, s3, s4
	s_lshl_b64 s[4:5], s[4:5], 4
	s_xor_b64 s[18:19], s[16:17], -1
	s_add_u32 s16, s28, s4
	s_addc_u32 s17, s29, s5
	s_lshl_b64 s[4:5], s[30:31], 4
	s_add_u32 s16, s16, s4
	s_addc_u32 s17, s17, s5
	s_andn2_b64 vcc, exec, s[18:19]
	v_cmp_gt_i32_e64 s[4:5], s20, v4
	s_cbranch_vccnz .LBB23_8
; %bb.4:
	s_mov_b64 s[22:23], 0
	s_mov_b64 s[18:19], 0
                                        ; implicit-def: $vgpr2_vgpr3
                                        ; implicit-def: $vgpr6_vgpr7
	s_and_saveexec_b64 s[24:25], s[4:5]
	s_cbranch_execz .LBB23_9
; %bb.5:
	v_cmp_neq_f64_e64 s[4:5], s[8:9], 0
	v_cmp_neq_f64_e64 s[18:19], s[10:11], 0
	v_mov_b64_e32 v[2:3], 0
	v_mul_lo_u32 v6, v4, s26
	s_or_b64 s[4:5], s[4:5], s[18:19]
	v_ashrrev_i32_e32 v7, 31, v6
	s_andn2_b64 vcc, exec, s[4:5]
	v_mov_b64_e32 v[0:1], v[2:3]
	s_cbranch_vccnz .LBB23_7
; %bb.6:
	v_lshl_add_u64 v[0:1], v[6:7], 4, s[16:17]
	global_load_dwordx4 v[8:11], v[0:1], off
	s_waitcnt vmcnt(0)
	v_mul_f64 v[0:1], s[10:11], v[10:11]
	v_mul_f64 v[2:3], s[8:9], v[10:11]
	v_fma_f64 v[0:1], s[8:9], v[8:9], -v[0:1]
	v_fmac_f64_e32 v[2:3], s[10:11], v[8:9]
.LBB23_7:
	s_mov_b64 s[18:19], exec
	s_or_b64 exec, exec, s[24:25]
	s_and_b64 vcc, exec, s[22:23]
	s_cbranch_vccnz .LBB23_10
	s_branch .LBB23_20
.LBB23_8:
	s_mov_b64 s[18:19], 0
                                        ; implicit-def: $vgpr2_vgpr3
                                        ; implicit-def: $vgpr6_vgpr7
	s_cbranch_execnz .LBB23_10
	s_branch .LBB23_20
.LBB23_9:
	s_or_b64 exec, exec, s[24:25]
	s_and_b64 vcc, exec, s[22:23]
	s_cbranch_vccz .LBB23_20
.LBB23_10:
	v_cmp_gt_i32_e32 vcc, s20, v4
                                        ; implicit-def: $vgpr2_vgpr3
                                        ; implicit-def: $vgpr6_vgpr7
	s_and_saveexec_b64 s[4:5], vcc
	s_cbranch_execz .LBB23_19
; %bb.11:
	v_mov_b64_e32 v[0:1], 0
	s_cmp_lt_i32 s2, 0
	v_mov_b64_e32 v[8:9], v[0:1]
	s_cbranch_scc1 .LBB23_14
; %bb.12:
	s_load_dword s0, s[0:1], 0x68
	s_ashr_i32 s21, s20, 31
	s_mul_hi_u32 s1, s20, s3
	s_mul_i32 s22, s21, s3
	s_add_i32 s1, s1, s22
	s_mul_i32 s3, s20, s3
	s_waitcnt lgkmcnt(0)
	s_mul_i32 s1, s1, s0
	s_mul_hi_u32 s22, s3, s0
	s_add_i32 s1, s22, s1
	s_mul_i32 s0, s3, s0
	s_add_i32 s2, s2, 1
	s_lshl_b64 s[0:1], s[0:1], 4
	s_add_u32 s0, s6, s0
	v_mov_b32_e32 v5, 0
	s_addc_u32 s1, s7, s1
	v_lshl_add_u64 v[0:1], v[4:5], 4, s[0:1]
	v_lshl_add_u64 v[2:3], v[0:1], 0, 8
	v_mov_b64_e32 v[0:1], 0
	s_lshl_b64 s[0:1], s[20:21], 4
	v_mov_b64_e32 v[8:9], v[0:1]
.LBB23_13:                              ; =>This Inner Loop Header: Depth=1
	global_load_dwordx4 v[10:13], v[2:3], off offset:-8
	s_add_i32 s2, s2, -1
	v_lshl_add_u64 v[2:3], v[2:3], 0, s[0:1]
	s_cmp_eq_u32 s2, 0
	s_waitcnt vmcnt(0)
	v_add_f64 v[8:9], v[8:9], v[10:11]
	v_add_f64 v[0:1], v[0:1], v[12:13]
	s_cbranch_scc0 .LBB23_13
.LBB23_14:
	v_cmp_neq_f64_e64 s[2:3], s[8:9], 0
	v_cmp_neq_f64_e64 s[6:7], s[10:11], 0
	s_or_b64 s[2:3], s[2:3], s[6:7]
	v_mul_f64 v[10:11], s[14:15], v[0:1]
	v_mul_f64 v[2:3], s[12:13], v[0:1]
	v_mul_lo_u32 v6, v4, s26
	s_mov_b64 s[0:1], 0
	s_andn2_b64 vcc, exec, s[2:3]
	v_fma_f64 v[0:1], s[12:13], v[8:9], -v[10:11]
	v_fmac_f64_e32 v[2:3], s[14:15], v[8:9]
	v_ashrrev_i32_e32 v7, 31, v6
	s_cbranch_vccnz .LBB23_16
; %bb.15:
	s_mov_b64 s[0:1], -1
.LBB23_16:
	s_andn2_b64 vcc, exec, s[0:1]
	s_cbranch_vccnz .LBB23_18
; %bb.17:
	v_lshl_add_u64 v[4:5], v[6:7], 4, s[16:17]
	global_load_dwordx4 v[8:11], v[4:5], off
	s_waitcnt vmcnt(0)
	v_mul_f64 v[4:5], s[10:11], v[10:11]
	v_mul_f64 v[10:11], s[8:9], v[10:11]
	v_fma_f64 v[4:5], s[8:9], v[8:9], -v[4:5]
	v_fmac_f64_e32 v[10:11], s[10:11], v[8:9]
	v_add_f64 v[0:1], v[0:1], v[4:5]
	v_add_f64 v[2:3], v[2:3], v[10:11]
.LBB23_18:
	s_or_b64 s[18:19], s[18:19], exec
.LBB23_19:
	s_or_b64 exec, exec, s[4:5]
.LBB23_20:
	s_and_saveexec_b64 s[0:1], s[18:19]
	s_cbranch_execz .LBB23_22
; %bb.21:
	v_lshl_add_u64 v[4:5], v[6:7], 4, s[16:17]
	global_store_dwordx4 v[4:5], v[0:3], off
.LBB23_22:
	s_endpgm
	.section	.rodata,"a",@progbits
	.p2align	6, 0x0
	.amdhsa_kernel _ZL36rocblas_hemvn_kernel_upper_block_sumILi64Ei19rocblas_complex_numIdEPS1_S1_EviT1_lS3_lT2_lT0_lPT3_i
		.amdhsa_group_segment_fixed_size 0
		.amdhsa_private_segment_fixed_size 0
		.amdhsa_kernarg_size 360
		.amdhsa_user_sgpr_count 2
		.amdhsa_user_sgpr_dispatch_ptr 0
		.amdhsa_user_sgpr_queue_ptr 0
		.amdhsa_user_sgpr_kernarg_segment_ptr 1
		.amdhsa_user_sgpr_dispatch_id 0
		.amdhsa_user_sgpr_kernarg_preload_length 0
		.amdhsa_user_sgpr_kernarg_preload_offset 0
		.amdhsa_user_sgpr_private_segment_size 0
		.amdhsa_uses_dynamic_stack 0
		.amdhsa_enable_private_segment 0
		.amdhsa_system_sgpr_workgroup_id_x 1
		.amdhsa_system_sgpr_workgroup_id_y 0
		.amdhsa_system_sgpr_workgroup_id_z 1
		.amdhsa_system_sgpr_workgroup_info 0
		.amdhsa_system_vgpr_workitem_id 0
		.amdhsa_next_free_vgpr 14
		.amdhsa_next_free_sgpr 32
		.amdhsa_accum_offset 16
		.amdhsa_reserve_vcc 1
		.amdhsa_float_round_mode_32 0
		.amdhsa_float_round_mode_16_64 0
		.amdhsa_float_denorm_mode_32 3
		.amdhsa_float_denorm_mode_16_64 3
		.amdhsa_dx10_clamp 1
		.amdhsa_ieee_mode 1
		.amdhsa_fp16_overflow 0
		.amdhsa_tg_split 0
		.amdhsa_exception_fp_ieee_invalid_op 0
		.amdhsa_exception_fp_denorm_src 0
		.amdhsa_exception_fp_ieee_div_zero 0
		.amdhsa_exception_fp_ieee_overflow 0
		.amdhsa_exception_fp_ieee_underflow 0
		.amdhsa_exception_fp_ieee_inexact 0
		.amdhsa_exception_int_div_zero 0
	.end_amdhsa_kernel
	.section	.text._ZL36rocblas_hemvn_kernel_upper_block_sumILi64Ei19rocblas_complex_numIdEPS1_S1_EviT1_lS3_lT2_lT0_lPT3_i,"axG",@progbits,_ZL36rocblas_hemvn_kernel_upper_block_sumILi64Ei19rocblas_complex_numIdEPS1_S1_EviT1_lS3_lT2_lT0_lPT3_i,comdat
.Lfunc_end23:
	.size	_ZL36rocblas_hemvn_kernel_upper_block_sumILi64Ei19rocblas_complex_numIdEPS1_S1_EviT1_lS3_lT2_lT0_lPT3_i, .Lfunc_end23-_ZL36rocblas_hemvn_kernel_upper_block_sumILi64Ei19rocblas_complex_numIdEPS1_S1_EviT1_lS3_lT2_lT0_lPT3_i
                                        ; -- End function
	.section	.AMDGPU.csdata,"",@progbits
; Kernel info:
; codeLenInByte = 696
; NumSgprs: 38
; NumVgprs: 14
; NumAgprs: 0
; TotalNumVgprs: 14
; ScratchSize: 0
; MemoryBound: 0
; FloatMode: 240
; IeeeMode: 1
; LDSByteSize: 0 bytes/workgroup (compile time only)
; SGPRBlocks: 4
; VGPRBlocks: 1
; NumSGPRsForWavesPerEU: 38
; NumVGPRsForWavesPerEU: 14
; AccumOffset: 16
; Occupancy: 8
; WaveLimiterHint : 0
; COMPUTE_PGM_RSRC2:SCRATCH_EN: 0
; COMPUTE_PGM_RSRC2:USER_SGPR: 2
; COMPUTE_PGM_RSRC2:TRAP_HANDLER: 0
; COMPUTE_PGM_RSRC2:TGID_X_EN: 1
; COMPUTE_PGM_RSRC2:TGID_Y_EN: 0
; COMPUTE_PGM_RSRC2:TGID_Z_EN: 1
; COMPUTE_PGM_RSRC2:TIDIG_COMP_CNT: 0
; COMPUTE_PGM_RSRC3_GFX90A:ACCUM_OFFSET: 3
; COMPUTE_PGM_RSRC3_GFX90A:TG_SPLIT: 0
	.section	.text._ZL26rocblas_hemvn_kernel_lowerILb1ELi64ELi4ELi33ELi32ELi16ElPK19rocblas_complex_numIdES3_PS1_EviT6_lT7_lT5_lS6_lS7_lS5_lT8_i,"axG",@progbits,_ZL26rocblas_hemvn_kernel_lowerILb1ELi64ELi4ELi33ELi32ELi16ElPK19rocblas_complex_numIdES3_PS1_EviT6_lT7_lT5_lS6_lS7_lS5_lT8_i,comdat
	.globl	_ZL26rocblas_hemvn_kernel_lowerILb1ELi64ELi4ELi33ELi32ELi16ElPK19rocblas_complex_numIdES3_PS1_EviT6_lT7_lT5_lS6_lS7_lS5_lT8_i ; -- Begin function _ZL26rocblas_hemvn_kernel_lowerILb1ELi64ELi4ELi33ELi32ELi16ElPK19rocblas_complex_numIdES3_PS1_EviT6_lT7_lT5_lS6_lS7_lS5_lT8_i
	.p2align	8
	.type	_ZL26rocblas_hemvn_kernel_lowerILb1ELi64ELi4ELi33ELi32ELi16ElPK19rocblas_complex_numIdES3_PS1_EviT6_lT7_lT5_lS6_lS7_lS5_lT8_i,@function
_ZL26rocblas_hemvn_kernel_lowerILb1ELi64ELi4ELi33ELi32ELi16ElPK19rocblas_complex_numIdES3_PS1_EviT6_lT7_lT5_lS6_lS7_lS5_lT8_i: ; @_ZL26rocblas_hemvn_kernel_lowerILb1ELi64ELi4ELi33ELi32ELi16ElPK19rocblas_complex_numIdES3_PS1_EviT6_lT7_lT5_lS6_lS7_lS5_lT8_i
; %bb.0:
	s_load_dwordx2 s[6:7], s[0:1], 0x84
	s_add_u32 s4, s0, 0x78
	s_addc_u32 s5, s1, 0
	s_waitcnt lgkmcnt(0)
	s_lshr_b32 s8, s6, 16
	s_and_b32 s6, s6, 0xffff
	s_and_b32 s7, s7, 0xffff
	s_mul_i32 s6, s8, s6
	s_mul_i32 s6, s6, s7
	s_cmpk_lg_i32 s6, 0x100
	s_cbranch_scc1 .LBB24_135
; %bb.1:
	s_load_dwordx16 s[16:31], s[0:1], 0x8
	s_waitcnt lgkmcnt(0)
	s_mul_i32 s7, s3, s19
	s_mul_hi_u32 s8, s3, s18
	s_mul_i32 s6, s3, s18
	s_add_i32 s7, s8, s7
	s_lshl_b64 s[6:7], s[6:7], 4
	s_add_u32 s6, s16, s6
	s_addc_u32 s7, s17, s7
	s_load_dwordx4 s[8:11], s[6:7], 0x0
	s_load_dwordx2 s[34:35], s[0:1], 0x68
	s_load_dwordx8 s[36:43], s[0:1], 0x48
	s_waitcnt lgkmcnt(0)
	v_cmp_neq_f64_e64 s[6:7], s[8:9], 0
	v_cmp_neq_f64_e64 s[8:9], s[10:11], 0
	s_or_b64 s[6:7], s[6:7], s[8:9]
	s_mov_b64 s[8:9], -1
	s_and_b64 vcc, exec, s[6:7]
	s_cbranch_vccnz .LBB24_3
; %bb.2:
	s_mul_i32 s8, s3, s43
	s_mul_hi_u32 s9, s3, s42
	s_add_i32 s9, s9, s8
	s_mul_i32 s8, s3, s42
	s_lshl_b64 s[8:9], s[8:9], 4
	s_add_u32 s8, s40, s8
	s_addc_u32 s9, s41, s9
	s_load_dwordx4 s[8:11], s[8:9], 0x0
	s_waitcnt lgkmcnt(0)
	v_cmp_neq_f64_e64 s[8:9], s[8:9], 1.0
	v_cmp_neq_f64_e64 s[10:11], s[10:11], 0
	s_or_b64 s[8:9], s[8:9], s[10:11]
.LBB24_3:
	s_andn2_b64 vcc, exec, s[8:9]
	s_cbranch_vccnz .LBB24_135
; %bb.4:
	s_andn2_b64 vcc, exec, s[6:7]
	s_cbranch_vccnz .LBB24_135
; %bb.5:
	s_load_dword s40, s[4:5], 0x0
	s_load_dword s33, s[0:1], 0x0
	s_mul_i32 s0, s3, s39
	s_mul_hi_u32 s1, s3, s38
	s_add_i32 s1, s1, s0
	s_mul_i32 s0, s3, s38
	s_lshl_b64 s[0:1], s[0:1], 4
	s_add_u32 s4, s28, s0
	s_addc_u32 s5, s29, s1
	s_lshl_b64 s[0:1], s[30:31], 4
	s_add_u32 s0, s4, s0
	s_addc_u32 s1, s5, s1
	s_waitcnt lgkmcnt(0)
	s_ashr_i32 s38, s33, 31
	s_lshr_b32 s5, s38, 26
	s_add_i32 s5, s33, s5
	v_and_b32_e32 v42, 0x3ff, v0
	s_lshl_b32 s30, s2, 6
	s_andn2_b32 s5, s5, 63
	s_add_i32 s4, s40, -1
	s_sub_i32 s5, s33, s5
	v_add_u32_e32 v132, s30, v42
	s_cmp_eq_u32 s2, s4
	v_ashrrev_i32_e32 v133, 31, v132
	v_bfe_u32 v142, v0, 10, 10
	s_cselect_b32 s28, s5, 0
	v_mul_lo_u32 v2, v133, s36
	v_mul_lo_u32 v3, v132, s37
	v_mad_u64_u32 v[0:1], s[4:5], v132, s36, 0
	v_add3_u32 v1, v1, v3, v2
	v_lshl_add_u64 v[36:37], v[0:1], 4, s[0:1]
	v_cmp_ne_u32_e64 s[0:1], 0, v142
	v_cmp_eq_u32_e64 s[16:17], 0, v142
	s_and_saveexec_b64 s[4:5], s[16:17]
	s_cbranch_execz .LBB24_10
; %bb.6:
	s_cmp_lg_u32 s28, 0
	s_cselect_b64 s[6:7], -1, 0
	v_cmp_le_i32_e32 vcc, s28, v42
	v_mov_b32_e32 v0, 0x4700
	s_and_b64 s[6:7], s[6:7], vcc
	v_lshl_add_u32 v0, v42, 4, v0
	s_and_saveexec_b64 s[8:9], s[6:7]
	s_xor_b64 s[6:7], exec, s[8:9]
	s_cbranch_execz .LBB24_8
; %bb.7:
	v_mov_b32_e32 v2, 0
	v_mov_b32_e32 v3, v2
	;; [unrolled: 1-line block ×4, first 2 shown]
	ds_write_b128 v0, v[2:5]
                                        ; implicit-def: $vgpr0
.LBB24_8:
	s_andn2_saveexec_b64 s[6:7], s[6:7]
	s_cbranch_execz .LBB24_10
; %bb.9:
	global_load_dwordx4 v[2:5], v[36:37], off
	s_waitcnt vmcnt(0)
	ds_write2_b64 v0, v[2:3], v[4:5] offset1:1
.LBB24_10:
	s_or_b64 exec, exec, s[4:5]
	s_mul_i32 s4, s3, s27
	s_mul_hi_u32 s5, s3, s26
	s_add_i32 s5, s5, s4
	s_mul_i32 s4, s3, s26
	s_lshl_b64 s[4:5], s[4:5], 4
	s_add_u32 s6, s20, s4
	s_addc_u32 s7, s21, s5
	s_lshl_b64 s[4:5], s[22:23], 4
	s_add_u32 s6, s6, s4
	s_addc_u32 s7, s7, s5
	s_ashr_i32 s31, s30, 31
	v_lshl_add_u32 v43, v142, 6, v42
	s_lshl_b64 s[4:5], s[30:31], 4
	v_and_b32_e32 v4, 31, v42
	v_lshrrev_b32_e32 v12, 5, v43
	s_add_u32 s6, s6, s4
	v_mov_b32_e32 v5, 0
	s_addc_u32 s7, s7, s5
	v_mad_u64_u32 v[38:39], s[4:5], v12, s24, v[4:5]
	v_mov_b32_e32 v0, v39
	v_mad_u64_u32 v[0:1], s[4:5], v12, s25, v[0:1]
	s_mul_i32 s4, s30, s25
	s_mul_hi_u32 s5, s30, s24
	s_add_i32 s4, s5, s4
	s_mul_i32 s5, s31, s24
	s_add_i32 s5, s4, s5
	s_mul_i32 s4, s30, s24
	s_lshl_b64 s[20:21], s[4:5], 4
	s_add_u32 s4, s20, s6
	s_addc_u32 s5, s21, s7
	s_cmp_lg_u32 s28, 0
	v_mov_b32_e32 v39, v0
	s_cselect_b64 s[22:23], -1, 0
	s_cmp_eq_u32 s28, 0
	v_lshl_add_u64 v[6:7], v[38:39], 4, s[4:5]
	s_cselect_b64 s[18:19], -1, 0
	s_and_b64 vcc, exec, s[22:23]
	s_cbranch_vccnz .LBB24_12
; %bb.11:
	s_lshl_b64 s[4:5], s[24:25], 7
	v_lshl_add_u64 v[8:9], v[6:7], 0, s[4:5]
	v_mov_b32_e32 v5, 0x180
	global_load_dwordx4 v[0:3], v[8:9], off
	global_load_dwordx4 v[14:17], v[6:7], off
	v_lshl_add_u64 v[8:9], v[8:9], 0, s[4:5]
	v_mad_u64_u32 v[18:19], s[4:5], s24, v5, v[6:7]
	s_mul_i32 s4, s25, 0x180
	global_load_dwordx4 v[8:11], v[8:9], off
	v_add_u32_e32 v19, s4, v19
	global_load_dwordx4 v[18:21], v[18:19], off
	v_mul_u32_u24_e32 v5, 33, v12
	v_add_lshl_u32 v5, v5, v4, 4
	v_add_u32_e32 v13, 0x1080, v5
	v_add_u32_e32 v22, 0x2100, v5
	;; [unrolled: 1-line block ×3, first 2 shown]
	s_waitcnt vmcnt(2)
	ds_write2_b64 v5, v[14:15], v[16:17] offset1:1
	ds_write2_b64 v13, v[0:1], v[2:3] offset1:1
	s_waitcnt vmcnt(1)
	ds_write2_b64 v22, v[8:9], v[10:11] offset1:1
	s_waitcnt vmcnt(0)
	ds_write2_b64 v23, v[18:19], v[20:21] offset1:1
	s_cbranch_execz .LBB24_13
	s_branch .LBB24_30
.LBB24_12:
.LBB24_13:
	v_lshlrev_b32_e32 v0, 4, v4
	v_sub_co_u32_e32 v2, vcc, v6, v0
	s_ashr_i32 s29, s28, 31
	s_nop 0
	v_subbrev_co_u32_e32 v3, vcc, 0, v7, vcc
	v_lshl_add_u64 v[2:3], s[28:29], 4, v[2:3]
	v_lshl_add_u64 v[2:3], v[2:3], 0, -16
	v_cmp_gt_i32_e32 vcc, s28, v4
	v_mul_u32_u24_e32 v1, 33, v12
	v_cmp_le_i32_e64 s[4:5], s28, v12
	v_cndmask_b32_e32 v3, v3, v7, vcc
	v_cndmask_b32_e32 v2, v2, v6, vcc
	v_add_lshl_u32 v1, v1, v4, 4
	s_and_saveexec_b64 s[6:7], s[4:5]
	s_xor_b64 s[4:5], exec, s[6:7]
	s_cbranch_execz .LBB24_15
; %bb.14:
	v_mov_b32_e32 v8, 0
	v_mov_b32_e32 v9, v8
	;; [unrolled: 1-line block ×4, first 2 shown]
	ds_write_b128 v1, v[8:11]
.LBB24_15:
	s_andn2_saveexec_b64 s[4:5], s[4:5]
	s_cbranch_execz .LBB24_17
; %bb.16:
	global_load_dwordx4 v[8:11], v[2:3], off
	s_waitcnt vmcnt(0)
	ds_write2_b64 v1, v[8:9], v[10:11] offset1:1
.LBB24_17:
	s_or_b64 exec, exec, s[4:5]
	v_add_u32_e32 v5, 8, v12
	v_cmp_le_i32_e64 s[4:5], s28, v5
	s_and_saveexec_b64 s[6:7], s[4:5]
	s_xor_b64 s[4:5], exec, s[6:7]
	s_cbranch_execz .LBB24_19
; %bb.18:
	v_mul_u32_u24_e32 v5, 33, v5
	v_mov_b32_e32 v8, 0
	v_add_lshl_u32 v5, v5, v4, 4
	v_mov_b32_e32 v9, v8
	v_mov_b32_e32 v10, v8
	;; [unrolled: 1-line block ×3, first 2 shown]
	ds_write_b128 v5, v[8:11]
.LBB24_19:
	s_andn2_saveexec_b64 s[4:5], s[4:5]
	s_cbranch_execz .LBB24_21
; %bb.20:
	s_lshl_b64 s[6:7], s[24:25], 7
	v_lshl_add_u64 v[8:9], v[2:3], 0, s[6:7]
	global_load_dwordx4 v[8:11], v[8:9], off
	v_add_u32_e32 v5, 0x1080, v1
	s_waitcnt vmcnt(0)
	ds_write2_b64 v5, v[8:9], v[10:11] offset1:1
.LBB24_21:
	s_or_b64 exec, exec, s[4:5]
	v_add_u32_e32 v5, 16, v12
	v_cmp_le_i32_e64 s[4:5], s28, v5
	s_and_saveexec_b64 s[6:7], s[4:5]
	s_xor_b64 s[4:5], exec, s[6:7]
	s_cbranch_execz .LBB24_23
; %bb.22:
	v_mov_b32_e32 v8, 0
	v_mov_b32_e32 v9, v8
	;; [unrolled: 1-line block ×4, first 2 shown]
	ds_write_b128 v1, v[8:11] offset:8448
.LBB24_23:
	s_andn2_saveexec_b64 s[4:5], s[4:5]
	s_cbranch_execz .LBB24_25
; %bb.24:
	s_lshl_b64 s[6:7], s[24:25], 8
	v_lshl_add_u64 v[8:9], v[2:3], 0, s[6:7]
	global_load_dwordx4 v[8:11], v[8:9], off
	v_add_u32_e32 v5, 0x2100, v1
	s_waitcnt vmcnt(0)
	ds_write2_b64 v5, v[8:9], v[10:11] offset1:1
.LBB24_25:
	s_or_b64 exec, exec, s[4:5]
	v_add_u32_e32 v5, 24, v12
	v_cmp_le_i32_e64 s[4:5], s28, v5
	s_and_saveexec_b64 s[6:7], s[4:5]
	s_xor_b64 s[4:5], exec, s[6:7]
	s_cbranch_execz .LBB24_27
; %bb.26:
	v_mov_b32_e32 v8, 0
	v_mov_b32_e32 v9, v8
	;; [unrolled: 1-line block ×4, first 2 shown]
	ds_write_b128 v1, v[8:11] offset:12672
                                        ; implicit-def: $vgpr1
.LBB24_27:
	s_andn2_saveexec_b64 s[4:5], s[4:5]
	s_cbranch_execz .LBB24_29
; %bb.28:
	v_mov_b32_e32 v5, 0x180
	v_mad_u64_u32 v[8:9], s[6:7], s24, v5, v[2:3]
	s_mul_i32 s6, s25, 0x180
	s_nop 0
	v_add_u32_e32 v9, s6, v9
	global_load_dwordx4 v[8:11], v[8:9], off
	v_add_u32_e32 v1, 0x3180, v1
	s_waitcnt vmcnt(0)
	ds_write2_b64 v1, v[8:9], v[10:11] offset1:1
.LBB24_29:
	s_or_b64 exec, exec, s[4:5]
	v_mov_b32_e32 v1, 0
	v_lshl_add_u64 v[0:1], v[2:3], 0, v[0:1]
	s_lshl_b64 s[4:5], s[28:29], 4
	v_mov_b32_e32 v2, s5
	v_subrev_co_u32_e64 v0, s[4:5], s4, v0
	s_nop 1
	v_subb_co_u32_e64 v1, s[4:5], v1, v2, s[4:5]
	v_lshl_add_u64 v[0:1], v[0:1], 0, 16
	v_cndmask_b32_e32 v7, v1, v7, vcc
	v_cndmask_b32_e32 v6, v0, v6, vcc
.LBB24_30:
	v_lshlrev_b32_e32 v14, 2, v12
	v_cmp_ge_u32_e64 s[6:7], v14, v4
	s_waitcnt lgkmcnt(0)
	s_barrier
	s_and_saveexec_b64 s[4:5], s[6:7]
	s_xor_b64 s[4:5], exec, s[4:5]
	s_cbranch_execz .LBB24_34
; %bb.31:
	v_cmp_eq_u32_e32 vcc, v14, v4
	s_and_saveexec_b64 s[8:9], vcc
	s_cbranch_execz .LBB24_33
; %bb.32:
	v_mul_u32_u24_e32 v0, 34, v4
	v_lshlrev_b32_e32 v2, 4, v0
	v_mov_b32_e32 v0, 0
	v_mov_b32_e32 v1, v0
	ds_write_b64 v2, v[0:1] offset:8
.LBB24_33:
	s_or_b64 exec, exec, s[8:9]
.LBB24_34:
	s_or_saveexec_b64 s[4:5], s[4:5]
	v_mul_u32_u24_e32 v44, 33, v4
	v_add_lshl_u32 v5, v14, v44, 4
	s_xor_b64 exec, exec, s[4:5]
	s_cbranch_execz .LBB24_36
; %bb.35:
	v_mul_u32_u24_e32 v0, 0x84, v12
	v_add_lshl_u32 v0, v0, v4, 4
	ds_read_b128 v[0:3], v0
	s_waitcnt lgkmcnt(0)
	v_xor_b32_e32 v3, 0x80000000, v3
	ds_write_b128 v5, v[0:3]
.LBB24_36:
	s_or_b64 exec, exec, s[4:5]
	v_or_b32_e32 v15, 1, v14
	v_cmp_ge_u32_e64 s[8:9], v15, v4
	s_and_saveexec_b64 s[4:5], s[8:9]
	s_xor_b64 s[4:5], exec, s[4:5]
	s_cbranch_execz .LBB24_40
; %bb.37:
	v_cmp_eq_u32_e32 vcc, v15, v4
	s_and_saveexec_b64 s[10:11], vcc
	s_cbranch_execz .LBB24_39
; %bb.38:
	v_mul_u32_u24_e32 v0, 34, v4
	v_lshlrev_b32_e32 v2, 4, v0
	v_mov_b32_e32 v0, 0
	v_mov_b32_e32 v1, v0
	ds_write_b64 v2, v[0:1] offset:8
.LBB24_39:
	s_or_b64 exec, exec, s[10:11]
.LBB24_40:
	s_or_saveexec_b64 s[4:5], s[4:5]
	v_mul_u32_u24_e32 v0, 33, v15
	s_xor_b64 exec, exec, s[4:5]
	s_cbranch_execz .LBB24_42
; %bb.41:
	v_add_lshl_u32 v1, v0, v4, 4
	ds_read_b128 v[8:11], v1
	s_waitcnt lgkmcnt(0)
	v_xor_b32_e32 v11, 0x80000000, v11
	ds_write_b128 v5, v[8:11] offset:16
.LBB24_42:
	s_or_b64 exec, exec, s[4:5]
	v_or_b32_e32 v16, 2, v14
	v_cmp_ge_u32_e64 s[10:11], v16, v4
	s_and_saveexec_b64 s[4:5], s[10:11]
	s_xor_b64 s[4:5], exec, s[4:5]
	s_cbranch_execz .LBB24_46
; %bb.43:
	v_cmp_eq_u32_e32 vcc, v16, v4
	s_and_saveexec_b64 s[12:13], vcc
	s_cbranch_execz .LBB24_45
; %bb.44:
	v_mul_u32_u24_e32 v1, 34, v4
	v_mov_b32_e32 v2, 0
	v_lshlrev_b32_e32 v1, 4, v1
	v_mov_b32_e32 v3, v2
	ds_write_b64 v1, v[2:3] offset:8
.LBB24_45:
	s_or_b64 exec, exec, s[12:13]
.LBB24_46:
	s_andn2_saveexec_b64 s[4:5], s[4:5]
	s_cbranch_execz .LBB24_48
; %bb.47:
	v_mul_u32_u24_e32 v1, 33, v16
	v_add_lshl_u32 v1, v1, v4, 4
	ds_read_b128 v[8:11], v1
	s_waitcnt lgkmcnt(0)
	v_xor_b32_e32 v11, 0x80000000, v11
	ds_write_b128 v5, v[8:11] offset:32
.LBB24_48:
	s_or_b64 exec, exec, s[4:5]
	v_or_b32_e32 v17, 3, v14
	v_cmp_ge_u32_e64 s[12:13], v17, v4
	s_and_saveexec_b64 s[4:5], s[12:13]
	s_xor_b64 s[4:5], exec, s[4:5]
	s_cbranch_execz .LBB24_52
; %bb.49:
	v_cmp_eq_u32_e32 vcc, v17, v4
	s_and_saveexec_b64 s[14:15], vcc
	s_cbranch_execz .LBB24_51
; %bb.50:
	v_mul_u32_u24_e32 v1, 34, v4
	v_mov_b32_e32 v2, 0
	v_lshlrev_b32_e32 v1, 4, v1
	v_mov_b32_e32 v3, v2
	ds_write_b64 v1, v[2:3] offset:8
.LBB24_51:
	s_or_b64 exec, exec, s[14:15]
.LBB24_52:
	s_andn2_saveexec_b64 s[4:5], s[4:5]
	s_cbranch_execz .LBB24_54
; %bb.53:
	v_mul_u32_u24_e32 v1, 33, v17
	v_add_lshl_u32 v1, v1, v4, 4
	ds_read_b128 v[8:11], v1
	s_waitcnt lgkmcnt(0)
	v_xor_b32_e32 v11, 0x80000000, v11
	ds_write_b128 v5, v[8:11] offset:48
.LBB24_54:
	s_or_b64 exec, exec, s[4:5]
	v_mul_u32_u24_e32 v1, 0x84, v12
	v_lshlrev_b32_e32 v19, 4, v14
	s_waitcnt lgkmcnt(0)
	s_barrier
	v_add_lshl_u32 v18, v1, v4, 4
	ds_read_b128 v[8:11], v19 offset:18176
	ds_read_b128 v[20:23], v19 offset:18192
	ds_read_b128 v[24:27], v18
	ds_read_b128 v[28:31], v19 offset:18208
	ds_read_b128 v[32:35], v19 offset:18224
	v_add_lshl_u32 v13, v0, v4, 4
	ds_read_b128 v[0:3], v13
	s_waitcnt lgkmcnt(3)
	v_mul_f64 v[40:41], v[10:11], v[26:27]
	v_fma_f64 v[40:41], v[8:9], v[24:25], -v[40:41]
	v_mul_f64 v[8:9], v[8:9], v[26:27]
	v_fmac_f64_e32 v[8:9], v[10:11], v[24:25]
	v_add_f64 v[26:27], v[8:9], 0
	s_waitcnt lgkmcnt(0)
	v_mul_f64 v[8:9], v[22:23], v[2:3]
	v_add_f64 v[24:25], v[40:41], 0
	v_fma_f64 v[40:41], v[20:21], v[0:1], -v[8:9]
	v_mul_f64 v[2:3], v[20:21], v[2:3]
	ds_read_b128 v[8:11], v13 offset:528
	v_fmac_f64_e32 v[2:3], v[22:23], v[0:1]
	v_add_f64 v[22:23], v[26:27], v[2:3]
	ds_read_b128 v[0:3], v13 offset:1056
	v_add_f64 v[20:21], v[24:25], v[40:41]
	s_waitcnt lgkmcnt(1)
	v_mul_f64 v[24:25], v[30:31], v[10:11]
	v_fma_f64 v[24:25], v[28:29], v[8:9], -v[24:25]
	v_mul_f64 v[10:11], v[28:29], v[10:11]
	v_fmac_f64_e32 v[10:11], v[30:31], v[8:9]
	v_add_f64 v[8:9], v[20:21], v[24:25]
	s_waitcnt lgkmcnt(0)
	v_mul_f64 v[20:21], v[34:35], v[2:3]
	v_mul_f64 v[2:3], v[32:33], v[2:3]
	v_add_f64 v[10:11], v[22:23], v[10:11]
	v_fma_f64 v[20:21], v[32:33], v[0:1], -v[20:21]
	v_fmac_f64_e32 v[2:3], v[34:35], v[0:1]
	v_add_f64 v[0:1], v[8:9], v[20:21]
	v_add_f64 v[2:3], v[10:11], v[2:3]
	v_add_lshl_u32 v45, v12, v44, 4
	s_barrier
	ds_write_b128 v45, v[0:3]
	v_mov_b64_e32 v[0:1], 0
	v_cmp_gt_u32_e64 s[4:5], 32, v43
	v_mov_b64_e32 v[2:3], v[0:1]
	s_waitcnt lgkmcnt(0)
	s_barrier
	s_and_saveexec_b64 s[14:15], s[4:5]
	s_cbranch_execz .LBB24_56
; %bb.55:
	v_lshlrev_b32_e32 v28, 4, v44
	ds_read_b128 v[0:3], v28
	ds_read_b128 v[8:11], v28 offset:16
	ds_read_b128 v[20:23], v28 offset:32
	;; [unrolled: 1-line block ×3, first 2 shown]
	s_waitcnt lgkmcnt(2)
	v_add_f64 v[0:1], v[8:9], v[0:1]
	v_add_f64 v[8:9], v[10:11], v[2:3]
	s_waitcnt lgkmcnt(1)
	v_add_f64 v[10:11], v[0:1], v[20:21]
	ds_read_b128 v[0:3], v28 offset:64
	v_add_f64 v[8:9], v[8:9], v[22:23]
	s_waitcnt lgkmcnt(1)
	v_add_f64 v[20:21], v[10:11], v[24:25]
	v_add_f64 v[24:25], v[8:9], v[26:27]
	ds_read_b128 v[8:11], v28 offset:80
	s_waitcnt lgkmcnt(1)
	v_add_f64 v[26:27], v[20:21], v[0:1]
	ds_read_b128 v[20:23], v28 offset:96
	v_add_f64 v[24:25], v[24:25], v[2:3]
	ds_read_b128 v[0:3], v28 offset:112
	s_waitcnt lgkmcnt(2)
	v_add_f64 v[8:9], v[26:27], v[8:9]
	v_add_f64 v[10:11], v[24:25], v[10:11]
	s_waitcnt lgkmcnt(1)
	v_add_f64 v[8:9], v[8:9], v[20:21]
	v_add_f64 v[10:11], v[10:11], v[22:23]
	s_waitcnt lgkmcnt(0)
	v_add_f64 v[0:1], v[8:9], v[0:1]
	v_add_f64 v[2:3], v[10:11], v[2:3]
.LBB24_56:
	s_or_b64 exec, exec, s[14:15]
	s_lshl_b64 s[14:15], s[24:25], 9
	v_lshl_add_u64 v[8:9], v[6:7], 0, s[14:15]
	s_mov_b64 s[26:27], 0x200
	v_cndmask_b32_e64 v6, 0, 1, s[18:19]
	v_cmp_ne_u32_e64 s[14:15], 1, v6
	s_andn2_b64 vcc, exec, s[18:19]
	v_lshl_add_u64 v[6:7], v[8:9], 0, s[26:27]
	s_barrier
	s_cbranch_vccnz .LBB24_58
; %bb.57:
	s_lshl_b64 s[18:19], s[24:25], 7
	v_lshl_add_u64 v[10:11], v[8:9], 0, s[18:19]
	v_lshl_add_u64 v[28:29], v[10:11], 0, s[18:19]
	global_load_dwordx4 v[20:23], v[10:11], off offset:512
	global_load_dwordx4 v[24:27], v[28:29], off offset:512
	v_mov_b32_e32 v10, 0x180
	v_mad_u64_u32 v[28:29], s[18:19], s24, v10, v[8:9]
	global_load_dwordx4 v[8:11], v[6:7], off
	s_mul_i32 s18, s25, 0x180
	v_add_u32_e32 v29, s18, v29
	global_load_dwordx4 v[28:31], v[28:29], off offset:512
	v_mul_u32_u24_e32 v32, 33, v12
	v_add_lshl_u32 v32, v32, v4, 4
	v_add_u32_e32 v33, 0x1080, v32
	v_add_u32_e32 v34, 0x2100, v32
	;; [unrolled: 1-line block ×3, first 2 shown]
	s_waitcnt vmcnt(1)
	ds_write2_b64 v32, v[8:9], v[10:11] offset1:1
	ds_write2_b64 v33, v[20:21], v[22:23] offset1:1
	;; [unrolled: 1-line block ×3, first 2 shown]
	s_waitcnt vmcnt(0)
	ds_write2_b64 v35, v[28:29], v[30:31] offset1:1
	s_cbranch_execz .LBB24_59
	s_branch .LBB24_76
.LBB24_58:
.LBB24_59:
	v_lshlrev_b32_e32 v8, 4, v4
	v_sub_co_u32_e32 v10, vcc, v6, v8
	s_ashr_i32 s29, s28, 31
	s_nop 0
	v_subbrev_co_u32_e32 v11, vcc, 0, v7, vcc
	s_movk_i32 s18, 0xfdf0
	v_or_b32_e32 v9, 32, v4
	v_lshl_add_u64 v[10:11], s[28:29], 4, v[10:11]
	s_mov_b32 s19, -1
	v_lshl_add_u64 v[10:11], v[10:11], 0, s[18:19]
	v_cmp_gt_i32_e32 vcc, s28, v9
	s_sub_i32 s26, s28, 32
	v_mul_u32_u24_e32 v9, 33, v12
	v_cndmask_b32_e32 v11, v11, v7, vcc
	v_cndmask_b32_e32 v10, v10, v6, vcc
	v_cmp_le_i32_e64 s[18:19], s26, v12
	v_add_lshl_u32 v9, v9, v4, 4
	s_and_saveexec_b64 s[42:43], s[18:19]
	s_xor_b64 s[18:19], exec, s[42:43]
	s_cbranch_execz .LBB24_61
; %bb.60:
	v_mov_b32_e32 v20, 0
	v_mov_b32_e32 v21, v20
	;; [unrolled: 1-line block ×4, first 2 shown]
	ds_write_b128 v9, v[20:23]
.LBB24_61:
	s_andn2_saveexec_b64 s[18:19], s[18:19]
	s_cbranch_execz .LBB24_63
; %bb.62:
	global_load_dwordx4 v[20:23], v[10:11], off
	s_waitcnt vmcnt(0)
	ds_write2_b64 v9, v[20:21], v[22:23] offset1:1
.LBB24_63:
	s_or_b64 exec, exec, s[18:19]
	v_add_u32_e32 v20, 8, v12
	v_cmp_le_i32_e64 s[18:19], s26, v20
	s_and_saveexec_b64 s[42:43], s[18:19]
	s_xor_b64 s[18:19], exec, s[42:43]
	s_cbranch_execz .LBB24_65
; %bb.64:
	v_mul_u32_u24_e32 v20, 33, v20
	v_add_lshl_u32 v24, v20, v4, 4
	v_mov_b32_e32 v20, 0
	v_mov_b32_e32 v21, v20
	;; [unrolled: 1-line block ×4, first 2 shown]
	ds_write_b128 v24, v[20:23]
.LBB24_65:
	s_andn2_saveexec_b64 s[18:19], s[18:19]
	s_cbranch_execz .LBB24_67
; %bb.66:
	s_lshl_b64 s[42:43], s[24:25], 7
	v_lshl_add_u64 v[20:21], v[10:11], 0, s[42:43]
	global_load_dwordx4 v[20:23], v[20:21], off
	v_add_u32_e32 v24, 0x1080, v9
	s_waitcnt vmcnt(0)
	ds_write2_b64 v24, v[20:21], v[22:23] offset1:1
.LBB24_67:
	s_or_b64 exec, exec, s[18:19]
	v_add_u32_e32 v20, 16, v12
	v_cmp_le_i32_e64 s[18:19], s26, v20
	s_and_saveexec_b64 s[42:43], s[18:19]
	s_xor_b64 s[18:19], exec, s[42:43]
	s_cbranch_execz .LBB24_69
; %bb.68:
	v_mov_b32_e32 v20, 0
	v_mov_b32_e32 v21, v20
	v_mov_b32_e32 v22, v20
	v_mov_b32_e32 v23, v20
	ds_write_b128 v9, v[20:23] offset:8448
.LBB24_69:
	s_andn2_saveexec_b64 s[18:19], s[18:19]
	s_cbranch_execz .LBB24_71
; %bb.70:
	s_lshl_b64 s[42:43], s[24:25], 8
	v_lshl_add_u64 v[20:21], v[10:11], 0, s[42:43]
	global_load_dwordx4 v[20:23], v[20:21], off
	v_add_u32_e32 v24, 0x2100, v9
	s_waitcnt vmcnt(0)
	ds_write2_b64 v24, v[20:21], v[22:23] offset1:1
.LBB24_71:
	s_or_b64 exec, exec, s[18:19]
	v_add_u32_e32 v20, 24, v12
	v_cmp_le_i32_e64 s[18:19], s26, v20
	s_and_saveexec_b64 s[26:27], s[18:19]
	s_xor_b64 s[18:19], exec, s[26:27]
	s_cbranch_execz .LBB24_73
; %bb.72:
	v_mov_b32_e32 v20, 0
	v_mov_b32_e32 v21, v20
	;; [unrolled: 1-line block ×4, first 2 shown]
	ds_write_b128 v9, v[20:23] offset:12672
                                        ; implicit-def: $vgpr9
.LBB24_73:
	s_andn2_saveexec_b64 s[18:19], s[18:19]
	s_cbranch_execz .LBB24_75
; %bb.74:
	v_mov_b32_e32 v20, 0x180
	v_mad_u64_u32 v[20:21], s[26:27], s24, v20, v[10:11]
	s_mul_i32 s26, s25, 0x180
	s_nop 0
	v_add_u32_e32 v21, s26, v21
	global_load_dwordx4 v[20:23], v[20:21], off
	v_add_u32_e32 v9, 0x3180, v9
	s_waitcnt vmcnt(0)
	ds_write2_b64 v9, v[20:21], v[22:23] offset1:1
.LBB24_75:
	s_or_b64 exec, exec, s[18:19]
	v_mov_b32_e32 v9, 0
	v_lshl_add_u64 v[8:9], v[10:11], 0, v[8:9]
	s_lshl_b64 s[18:19], s[28:29], 4
	v_mov_b32_e32 v10, s19
	v_subrev_co_u32_e64 v8, s[18:19], s18, v8
	s_nop 1
	v_subb_co_u32_e64 v9, s[18:19], v9, v10, s[18:19]
	s_mov_b64 s[18:19], 0x210
	s_nop 0
	v_lshl_add_u64 v[8:9], v[8:9], 0, s[18:19]
	v_cndmask_b32_e32 v7, v9, v7, vcc
	v_cndmask_b32_e32 v6, v8, v6, vcc
.LBB24_76:
	v_add_u32_e32 v10, 0x4700, v19
	s_lshl_b64 s[18:19], s[24:25], 5
	s_waitcnt lgkmcnt(0)
	s_barrier
	s_and_saveexec_b64 s[26:27], s[6:7]
	s_xor_b64 s[6:7], exec, s[26:27]
	s_cbranch_execnz .LBB24_89
; %bb.77:
	s_andn2_saveexec_b64 s[6:7], s[6:7]
	s_cbranch_execnz .LBB24_92
.LBB24_78:
	s_or_b64 exec, exec, s[6:7]
	s_and_saveexec_b64 s[6:7], s[8:9]
	s_xor_b64 s[6:7], exec, s[6:7]
	s_cbranch_execnz .LBB24_93
.LBB24_79:
	s_andn2_saveexec_b64 s[6:7], s[6:7]
	s_cbranch_execnz .LBB24_96
.LBB24_80:
	s_or_b64 exec, exec, s[6:7]
	s_and_saveexec_b64 s[6:7], s[10:11]
	s_xor_b64 s[6:7], exec, s[6:7]
	s_cbranch_execnz .LBB24_97
.LBB24_81:
	s_andn2_saveexec_b64 s[6:7], s[6:7]
	s_cbranch_execnz .LBB24_100
.LBB24_82:
	s_or_b64 exec, exec, s[6:7]
	s_and_saveexec_b64 s[6:7], s[12:13]
	s_xor_b64 s[6:7], exec, s[6:7]
	s_cbranch_execnz .LBB24_101
.LBB24_83:
	s_andn2_saveexec_b64 s[6:7], s[6:7]
	s_cbranch_execz .LBB24_85
.LBB24_84:
	ds_read_b128 v[14:17], v13 offset:1056
	s_waitcnt lgkmcnt(0)
	v_xor_b32_e32 v17, 0x80000000, v17
	ds_write_b128 v5, v[14:17] offset:48
.LBB24_85:
	s_or_b64 exec, exec, s[6:7]
	s_waitcnt lgkmcnt(0)
	s_barrier
	ds_read_b128 v[14:17], v10 offset:512
	ds_read_b128 v[18:21], v18
	ds_read_b128 v[22:25], v10 offset:528
	ds_read_b128 v[26:29], v10 offset:544
	;; [unrolled: 1-line block ×3, first 2 shown]
	ds_read_b128 v[46:49], v13
	v_cmp_eq_u32_e64 s[6:7], 1, v12
	s_waitcnt lgkmcnt(4)
	v_mul_f64 v[8:9], v[16:17], v[20:21]
	v_fma_f64 v[8:9], v[14:15], v[18:19], -v[8:9]
	v_mul_f64 v[14:15], v[14:15], v[20:21]
	v_fmac_f64_e32 v[14:15], v[16:17], v[18:19]
	v_add_f64 v[18:19], v[14:15], 0
	s_waitcnt lgkmcnt(0)
	v_mul_f64 v[14:15], v[24:25], v[48:49]
	v_fma_f64 v[20:21], v[22:23], v[46:47], -v[14:15]
	v_mul_f64 v[22:23], v[22:23], v[48:49]
	v_add_f64 v[8:9], v[8:9], 0
	ds_read_b128 v[14:17], v13 offset:528
	v_fmac_f64_e32 v[22:23], v[24:25], v[46:47]
	v_add_f64 v[8:9], v[8:9], v[20:21]
	v_add_f64 v[22:23], v[18:19], v[22:23]
	ds_read_b128 v[18:21], v13 offset:1056
	s_waitcnt lgkmcnt(1)
	v_mul_f64 v[24:25], v[28:29], v[16:17]
	v_mul_f64 v[16:17], v[26:27], v[16:17]
	v_fma_f64 v[24:25], v[26:27], v[14:15], -v[24:25]
	v_fmac_f64_e32 v[16:17], v[28:29], v[14:15]
	s_waitcnt lgkmcnt(0)
	v_mul_f64 v[14:15], v[32:33], v[20:21]
	v_mul_f64 v[20:21], v[30:31], v[20:21]
	v_add_f64 v[8:9], v[8:9], v[24:25]
	v_add_f64 v[16:17], v[22:23], v[16:17]
	v_fma_f64 v[14:15], v[30:31], v[18:19], -v[14:15]
	v_fmac_f64_e32 v[20:21], v[32:33], v[18:19]
	v_add_f64 v[14:15], v[8:9], v[14:15]
	v_add_f64 v[16:17], v[16:17], v[20:21]
	s_barrier
	ds_write_b128 v45, v[14:17]
	s_waitcnt lgkmcnt(0)
	s_barrier
	s_and_saveexec_b64 s[8:9], s[6:7]
	s_cbranch_execz .LBB24_87
; %bb.86:
	v_lshlrev_b32_e32 v11, 4, v44
	ds_read_b128 v[0:3], v11
	ds_read_b128 v[14:17], v11 offset:16
	ds_read_b128 v[18:21], v11 offset:32
	;; [unrolled: 1-line block ×3, first 2 shown]
	s_waitcnt lgkmcnt(2)
	v_add_f64 v[0:1], v[14:15], v[0:1]
	v_add_f64 v[8:9], v[16:17], v[2:3]
	s_waitcnt lgkmcnt(1)
	v_add_f64 v[14:15], v[0:1], v[18:19]
	ds_read_b128 v[0:3], v11 offset:64
	v_add_f64 v[8:9], v[8:9], v[20:21]
	s_waitcnt lgkmcnt(1)
	v_add_f64 v[18:19], v[14:15], v[22:23]
	ds_read_b128 v[14:17], v11 offset:80
	;; [unrolled: 4-line block ×3, first 2 shown]
	v_add_f64 v[8:9], v[8:9], v[2:3]
	ds_read_b128 v[0:3], v11 offset:112
	s_waitcnt lgkmcnt(2)
	v_add_f64 v[14:15], v[22:23], v[14:15]
	v_add_f64 v[8:9], v[8:9], v[16:17]
	s_waitcnt lgkmcnt(1)
	v_add_f64 v[14:15], v[14:15], v[18:19]
	v_add_f64 v[8:9], v[8:9], v[20:21]
	;; [unrolled: 3-line block ×3, first 2 shown]
.LBB24_87:
	s_or_b64 exec, exec, s[8:9]
	s_lshl_b64 s[8:9], s[18:19], 4
	v_mov_b32_e32 v8, s9
	v_subrev_co_u32_e64 v40, s[8:9], s8, v6
	s_and_b64 vcc, exec, s[14:15]
	s_nop 0
	v_subb_co_u32_e64 v41, s[8:9], v7, v8, s[8:9]
	s_barrier
	s_cbranch_vccnz .LBB24_104
; %bb.88:
	s_lshl_b64 s[8:9], s[24:25], 7
	v_lshl_add_u64 v[6:7], v[40:41], 0, s[8:9]
	v_mov_b32_e32 v8, 0x180
	global_load_dwordx4 v[18:21], v[40:41], off
	global_load_dwordx4 v[22:25], v[6:7], off
	v_lshl_add_u64 v[6:7], v[6:7], 0, s[8:9]
	v_mad_u64_u32 v[8:9], s[8:9], s24, v8, v[40:41]
	s_mul_i32 s8, s25, 0x180
	s_nop 0
	v_add_u32_e32 v9, s8, v9
	global_load_dwordx4 v[26:29], v[6:7], off
	global_load_dwordx4 v[30:33], v[8:9], off
	v_mad_u32_u24 v11, v12, 33, v4
	v_add_u32_e32 v13, 8, v12
	v_add_u32_e32 v14, 16, v12
	;; [unrolled: 1-line block ×3, first 2 shown]
	v_lshlrev_b32_e32 v8, 4, v11
	v_add_u32_e32 v7, 0x108, v11
	v_add_u32_e32 v6, 0x210, v11
	;; [unrolled: 1-line block ×6, first 2 shown]
	s_waitcnt vmcnt(3)
	ds_write2_b64 v8, v[18:19], v[20:21] offset1:1
	s_waitcnt vmcnt(2)
	ds_write2_b64 v9, v[22:23], v[24:25] offset1:1
	;; [unrolled: 2-line block ×4, first 2 shown]
	s_cbranch_execz .LBB24_105
	s_branch .LBB24_122
.LBB24_89:
	v_cmp_eq_u32_e32 vcc, v14, v4
	s_and_saveexec_b64 s[26:27], vcc
	s_cbranch_execz .LBB24_91
; %bb.90:
	v_mul_u32_u24_e32 v8, 34, v4
	v_lshlrev_b32_e32 v11, 4, v8
	v_mov_b32_e32 v8, 0
	v_mov_b32_e32 v9, v8
	ds_write_b64 v11, v[8:9] offset:8
.LBB24_91:
	s_or_b64 exec, exec, s[26:27]
	s_andn2_saveexec_b64 s[6:7], s[6:7]
	s_cbranch_execz .LBB24_78
.LBB24_92:
	ds_read_b128 v[20:23], v18
	s_waitcnt lgkmcnt(0)
	v_xor_b32_e32 v23, 0x80000000, v23
	ds_write_b128 v5, v[20:23]
	s_or_b64 exec, exec, s[6:7]
	s_and_saveexec_b64 s[6:7], s[8:9]
	s_xor_b64 s[6:7], exec, s[6:7]
	s_cbranch_execz .LBB24_79
.LBB24_93:
	v_cmp_eq_u32_e32 vcc, v15, v4
	s_and_saveexec_b64 s[8:9], vcc
	s_cbranch_execz .LBB24_95
; %bb.94:
	v_mul_u32_u24_e32 v8, 34, v4
	v_lshlrev_b32_e32 v11, 4, v8
	v_mov_b32_e32 v8, 0
	v_mov_b32_e32 v9, v8
	ds_write_b64 v11, v[8:9] offset:8
.LBB24_95:
	s_or_b64 exec, exec, s[8:9]
	s_andn2_saveexec_b64 s[6:7], s[6:7]
	s_cbranch_execz .LBB24_80
.LBB24_96:
	ds_read_b128 v[20:23], v13
	s_waitcnt lgkmcnt(0)
	v_xor_b32_e32 v23, 0x80000000, v23
	ds_write_b128 v5, v[20:23] offset:16
	s_or_b64 exec, exec, s[6:7]
	s_and_saveexec_b64 s[6:7], s[10:11]
	s_xor_b64 s[6:7], exec, s[6:7]
	s_cbranch_execz .LBB24_81
.LBB24_97:
	v_cmp_eq_u32_e32 vcc, v16, v4
	s_and_saveexec_b64 s[8:9], vcc
	s_cbranch_execz .LBB24_99
; %bb.98:
	v_mul_u32_u24_e32 v8, 34, v4
	v_lshlrev_b32_e32 v11, 4, v8
	v_mov_b32_e32 v8, 0
	v_mov_b32_e32 v9, v8
	ds_write_b64 v11, v[8:9] offset:8
.LBB24_99:
	s_or_b64 exec, exec, s[8:9]
	s_andn2_saveexec_b64 s[6:7], s[6:7]
	s_cbranch_execz .LBB24_82
.LBB24_100:
	ds_read_b128 v[20:23], v13 offset:528
	s_waitcnt lgkmcnt(0)
	v_xor_b32_e32 v23, 0x80000000, v23
	ds_write_b128 v5, v[20:23] offset:32
	s_or_b64 exec, exec, s[6:7]
	s_and_saveexec_b64 s[6:7], s[12:13]
	s_xor_b64 s[6:7], exec, s[6:7]
	s_cbranch_execz .LBB24_83
.LBB24_101:
	v_cmp_eq_u32_e32 vcc, v17, v4
	s_and_saveexec_b64 s[8:9], vcc
	s_cbranch_execz .LBB24_103
; %bb.102:
	v_mul_u32_u24_e32 v8, 34, v4
	v_lshlrev_b32_e32 v11, 4, v8
	v_mov_b32_e32 v8, 0
	v_mov_b32_e32 v9, v8
	ds_write_b64 v11, v[8:9] offset:8
.LBB24_103:
	s_or_b64 exec, exec, s[8:9]
	s_andn2_saveexec_b64 s[6:7], s[6:7]
	s_cbranch_execnz .LBB24_84
	s_branch .LBB24_85
.LBB24_104:
                                        ; implicit-def: $vgpr11
                                        ; implicit-def: $vgpr13
                                        ; implicit-def: $vgpr7
                                        ; implicit-def: $vgpr14
                                        ; implicit-def: $vgpr6
                                        ; implicit-def: $vgpr15
                                        ; implicit-def: $vgpr16
.LBB24_105:
	v_lshlrev_b32_e32 v6, 4, v4
	v_sub_co_u32_e32 v8, vcc, v40, v6
	s_ashr_i32 s29, s28, 31
	s_nop 0
	v_subbrev_co_u32_e32 v9, vcc, 0, v41, vcc
	s_movk_i32 s8, 0xfdf0
	v_or_b32_e32 v7, 32, v4
	v_lshl_add_u64 v[8:9], s[28:29], 4, v[8:9]
	s_mov_b32 s9, -1
	v_lshl_add_u64 v[8:9], v[8:9], 0, s[8:9]
	v_cmp_gt_i32_e32 vcc, s28, v7
	v_mad_u32_u24 v11, v12, 33, v4
	v_cmp_le_i32_e64 s[8:9], s28, v12
	v_cndmask_b32_e32 v9, v9, v41, vcc
	v_cndmask_b32_e32 v8, v8, v40, vcc
	v_lshlrev_b32_e32 v7, 4, v11
	s_and_saveexec_b64 s[10:11], s[8:9]
	s_xor_b64 s[8:9], exec, s[10:11]
	s_cbranch_execz .LBB24_107
; %bb.106:
	v_mov_b32_e32 v14, 0
	v_mov_b32_e32 v15, v14
	;; [unrolled: 1-line block ×4, first 2 shown]
	ds_write_b128 v7, v[14:17]
.LBB24_107:
	s_andn2_saveexec_b64 s[8:9], s[8:9]
	s_cbranch_execz .LBB24_109
; %bb.108:
	global_load_dwordx4 v[14:17], v[8:9], off
	s_waitcnt vmcnt(0)
	ds_write2_b64 v7, v[14:15], v[16:17] offset1:1
.LBB24_109:
	s_or_b64 exec, exec, s[8:9]
	v_add_u32_e32 v13, 8, v12
	v_cmp_le_i32_e64 s[8:9], s28, v13
	s_and_saveexec_b64 s[10:11], s[8:9]
	s_xor_b64 s[8:9], exec, s[10:11]
	s_cbranch_execz .LBB24_111
; %bb.110:
	v_mul_u32_u24_e32 v14, 33, v13
	v_add_lshl_u32 v18, v14, v4, 4
	v_mov_b32_e32 v14, 0
	v_mov_b32_e32 v15, v14
	;; [unrolled: 1-line block ×4, first 2 shown]
	ds_write_b128 v18, v[14:17]
.LBB24_111:
	s_andn2_saveexec_b64 s[8:9], s[8:9]
	s_cbranch_execz .LBB24_113
; %bb.112:
	s_lshl_b64 s[10:11], s[24:25], 7
	v_lshl_add_u64 v[14:15], v[8:9], 0, s[10:11]
	global_load_dwordx4 v[14:17], v[14:15], off
	v_add_u32_e32 v18, 0x1080, v7
	s_waitcnt vmcnt(0)
	ds_write2_b64 v18, v[14:15], v[16:17] offset1:1
.LBB24_113:
	s_or_b64 exec, exec, s[8:9]
	v_add_u32_e32 v14, 16, v12
	v_cmp_le_i32_e64 s[8:9], s28, v14
	s_and_saveexec_b64 s[10:11], s[8:9]
	s_xor_b64 s[8:9], exec, s[10:11]
	s_cbranch_execz .LBB24_115
; %bb.114:
	v_mul_u32_u24_e32 v15, 33, v14
	v_mov_b32_e32 v16, 0
	v_add_lshl_u32 v4, v15, v4, 4
	v_mov_b32_e32 v17, v16
	v_mov_b32_e32 v18, v16
	;; [unrolled: 1-line block ×3, first 2 shown]
	ds_write_b128 v4, v[16:19]
.LBB24_115:
	s_andn2_saveexec_b64 s[8:9], s[8:9]
	s_cbranch_execz .LBB24_117
; %bb.116:
	s_lshl_b64 s[10:11], s[24:25], 8
	v_lshl_add_u64 v[16:17], v[8:9], 0, s[10:11]
	global_load_dwordx4 v[16:19], v[16:17], off
	v_add_u32_e32 v4, 0x2100, v7
	s_waitcnt vmcnt(0)
	ds_write2_b64 v4, v[16:17], v[18:19] offset1:1
.LBB24_117:
	s_or_b64 exec, exec, s[8:9]
	v_add_u32_e32 v15, 24, v12
	v_cmp_le_i32_e64 s[8:9], s28, v15
                                        ; implicit-def: $vgpr16
	s_and_saveexec_b64 s[10:11], s[8:9]
	s_xor_b64 s[8:9], exec, s[10:11]
	s_cbranch_execz .LBB24_119
; %bb.118:
	v_mov_b32_e32 v18, 0
	v_add_u32_e32 v16, 0x318, v11
	v_mov_b32_e32 v19, v18
	v_mov_b32_e32 v20, v18
	;; [unrolled: 1-line block ×3, first 2 shown]
	ds_write_b128 v7, v[18:21] offset:12672
                                        ; implicit-def: $vgpr7
.LBB24_119:
	s_andn2_saveexec_b64 s[8:9], s[8:9]
	s_cbranch_execz .LBB24_121
; %bb.120:
	v_mov_b32_e32 v4, 0x180
	v_mad_u64_u32 v[16:17], s[10:11], s24, v4, v[8:9]
	s_mul_i32 s10, s25, 0x180
	s_nop 0
	v_add_u32_e32 v17, s10, v17
	global_load_dwordx4 v[18:21], v[16:17], off
	v_add_u32_e32 v16, 0x318, v11
	v_add_u32_e32 v4, 0x3180, v7
	s_waitcnt vmcnt(0)
	ds_write2_b64 v4, v[18:19], v[20:21] offset1:1
.LBB24_121:
	s_or_b64 exec, exec, s[8:9]
	v_mov_b32_e32 v7, 0
	v_lshl_add_u64 v[6:7], v[8:9], 0, v[6:7]
	s_lshl_b64 s[8:9], s[28:29], 4
	v_mov_b32_e32 v4, s9
	v_subrev_co_u32_e64 v6, s[8:9], s8, v6
	s_nop 1
	v_subb_co_u32_e64 v7, s[8:9], v7, v4, s[8:9]
	s_mov_b64 s[8:9], 0x210
	s_nop 0
	v_lshl_add_u64 v[6:7], v[6:7], 0, s[8:9]
	v_cndmask_b32_e32 v41, v7, v41, vcc
	v_cndmask_b32_e32 v40, v6, v40, vcc
	v_add_u32_e32 v7, 0x108, v11
	v_add_u32_e32 v6, 0x210, v11
.LBB24_122:
	v_lshlrev_b32_e32 v4, 4, v11
	v_lshlrev_b32_e32 v8, 4, v12
	s_waitcnt lgkmcnt(0)
	s_barrier
	ds_read_b128 v[46:49], v8 offset:18176
	ds_read_b128 v[50:53], v4
	v_lshlrev_b32_e32 v4, 4, v7
	v_lshlrev_b32_e32 v7, 4, v13
	ds_read_b128 v[54:57], v7 offset:18176
	ds_read_b128 v[58:61], v4
	v_lshlrev_b32_e32 v4, 4, v6
	v_lshlrev_b32_e32 v6, 4, v14
	ds_read_b128 v[62:65], v6 offset:18176
	ds_read_b128 v[66:69], v4
	v_lshlrev_b32_e32 v6, 4, v15
	s_waitcnt lgkmcnt(4)
	v_mul_f64 v[8:9], v[48:49], v[52:53]
	v_lshlrev_b32_e32 v4, 4, v16
	ds_read_b128 v[70:73], v6 offset:18176
	ds_read_b128 v[74:77], v4
	v_fma_f64 v[8:9], v[46:47], v[50:51], -v[8:9]
	s_waitcnt lgkmcnt(4)
	v_mul_f64 v[12:13], v[56:57], v[60:61]
	v_add_f64 v[8:9], v[8:9], 0
	v_fma_f64 v[12:13], v[54:55], v[58:59], -v[12:13]
	v_add_f64 v[6:7], v[8:9], v[12:13]
	s_waitcnt lgkmcnt(2)
	v_mul_f64 v[8:9], v[64:65], v[68:69]
	v_fma_f64 v[8:9], v[62:63], v[66:67], -v[8:9]
	v_add_f64 v[6:7], v[6:7], v[8:9]
	s_waitcnt lgkmcnt(0)
	v_mul_f64 v[8:9], v[72:73], v[76:77]
	v_fma_f64 v[8:9], v[70:71], v[74:75], -v[8:9]
	v_add_f64 v[78:79], v[6:7], v[8:9]
	ds_read_b128 v[28:31], v5
	ds_read_b128 v[20:23], v5 offset:16
	ds_read_b128 v[12:15], v5 offset:32
	;; [unrolled: 1-line block ×7, first 2 shown]
	v_mul_f64 v[46:47], v[46:47], v[52:53]
	v_fmac_f64_e32 v[46:47], v[48:49], v[50:51]
	v_mul_f64 v[48:49], v[54:55], v[60:61]
	v_add_f64 v[46:47], v[46:47], 0
	v_fmac_f64_e32 v[48:49], v[56:57], v[58:59]
	v_add_f64 v[46:47], v[46:47], v[48:49]
	v_mul_f64 v[48:49], v[62:63], v[68:69]
	v_fmac_f64_e32 v[48:49], v[64:65], v[66:67]
	v_add_f64 v[46:47], v[46:47], v[48:49]
	v_mul_f64 v[48:49], v[70:71], v[76:77]
	v_fmac_f64_e32 v[48:49], v[72:73], v[74:75]
	v_add_f64 v[80:81], v[46:47], v[48:49]
	s_waitcnt lgkmcnt(0)
	s_barrier
	ds_write_b128 v45, v[78:81]
	s_waitcnt lgkmcnt(0)
	s_barrier
	s_and_saveexec_b64 s[8:9], s[6:7]
	s_cbranch_execz .LBB24_124
; %bb.123:
	v_lshlrev_b32_e32 v62, 4, v44
	ds_read_b128 v[46:49], v62
	ds_read_b128 v[50:53], v62 offset:16
	ds_read_b128 v[54:57], v62 offset:32
	;; [unrolled: 1-line block ×3, first 2 shown]
	s_waitcnt lgkmcnt(3)
	v_add_f64 v[0:1], v[0:1], v[46:47]
	v_add_f64 v[2:3], v[2:3], v[48:49]
	s_waitcnt lgkmcnt(2)
	v_add_f64 v[0:1], v[0:1], v[50:51]
	v_add_f64 v[46:47], v[2:3], v[52:53]
	s_waitcnt lgkmcnt(1)
	v_add_f64 v[48:49], v[0:1], v[54:55]
	ds_read_b128 v[0:3], v62 offset:64
	v_add_f64 v[46:47], v[46:47], v[56:57]
	s_waitcnt lgkmcnt(1)
	v_add_f64 v[50:51], v[48:49], v[58:59]
	v_add_f64 v[54:55], v[46:47], v[60:61]
	ds_read_b128 v[46:49], v62 offset:80
	s_waitcnt lgkmcnt(1)
	v_add_f64 v[56:57], v[50:51], v[0:1]
	ds_read_b128 v[50:53], v62 offset:96
	v_add_f64 v[54:55], v[54:55], v[2:3]
	ds_read_b128 v[0:3], v62 offset:112
	s_waitcnt lgkmcnt(2)
	v_add_f64 v[46:47], v[56:57], v[46:47]
	v_add_f64 v[48:49], v[54:55], v[48:49]
	s_waitcnt lgkmcnt(1)
	v_add_f64 v[46:47], v[46:47], v[50:51]
	v_add_f64 v[48:49], v[48:49], v[52:53]
	;; [unrolled: 3-line block ×3, first 2 shown]
.LBB24_124:
	s_or_b64 exec, exec, s[8:9]
	v_mul_f64 v[46:47], v[30:31], v[34:35]
	v_mul_f64 v[30:31], v[30:31], v[32:33]
	v_fmac_f64_e32 v[46:47], v[28:29], v[32:33]
	v_fma_f64 v[28:29], v[28:29], v[34:35], -v[30:31]
	v_mul_f64 v[32:33], v[22:23], v[26:27]
	v_mul_f64 v[22:23], v[22:23], v[24:25]
	v_add_f64 v[30:31], v[46:47], 0
	v_add_f64 v[28:29], v[28:29], 0
	v_fmac_f64_e32 v[32:33], v[20:21], v[24:25]
	v_fma_f64 v[20:21], v[20:21], v[26:27], -v[22:23]
	v_mul_f64 v[24:25], v[14:15], v[18:19]
	v_mul_f64 v[14:15], v[14:15], v[16:17]
	v_add_f64 v[22:23], v[30:31], v[32:33]
	v_add_f64 v[20:21], v[28:29], v[20:21]
	;; [unrolled: 6-line block ×3, first 2 shown]
	v_fmac_f64_e32 v[16:17], v[4:5], v[8:9]
	v_fma_f64 v[6:7], v[4:5], v[10:11], -v[6:7]
	v_add_f64 v[4:5], v[14:15], v[16:17]
	v_add_f64 v[6:7], v[12:13], v[6:7]
	s_barrier
	ds_write_b128 v45, v[4:7]
	s_waitcnt lgkmcnt(0)
	s_barrier
	s_and_saveexec_b64 s[6:7], s[4:5]
	s_cbranch_execz .LBB24_126
; %bb.125:
	v_lshlrev_b32_e32 v20, 4, v44
	ds_read_b128 v[4:7], v20
	ds_read_b128 v[8:11], v20 offset:16
	ds_read_b128 v[12:15], v20 offset:32
	;; [unrolled: 1-line block ×3, first 2 shown]
	s_waitcnt lgkmcnt(3)
	v_add_f64 v[0:1], v[0:1], v[4:5]
	v_add_f64 v[2:3], v[2:3], v[6:7]
	s_waitcnt lgkmcnt(2)
	v_add_f64 v[0:1], v[0:1], v[8:9]
	v_add_f64 v[4:5], v[2:3], v[10:11]
	s_waitcnt lgkmcnt(1)
	v_add_f64 v[6:7], v[0:1], v[12:13]
	ds_read_b128 v[0:3], v20 offset:64
	v_add_f64 v[4:5], v[4:5], v[14:15]
	s_waitcnt lgkmcnt(1)
	v_add_f64 v[8:9], v[6:7], v[16:17]
	v_add_f64 v[12:13], v[4:5], v[18:19]
	ds_read_b128 v[4:7], v20 offset:80
	s_waitcnt lgkmcnt(1)
	v_add_f64 v[14:15], v[8:9], v[0:1]
	ds_read_b128 v[8:11], v20 offset:96
	v_add_f64 v[12:13], v[12:13], v[2:3]
	ds_read_b128 v[0:3], v20 offset:112
	s_waitcnt lgkmcnt(2)
	v_add_f64 v[4:5], v[14:15], v[4:5]
	v_add_f64 v[6:7], v[12:13], v[6:7]
	s_waitcnt lgkmcnt(1)
	v_add_f64 v[4:5], v[4:5], v[8:9]
	v_add_f64 v[6:7], v[6:7], v[10:11]
	;; [unrolled: 3-line block ×3, first 2 shown]
.LBB24_126:
	s_or_b64 exec, exec, s[6:7]
	s_mul_hi_u32 s4, s33, s3
	s_mul_i32 s38, s38, s3
	s_add_i32 s4, s4, s38
	s_mul_i32 s3, s33, s3
	s_mul_i32 s4, s4, s40
	s_mul_hi_u32 s5, s3, s40
	s_add_i32 s5, s5, s4
	s_mul_i32 s4, s3, s40
	s_lshl_b64 s[4:5], s[4:5], 4
	s_add_u32 s3, s34, s4
	s_mul_i32 s4, s2, s33
	s_addc_u32 s7, s35, s5
	s_ashr_i32 s5, s4, 31
	s_lshl_b64 s[4:5], s[4:5], 4
	s_add_u32 s6, s3, s4
	v_cmp_le_i32_e32 vcc, s28, v42
	s_addc_u32 s7, s7, s5
	s_and_b64 vcc, s[22:23], vcc
	s_cmp_lt_i32 s2, 1
	v_lshlrev_b32_e32 v134, 4, v42
	s_barrier
	s_cbranch_scc1 .LBB24_133
; %bb.127:
	s_mul_i32 s3, s30, s37
	s_mul_hi_u32 s4, s30, s36
	s_add_i32 s3, s4, s3
	s_mul_i32 s4, s31, s36
	s_add_i32 s5, s3, s4
	s_mul_i32 s4, s30, s36
	s_lshl_b64 s[4:5], s[4:5], 4
	v_mov_b32_e32 v4, s5
	v_subrev_co_u32_e64 v136, s[4:5], s4, v36
	v_lshlrev_b32_e32 v9, 2, v142
	s_nop 0
	v_subb_co_u32_e64 v137, s[4:5], v37, v4, s[4:5]
	v_mov_b32_e32 v4, s21
	v_subrev_co_u32_e64 v6, s[4:5], s20, v40
	s_ashr_i32 s29, s28, 31
	s_nop 0
	v_subb_co_u32_e64 v7, s[4:5], v41, v4, s[4:5]
	v_lshlrev_b64 v[4:5], 4, v[38:39]
	v_sub_co_u32_e64 v4, s[4:5], v6, v4
	v_mov_b32_e32 v139, 0
	s_nop 0
	v_subb_co_u32_e64 v5, s[4:5], v7, v5, s[4:5]
	v_mad_u64_u32 v[6:7], s[4:5], v9, s24, 0
	v_mov_b32_e32 v8, v7
	v_mad_u64_u32 v[8:9], s[4:5], v9, s25, v[8:9]
	v_mov_b32_e32 v7, v8
	v_lshl_add_u64 v[4:5], v[6:7], 4, v[4:5]
	s_movk_i32 s4, 0xfdf0
	v_lshl_add_u64 v[6:7], s[28:29], 4, v[4:5]
	s_mov_b32 s5, -1
	v_lshl_add_u64 v[6:7], v[6:7], 0, s[4:5]
	v_mov_b32_e32 v135, v139
	s_movk_i32 s4, 0xfe00
	v_lshl_add_u64 v[4:5], v[4:5], 0, v[134:135]
	s_mov_b32 s5, -1
	v_lshl_add_u64 v[4:5], v[4:5], 0, s[4:5]
	v_cndmask_b32_e32 v8, v4, v6, vcc
	v_and_b32_e32 v4, 48, v42
	v_and_b32_e32 v10, 15, v42
	v_cndmask_b32_e32 v9, v5, v7, vcc
	v_lshlrev_b32_e32 v5, 4, v4
	s_movk_i32 s3, 0x430
	v_mad_u32_u24 v144, v10, s3, v5
	v_or_b32_e32 v5, 0xf0, v134
	v_mad_u32_u24 v145, v10, s3, v5
	v_lshlrev_b32_e32 v5, 2, v43
	v_and_b32_e32 v5, 0x7ffc0, v5
	v_mad_u32_u24 v146, v10, s3, v5
	v_mov_b32_e32 v5, 0x4300
	v_lshl_add_u32 v147, v142, 6, v5
	v_and_b32_e32 v5, 0x1fff0, v43
	s_movk_i32 s8, 0x10c0
	v_mad_u32_u24 v149, v10, s3, v5
	s_mul_i32 s3, s25, 0xd0
	s_mul_hi_u32 s10, s24, 0xd0
	v_add_u32_e32 v135, 0x4300, v134
	v_add_u32_e32 v143, 0x4700, v134
	v_cmp_gt_u32_e64 s[4:5], 64, v43
	v_mad_u32_u24 v148, v142, s8, v134
	s_lshl_b64 s[8:9], s[24:25], 4
	s_add_i32 s11, s10, s3
	s_mul_i32 s10, s24, 0xd0
	v_or_b32_e32 v150, v4, v10
	s_mov_b32 s3, 0
	s_branch .LBB24_129
.LBB24_128:                             ;   in Loop: Header=BB24_129 Depth=1
	s_or_b64 exec, exec, s[12:13]
	v_mul_f64 v[152:153], v[6:7], v[22:23]
	v_fma_f64 v[152:153], v[4:5], v[20:21], -v[152:153]
	v_mul_f64 v[4:5], v[4:5], v[22:23]
	v_mul_f64 v[22:23], v[10:11], v[42:43]
	v_add_f64 v[0:1], v[0:1], v[152:153]
	v_fma_f64 v[22:23], v[8:9], v[40:41], -v[22:23]
	v_add_f64 v[0:1], v[0:1], v[22:23]
	v_mul_f64 v[22:23], v[14:15], v[46:47]
	v_fma_f64 v[22:23], v[12:13], v[44:45], -v[22:23]
	v_add_f64 v[0:1], v[0:1], v[22:23]
	v_mul_f64 v[22:23], v[18:19], v[50:51]
	v_fmac_f64_e32 v[4:5], v[6:7], v[20:21]
	v_fma_f64 v[22:23], v[16:17], v[48:49], -v[22:23]
	v_add_f64 v[2:3], v[2:3], v[4:5]
	v_mul_f64 v[4:5], v[26:27], v[70:71]
	v_add_f64 v[0:1], v[0:1], v[22:23]
	v_fma_f64 v[4:5], v[24:25], v[68:69], -v[4:5]
	v_add_f64 v[0:1], v[0:1], v[4:5]
	v_mul_f64 v[4:5], v[30:31], v[82:83]
	v_fma_f64 v[4:5], v[28:29], v[80:81], -v[4:5]
	v_add_f64 v[0:1], v[0:1], v[4:5]
	v_mul_f64 v[4:5], v[38:39], v[78:79]
	;; [unrolled: 3-line block ×3, first 2 shown]
	v_fma_f64 v[4:5], v[32:33], v[72:73], -v[4:5]
	v_mul_f64 v[8:9], v[8:9], v[42:43]
	v_add_f64 v[0:1], v[0:1], v[4:5]
	v_mul_f64 v[4:5], v[66:67], v[102:103]
	v_mul_f64 v[12:13], v[12:13], v[46:47]
	v_fmac_f64_e32 v[8:9], v[10:11], v[40:41]
	v_fma_f64 v[4:5], v[64:65], v[100:101], -v[4:5]
	v_mul_f64 v[16:17], v[16:17], v[50:51]
	v_add_f64 v[2:3], v[2:3], v[8:9]
	v_fmac_f64_e32 v[12:13], v[14:15], v[44:45]
	v_add_f64 v[0:1], v[0:1], v[4:5]
	v_mul_f64 v[4:5], v[62:63], v[118:119]
	v_add_f64 v[2:3], v[2:3], v[12:13]
	v_fmac_f64_e32 v[16:17], v[18:19], v[48:49]
	v_mul_f64 v[6:7], v[24:25], v[70:71]
	v_fma_f64 v[4:5], v[60:61], v[116:117], -v[4:5]
	v_add_f64 v[2:3], v[2:3], v[16:17]
	v_mul_f64 v[8:9], v[28:29], v[82:83]
	v_fmac_f64_e32 v[6:7], v[26:27], v[68:69]
	v_add_f64 v[0:1], v[0:1], v[4:5]
	v_mul_f64 v[4:5], v[58:59], v[114:115]
	v_mul_f64 v[10:11], v[36:37], v[78:79]
	v_add_f64 v[2:3], v[2:3], v[6:7]
	v_fmac_f64_e32 v[8:9], v[30:31], v[80:81]
	v_fma_f64 v[4:5], v[56:57], v[112:113], -v[4:5]
	v_mul_f64 v[12:13], v[32:33], v[74:75]
	v_add_f64 v[2:3], v[2:3], v[8:9]
	v_fmac_f64_e32 v[10:11], v[38:39], v[76:77]
	v_add_f64 v[0:1], v[0:1], v[4:5]
	v_mul_f64 v[4:5], v[54:55], v[110:111]
	v_add_f64 v[2:3], v[2:3], v[10:11]
	v_fmac_f64_e32 v[12:13], v[34:35], v[72:73]
	v_mul_f64 v[6:7], v[64:65], v[102:103]
	v_fma_f64 v[4:5], v[52:53], v[108:109], -v[4:5]
	v_add_f64 v[2:3], v[2:3], v[12:13]
	v_mul_f64 v[8:9], v[60:61], v[118:119]
	v_add_f64 v[0:1], v[0:1], v[4:5]
	v_fmac_f64_e32 v[6:7], v[66:67], v[100:101]
	v_mul_f64 v[4:5], v[86:87], v[106:107]
	v_mul_f64 v[10:11], v[56:57], v[114:115]
	v_add_f64 v[2:3], v[2:3], v[6:7]
	v_fmac_f64_e32 v[8:9], v[62:63], v[116:117]
	v_fma_f64 v[4:5], v[84:85], v[104:105], -v[4:5]
	v_mul_f64 v[12:13], v[52:53], v[110:111]
	v_add_f64 v[2:3], v[2:3], v[8:9]
	v_fmac_f64_e32 v[10:11], v[58:59], v[112:113]
	v_add_f64 v[0:1], v[0:1], v[4:5]
	v_mul_f64 v[4:5], v[90:91], v[122:123]
	v_add_f64 v[2:3], v[2:3], v[10:11]
	v_fmac_f64_e32 v[12:13], v[54:55], v[108:109]
	v_mul_f64 v[6:7], v[84:85], v[106:107]
	v_fma_f64 v[4:5], v[88:89], v[120:121], -v[4:5]
	v_add_f64 v[2:3], v[2:3], v[12:13]
	v_mul_f64 v[8:9], v[88:89], v[122:123]
	v_add_f64 v[0:1], v[0:1], v[4:5]
	v_mul_f64 v[4:5], v[94:95], v[126:127]
	v_fmac_f64_e32 v[6:7], v[86:87], v[104:105]
	v_fma_f64 v[4:5], v[92:93], v[124:125], -v[4:5]
	v_mul_f64 v[10:11], v[92:93], v[126:127]
	v_fmac_f64_e32 v[8:9], v[90:91], v[120:121]
	v_add_f64 v[2:3], v[2:3], v[6:7]
	v_add_f64 v[0:1], v[0:1], v[4:5]
	v_mul_f64 v[4:5], v[98:99], v[130:131]
	v_mul_f64 v[12:13], v[96:97], v[130:131]
	v_fmac_f64_e32 v[10:11], v[94:95], v[124:125]
	v_add_f64 v[2:3], v[2:3], v[8:9]
	v_fma_f64 v[4:5], v[96:97], v[128:129], -v[4:5]
	v_fmac_f64_e32 v[12:13], v[98:99], v[128:129]
	v_add_f64 v[2:3], v[2:3], v[10:11]
	s_add_i32 s3, s3, 64
	s_add_i32 s2, s2, -1
	v_add_f64 v[0:1], v[0:1], v[4:5]
	v_add_f64 v[2:3], v[2:3], v[12:13]
	s_cmp_eq_u32 s2, 0
	v_lshl_add_u64 v[8:9], v[140:141], 0, s[10:11]
	s_barrier
	s_cbranch_scc1 .LBB24_133
.LBB24_129:                             ; =>This Inner Loop Header: Depth=1
	s_and_saveexec_b64 s[12:13], s[16:17]
	s_cbranch_execz .LBB24_131
; %bb.130:                              ;   in Loop: Header=BB24_129 Depth=1
	s_mul_i32 s14, s3, s37
	s_mul_hi_u32 s15, s3, s36
	s_add_i32 s15, s15, s14
	s_mul_i32 s14, s3, s36
	v_lshl_add_u64 v[4:5], s[14:15], 4, v[136:137]
	global_load_dwordx4 v[4:7], v[4:5], off
	s_waitcnt vmcnt(0)
	ds_write2_b64 v135, v[4:5], v[6:7] offset1:1
.LBB24_131:                             ;   in Loop: Header=BB24_129 Depth=1
	s_or_b64 exec, exec, s[12:13]
	s_waitcnt lgkmcnt(0)
	s_barrier
	global_load_dwordx4 v[4:7], v[8:9], off
	v_lshl_add_u64 v[12:13], v[8:9], 0, s[8:9]
	global_load_dwordx4 v[8:11], v[12:13], off
	v_lshl_add_u64 v[16:17], v[12:13], 0, s[8:9]
	;; [unrolled: 2-line block ×3, first 2 shown]
	global_load_dwordx4 v[16:19], v[28:29], off
	ds_read_b128 v[24:27], v143
	ds_read_b128 v[20:23], v147
	v_lshl_add_u64 v[36:37], v[28:29], 0, s[10:11]
	s_waitcnt vmcnt(3) lgkmcnt(1)
	v_mul_f64 v[28:29], v[6:7], v[26:27]
	v_mul_f64 v[30:31], v[6:7], v[24:25]
	v_fmac_f64_e32 v[28:29], v[4:5], v[24:25]
	v_fma_f64 v[30:31], v[4:5], v[26:27], -v[30:31]
	s_waitcnt vmcnt(2)
	v_mul_f64 v[32:33], v[10:11], v[26:27]
	v_mul_f64 v[34:35], v[10:11], v[24:25]
	ds_write_b128 v148, v[28:31]
	v_fmac_f64_e32 v[32:33], v[8:9], v[24:25]
	v_fma_f64 v[34:35], v[8:9], v[26:27], -v[34:35]
	s_waitcnt vmcnt(1)
	v_mul_f64 v[28:29], v[14:15], v[26:27]
	v_mul_f64 v[30:31], v[14:15], v[24:25]
	ds_read_b128 v[40:43], v147 offset:16
	ds_write_b128 v148, v[32:35] offset:1072
	v_fmac_f64_e32 v[28:29], v[12:13], v[24:25]
	v_fma_f64 v[30:31], v[12:13], v[26:27], -v[30:31]
	s_waitcnt vmcnt(0)
	v_mul_f64 v[32:33], v[18:19], v[26:27]
	v_mul_f64 v[34:35], v[18:19], v[24:25]
	ds_read_b128 v[44:47], v147 offset:32
	ds_write_b128 v148, v[28:31] offset:2144
	v_fmac_f64_e32 v[32:33], v[16:17], v[24:25]
	v_fma_f64 v[34:35], v[16:17], v[26:27], -v[34:35]
	ds_read_b128 v[48:51], v147 offset:48
	ds_write_b128 v148, v[32:35] offset:3216
	s_waitcnt lgkmcnt(0)
	s_barrier
	ds_read_b128 v[128:131], v146
	ds_read_b128 v[124:127], v146 offset:16
	ds_read_b128 v[120:123], v146 offset:32
	;; [unrolled: 1-line block ×3, first 2 shown]
	s_waitcnt lgkmcnt(0)
	s_barrier
	global_load_dwordx4 v[24:27], v[36:37], off
	v_lshl_add_u64 v[32:33], v[36:37], 0, s[8:9]
	global_load_dwordx4 v[28:31], v[32:33], off
	v_lshl_add_u64 v[32:33], v[32:33], 0, s[8:9]
	;; [unrolled: 2-line block ×3, first 2 shown]
	global_load_dwordx4 v[32:35], v[56:57], off
	ds_read_b128 v[52:55], v143
	ds_read_b128 v[68:71], v147 offset:256
	v_lshl_add_u64 v[88:89], v[56:57], 0, s[10:11]
	v_add_f64 v[128:129], v[128:129], 0
	v_add_f64 v[130:131], v[130:131], 0
	;; [unrolled: 1-line block ×8, first 2 shown]
	s_waitcnt vmcnt(3) lgkmcnt(1)
	v_mul_f64 v[56:57], v[26:27], v[54:55]
	v_mul_f64 v[58:59], v[26:27], v[52:53]
	s_waitcnt vmcnt(2)
	v_mul_f64 v[60:61], v[30:31], v[54:55]
	v_mul_f64 v[62:63], v[30:31], v[52:53]
	v_fmac_f64_e32 v[56:57], v[24:25], v[52:53]
	v_fma_f64 v[58:59], v[24:25], v[54:55], -v[58:59]
	s_waitcnt vmcnt(1)
	v_mul_f64 v[64:65], v[38:39], v[54:55]
	v_mul_f64 v[66:67], v[38:39], v[52:53]
	v_fmac_f64_e32 v[60:61], v[28:29], v[52:53]
	v_fma_f64 v[62:63], v[28:29], v[54:55], -v[62:63]
	ds_write_b128 v148, v[56:59]
	s_waitcnt vmcnt(0)
	v_mul_f64 v[84:85], v[34:35], v[54:55]
	v_mul_f64 v[72:73], v[34:35], v[52:53]
	v_fmac_f64_e32 v[64:65], v[36:37], v[52:53]
	v_fma_f64 v[66:67], v[36:37], v[54:55], -v[66:67]
	ds_read_b128 v[80:83], v147 offset:272
	ds_write_b128 v148, v[60:63] offset:1072
	v_fmac_f64_e32 v[84:85], v[32:33], v[52:53]
	v_fma_f64 v[86:87], v[32:33], v[54:55], -v[72:73]
	ds_read_b128 v[76:79], v147 offset:288
	ds_write_b128 v148, v[64:67] offset:2144
	ds_read_b128 v[72:75], v147 offset:304
	ds_write_b128 v148, v[84:87] offset:3216
	s_waitcnt lgkmcnt(0)
	s_barrier
	ds_read_b128 v[152:155], v146
	ds_read_b128 v[156:159], v146 offset:16
	ds_read_b128 v[160:163], v146 offset:32
	;; [unrolled: 1-line block ×3, first 2 shown]
	s_waitcnt lgkmcnt(0)
	s_barrier
	global_load_dwordx4 v[64:67], v[88:89], off
	v_lshl_add_u64 v[52:53], v[88:89], 0, s[8:9]
	global_load_dwordx4 v[60:63], v[52:53], off
	v_lshl_add_u64 v[52:53], v[52:53], 0, s[8:9]
	;; [unrolled: 2-line block ×3, first 2 shown]
	global_load_dwordx4 v[52:55], v[88:89], off
	ds_read_b128 v[84:87], v143
	ds_read_b128 v[100:103], v147 offset:512
	v_lshl_add_u64 v[140:141], v[88:89], 0, s[10:11]
	v_add_f64 v[104:105], v[152:153], 0
	v_add_f64 v[106:107], v[154:155], 0
	;; [unrolled: 1-line block ×8, first 2 shown]
	s_waitcnt vmcnt(3) lgkmcnt(1)
	v_mul_f64 v[88:89], v[66:67], v[86:87]
	v_mul_f64 v[90:91], v[66:67], v[84:85]
	s_waitcnt vmcnt(2)
	v_mul_f64 v[92:93], v[62:63], v[86:87]
	v_mul_f64 v[94:95], v[62:63], v[84:85]
	v_fmac_f64_e32 v[88:89], v[64:65], v[84:85]
	v_fma_f64 v[90:91], v[64:65], v[86:87], -v[90:91]
	s_waitcnt vmcnt(1)
	v_mul_f64 v[96:97], v[58:59], v[86:87]
	v_mul_f64 v[98:99], v[58:59], v[84:85]
	v_fmac_f64_e32 v[92:93], v[60:61], v[84:85]
	v_fma_f64 v[94:95], v[60:61], v[86:87], -v[94:95]
	ds_write_b128 v148, v[88:91]
	s_waitcnt vmcnt(0)
	v_mul_f64 v[168:169], v[54:55], v[86:87]
	v_mul_f64 v[108:109], v[54:55], v[84:85]
	v_fmac_f64_e32 v[96:97], v[56:57], v[84:85]
	v_fma_f64 v[98:99], v[56:57], v[86:87], -v[98:99]
	ds_read_b128 v[116:119], v147 offset:528
	ds_write_b128 v148, v[92:95] offset:1072
	v_fmac_f64_e32 v[168:169], v[52:53], v[84:85]
	v_fma_f64 v[170:171], v[52:53], v[86:87], -v[108:109]
	ds_read_b128 v[112:115], v147 offset:544
	ds_write_b128 v148, v[96:99] offset:2144
	v_lshl_add_u64 v[92:93], v[140:141], 0, s[8:9]
	ds_read_b128 v[108:111], v147 offset:560
	ds_write_b128 v148, v[168:171] offset:3216
	s_waitcnt lgkmcnt(0)
	s_barrier
	ds_read_b128 v[168:171], v146
	ds_read_b128 v[172:175], v146 offset:16
	ds_read_b128 v[176:179], v146 offset:32
	;; [unrolled: 1-line block ×3, first 2 shown]
	s_waitcnt lgkmcnt(0)
	s_barrier
	global_load_dwordx4 v[84:87], v[140:141], off
	v_lshl_add_u64 v[96:97], v[92:93], 0, s[8:9]
	global_load_dwordx4 v[88:91], v[92:93], off
	v_lshl_add_u64 v[140:141], v[96:97], 0, s[8:9]
	global_load_dwordx4 v[92:95], v[96:97], off
	v_add_f64 v[124:125], v[168:169], 0
	global_load_dwordx4 v[96:99], v[140:141], off
	ds_read_b128 v[120:123], v143
	ds_read_b128 v[104:107], v147 offset:768
	v_add_f64 v[126:127], v[170:171], 0
	v_add_f64 v[124:125], v[124:125], v[172:173]
	v_add_f64 v[126:127], v[126:127], v[174:175]
	v_add_f64 v[124:125], v[124:125], v[176:177]
	v_add_f64 v[126:127], v[126:127], v[178:179]
	v_add_f64 v[156:157], v[124:125], v[180:181]
	v_add_f64 v[158:159], v[126:127], v[182:183]
	s_waitcnt vmcnt(3) lgkmcnt(1)
	v_mul_f64 v[124:125], v[86:87], v[122:123]
	v_mul_f64 v[126:127], v[86:87], v[120:121]
	s_waitcnt vmcnt(2)
	v_mul_f64 v[128:129], v[90:91], v[122:123]
	v_mul_f64 v[130:131], v[90:91], v[120:121]
	v_fma_f64 v[126:127], v[84:85], v[122:123], -v[126:127]
	v_fmac_f64_e32 v[124:125], v[84:85], v[120:121]
	s_waitcnt vmcnt(1)
	v_mul_f64 v[160:161], v[94:95], v[122:123]
	v_mul_f64 v[162:163], v[94:95], v[120:121]
	s_waitcnt vmcnt(0)
	v_mul_f64 v[164:165], v[98:99], v[122:123]
	v_mul_f64 v[166:167], v[98:99], v[120:121]
	v_fma_f64 v[130:131], v[88:89], v[122:123], -v[130:131]
	v_fmac_f64_e32 v[128:129], v[88:89], v[120:121]
	ds_write_b128 v148, v[124:127]
	v_fma_f64 v[162:163], v[92:93], v[122:123], -v[162:163]
	v_fmac_f64_e32 v[160:161], v[92:93], v[120:121]
	v_fmac_f64_e32 v[164:165], v[96:97], v[120:121]
	v_fma_f64 v[166:167], v[96:97], v[122:123], -v[166:167]
	ds_read_b128 v[120:123], v147 offset:784
	ds_write_b128 v148, v[128:131] offset:1072
	ds_read_b128 v[124:127], v147 offset:800
	ds_write_b128 v148, v[160:163] offset:2144
	ds_read_b128 v[128:131], v147 offset:816
	ds_write_b128 v148, v[164:167] offset:3216
	s_waitcnt lgkmcnt(0)
	s_barrier
	ds_read_b128 v[160:163], v146
	ds_read_b128 v[164:167], v146 offset:16
	ds_read_b128 v[168:171], v146 offset:32
	;; [unrolled: 1-line block ×3, first 2 shown]
	s_waitcnt lgkmcnt(0)
	s_barrier
	ds_write_b128 v149, v[184:187]
	ds_write_b128 v149, v[152:155] offset:256
	ds_write_b128 v149, v[156:159] offset:512
	v_add_f64 v[152:153], v[160:161], 0
	v_add_f64 v[154:155], v[162:163], 0
	;; [unrolled: 1-line block ×8, first 2 shown]
	ds_write_b128 v149, v[152:155] offset:768
	s_waitcnt lgkmcnt(0)
	s_barrier
	s_and_saveexec_b64 s[12:13], s[4:5]
	s_cbranch_execz .LBB24_128
; %bb.132:                              ;   in Loop: Header=BB24_129 Depth=1
	ds_read_b128 v[152:155], v144
	ds_read_b128 v[156:159], v144 offset:16
	ds_read_b128 v[160:163], v144 offset:32
	;; [unrolled: 1-line block ×3, first 2 shown]
	v_add_u32_e32 v138, s3, v150
	s_waitcnt lgkmcnt(2)
	v_add_f64 v[152:153], v[156:157], v[152:153]
	v_add_f64 v[156:157], v[158:159], v[154:155]
	s_waitcnt lgkmcnt(1)
	v_add_f64 v[158:159], v[152:153], v[160:161]
	ds_read_b128 v[152:155], v144 offset:64
	v_add_f64 v[160:161], v[156:157], v[162:163]
	s_waitcnt lgkmcnt(1)
	v_add_f64 v[162:163], v[158:159], v[164:165]
	ds_read_b128 v[156:159], v144 offset:80
	;; [unrolled: 4-line block ×9, first 2 shown]
	v_add_f64 v[154:155], v[164:165], v[154:155]
	s_waitcnt lgkmcnt(1)
	v_add_f64 v[156:157], v[152:153], v[156:157]
	v_add_f64 v[164:165], v[154:155], v[158:159]
	ds_read_b128 v[152:155], v144 offset:208
	s_waitcnt lgkmcnt(1)
	v_add_f64 v[166:167], v[156:157], v[160:161]
	ds_read_b128 v[156:159], v144 offset:224
	v_add_f64 v[164:165], v[164:165], v[162:163]
	ds_read_b128 v[160:163], v145
	s_waitcnt lgkmcnt(2)
	v_add_f64 v[152:153], v[166:167], v[152:153]
	v_add_f64 v[154:155], v[164:165], v[154:155]
	s_waitcnt lgkmcnt(1)
	v_add_f64 v[152:153], v[152:153], v[156:157]
	v_add_f64 v[154:155], v[154:155], v[158:159]
	;; [unrolled: 3-line block ×3, first 2 shown]
	v_lshl_add_u64 v[156:157], v[138:139], 4, s[6:7]
	global_store_dwordx4 v[156:157], v[152:155], off
	s_branch .LBB24_128
.LBB24_133:
	s_movk_i32 s2, 0x430
	s_or_b64 s[0:1], s[0:1], vcc
	v_mad_u32_u24 v4, v142, s2, v134
	s_xor_b64 s[0:1], s[0:1], -1
	ds_write_b128 v4, v[0:3]
	s_waitcnt lgkmcnt(0)
	s_barrier
	s_and_saveexec_b64 s[2:3], s[0:1]
	s_cbranch_execz .LBB24_135
; %bb.134:
	ds_read_b128 v[0:3], v134 offset:1072
	ds_read_b128 v[4:7], v134
	ds_read_b128 v[8:11], v134 offset:2144
	ds_read_b128 v[12:15], v134 offset:3216
	s_waitcnt lgkmcnt(2)
	v_add_f64 v[0:1], v[0:1], v[4:5]
	v_add_f64 v[2:3], v[2:3], v[6:7]
	s_waitcnt lgkmcnt(1)
	v_add_f64 v[0:1], v[0:1], v[8:9]
	v_add_f64 v[2:3], v[2:3], v[10:11]
	;; [unrolled: 3-line block ×3, first 2 shown]
	v_lshl_add_u64 v[4:5], v[132:133], 4, s[6:7]
	global_store_dwordx4 v[4:5], v[0:3], off
.LBB24_135:
	s_endpgm
	.section	.rodata,"a",@progbits
	.p2align	6, 0x0
	.amdhsa_kernel _ZL26rocblas_hemvn_kernel_lowerILb1ELi64ELi4ELi33ELi32ELi16ElPK19rocblas_complex_numIdES3_PS1_EviT6_lT7_lT5_lS6_lS7_lS5_lT8_i
		.amdhsa_group_segment_fixed_size 19200
		.amdhsa_private_segment_fixed_size 0
		.amdhsa_kernarg_size 376
		.amdhsa_user_sgpr_count 2
		.amdhsa_user_sgpr_dispatch_ptr 0
		.amdhsa_user_sgpr_queue_ptr 0
		.amdhsa_user_sgpr_kernarg_segment_ptr 1
		.amdhsa_user_sgpr_dispatch_id 0
		.amdhsa_user_sgpr_kernarg_preload_length 0
		.amdhsa_user_sgpr_kernarg_preload_offset 0
		.amdhsa_user_sgpr_private_segment_size 0
		.amdhsa_uses_dynamic_stack 0
		.amdhsa_enable_private_segment 0
		.amdhsa_system_sgpr_workgroup_id_x 1
		.amdhsa_system_sgpr_workgroup_id_y 0
		.amdhsa_system_sgpr_workgroup_id_z 1
		.amdhsa_system_sgpr_workgroup_info 0
		.amdhsa_system_vgpr_workitem_id 1
		.amdhsa_next_free_vgpr 188
		.amdhsa_next_free_sgpr 44
		.amdhsa_accum_offset 188
		.amdhsa_reserve_vcc 1
		.amdhsa_float_round_mode_32 0
		.amdhsa_float_round_mode_16_64 0
		.amdhsa_float_denorm_mode_32 3
		.amdhsa_float_denorm_mode_16_64 3
		.amdhsa_dx10_clamp 1
		.amdhsa_ieee_mode 1
		.amdhsa_fp16_overflow 0
		.amdhsa_tg_split 0
		.amdhsa_exception_fp_ieee_invalid_op 0
		.amdhsa_exception_fp_denorm_src 0
		.amdhsa_exception_fp_ieee_div_zero 0
		.amdhsa_exception_fp_ieee_overflow 0
		.amdhsa_exception_fp_ieee_underflow 0
		.amdhsa_exception_fp_ieee_inexact 0
		.amdhsa_exception_int_div_zero 0
	.end_amdhsa_kernel
	.section	.text._ZL26rocblas_hemvn_kernel_lowerILb1ELi64ELi4ELi33ELi32ELi16ElPK19rocblas_complex_numIdES3_PS1_EviT6_lT7_lT5_lS6_lS7_lS5_lT8_i,"axG",@progbits,_ZL26rocblas_hemvn_kernel_lowerILb1ELi64ELi4ELi33ELi32ELi16ElPK19rocblas_complex_numIdES3_PS1_EviT6_lT7_lT5_lS6_lS7_lS5_lT8_i,comdat
.Lfunc_end24:
	.size	_ZL26rocblas_hemvn_kernel_lowerILb1ELi64ELi4ELi33ELi32ELi16ElPK19rocblas_complex_numIdES3_PS1_EviT6_lT7_lT5_lS6_lS7_lS5_lT8_i, .Lfunc_end24-_ZL26rocblas_hemvn_kernel_lowerILb1ELi64ELi4ELi33ELi32ELi16ElPK19rocblas_complex_numIdES3_PS1_EviT6_lT7_lT5_lS6_lS7_lS5_lT8_i
                                        ; -- End function
	.section	.AMDGPU.csdata,"",@progbits
; Kernel info:
; codeLenInByte = 9512
; NumSgprs: 50
; NumVgprs: 188
; NumAgprs: 0
; TotalNumVgprs: 188
; ScratchSize: 0
; MemoryBound: 0
; FloatMode: 240
; IeeeMode: 1
; LDSByteSize: 19200 bytes/workgroup (compile time only)
; SGPRBlocks: 6
; VGPRBlocks: 23
; NumSGPRsForWavesPerEU: 50
; NumVGPRsForWavesPerEU: 188
; AccumOffset: 188
; Occupancy: 2
; WaveLimiterHint : 0
; COMPUTE_PGM_RSRC2:SCRATCH_EN: 0
; COMPUTE_PGM_RSRC2:USER_SGPR: 2
; COMPUTE_PGM_RSRC2:TRAP_HANDLER: 0
; COMPUTE_PGM_RSRC2:TGID_X_EN: 1
; COMPUTE_PGM_RSRC2:TGID_Y_EN: 0
; COMPUTE_PGM_RSRC2:TGID_Z_EN: 1
; COMPUTE_PGM_RSRC2:TIDIG_COMP_CNT: 1
; COMPUTE_PGM_RSRC3_GFX90A:ACCUM_OFFSET: 46
; COMPUTE_PGM_RSRC3_GFX90A:TG_SPLIT: 0
	.section	.text._ZL36rocblas_hemvn_kernel_lower_block_sumILi64ElPK19rocblas_complex_numIdEPS1_S1_EviT1_lS5_lT2_lT0_lPT3_i,"axG",@progbits,_ZL36rocblas_hemvn_kernel_lower_block_sumILi64ElPK19rocblas_complex_numIdEPS1_S1_EviT1_lS5_lT2_lT0_lPT3_i,comdat
	.globl	_ZL36rocblas_hemvn_kernel_lower_block_sumILi64ElPK19rocblas_complex_numIdEPS1_S1_EviT1_lS5_lT2_lT0_lPT3_i ; -- Begin function _ZL36rocblas_hemvn_kernel_lower_block_sumILi64ElPK19rocblas_complex_numIdEPS1_S1_EviT1_lS5_lT2_lT0_lPT3_i
	.p2align	8
	.type	_ZL36rocblas_hemvn_kernel_lower_block_sumILi64ElPK19rocblas_complex_numIdEPS1_S1_EviT1_lS5_lT2_lT0_lPT3_i,@function
_ZL36rocblas_hemvn_kernel_lower_block_sumILi64ElPK19rocblas_complex_numIdEPS1_S1_EviT1_lS5_lT2_lT0_lPT3_i: ; @_ZL36rocblas_hemvn_kernel_lower_block_sumILi64ElPK19rocblas_complex_numIdEPS1_S1_EviT1_lS5_lT2_lT0_lPT3_i
; %bb.0:
	s_load_dwordx8 s[4:11], s[0:1], 0x8
	s_waitcnt lgkmcnt(0)
	s_mul_i32 s7, s3, s7
	s_mul_hi_u32 s12, s3, s6
	s_add_i32 s7, s12, s7
	s_mul_i32 s6, s3, s6
	s_lshl_b64 s[6:7], s[6:7], 4
	s_add_u32 s4, s4, s6
	s_addc_u32 s5, s5, s7
	s_load_dwordx4 s[12:15], s[4:5], 0x0
	s_mul_i32 s4, s3, s11
	s_mul_hi_u32 s5, s3, s10
	s_add_i32 s5, s5, s4
	s_mul_i32 s4, s3, s10
	s_lshl_b64 s[4:5], s[4:5], 4
	s_add_u32 s4, s8, s4
	s_addc_u32 s5, s9, s5
	s_load_dwordx4 s[8:11], s[4:5], 0x0
	s_waitcnt lgkmcnt(0)
	v_cmp_neq_f64_e64 s[4:5], s[12:13], 0
	v_cmp_neq_f64_e64 s[6:7], s[14:15], 0
	s_or_b64 s[16:17], s[4:5], s[6:7]
	s_mov_b64 s[4:5], -1
	s_and_b64 vcc, exec, s[16:17]
	s_cbranch_vccnz .LBB25_2
; %bb.1:
	v_cmp_neq_f64_e64 s[4:5], s[8:9], 1.0
	v_cmp_neq_f64_e64 s[6:7], s[10:11], 0
	s_or_b64 s[4:5], s[4:5], s[6:7]
.LBB25_2:
	s_andn2_b64 vcc, exec, s[4:5]
	s_cbranch_vccnz .LBB25_22
; %bb.3:
	s_load_dwordx2 s[18:19], s[0:1], 0x40
	s_load_dwordx4 s[4:7], s[0:1], 0x30
	s_load_dwordx2 s[22:23], s[0:1], 0x28
	s_load_dword s20, s[0:1], 0x0
	s_xor_b64 s[24:25], s[16:17], -1
	s_waitcnt lgkmcnt(0)
	s_mul_i32 s19, s3, s19
	s_mul_hi_u32 s21, s3, s18
	s_add_i32 s19, s21, s19
	s_mul_i32 s18, s3, s18
	s_lshl_b64 s[18:19], s[18:19], 4
	s_add_u32 s16, s22, s18
	s_addc_u32 s17, s23, s19
	s_lshl_b64 s[4:5], s[4:5], 4
	s_add_u32 s16, s16, s4
	v_lshl_or_b32 v6, s2, 6, v0
	s_addc_u32 s17, s17, s5
	s_andn2_b64 vcc, exec, s[24:25]
	v_cmp_gt_i32_e64 s[4:5], s20, v6
	s_cbranch_vccnz .LBB25_8
; %bb.4:
	s_mov_b64 s[22:23], 0
	s_mov_b64 s[18:19], 0
                                        ; implicit-def: $vgpr2_vgpr3
                                        ; implicit-def: $vgpr4_vgpr5
	s_and_saveexec_b64 s[24:25], s[4:5]
	s_cbranch_execz .LBB25_9
; %bb.5:
	v_cmp_neq_f64_e64 s[4:5], s[8:9], 0
	v_cmp_neq_f64_e64 s[18:19], s[10:11], 0
	v_ashrrev_i32_e32 v0, 31, v6
	v_mov_b64_e32 v[2:3], 0
	v_mul_lo_u32 v1, v6, s7
	v_mul_lo_u32 v0, v0, s6
	v_mad_u64_u32 v[4:5], s[26:27], v6, s6, 0
	s_or_b64 s[4:5], s[4:5], s[18:19]
	v_add3_u32 v5, v5, v1, v0
	s_andn2_b64 vcc, exec, s[4:5]
	v_mov_b64_e32 v[0:1], v[2:3]
	s_cbranch_vccnz .LBB25_7
; %bb.6:
	v_lshl_add_u64 v[0:1], v[4:5], 4, s[16:17]
	global_load_dwordx4 v[8:11], v[0:1], off
	s_waitcnt vmcnt(0)
	v_mul_f64 v[0:1], s[10:11], v[10:11]
	v_mul_f64 v[2:3], s[8:9], v[10:11]
	v_fma_f64 v[0:1], s[8:9], v[8:9], -v[0:1]
	v_fmac_f64_e32 v[2:3], s[10:11], v[8:9]
.LBB25_7:
	s_mov_b64 s[18:19], exec
	s_or_b64 exec, exec, s[24:25]
	s_and_b64 vcc, exec, s[22:23]
	s_cbranch_vccnz .LBB25_10
	s_branch .LBB25_20
.LBB25_8:
	s_mov_b64 s[18:19], 0
                                        ; implicit-def: $vgpr2_vgpr3
                                        ; implicit-def: $vgpr4_vgpr5
	s_cbranch_execnz .LBB25_10
	s_branch .LBB25_20
.LBB25_9:
	s_or_b64 exec, exec, s[24:25]
	s_and_b64 vcc, exec, s[22:23]
	s_cbranch_vccz .LBB25_20
.LBB25_10:
	v_cmp_gt_i32_e32 vcc, s20, v6
                                        ; implicit-def: $vgpr2_vgpr3
                                        ; implicit-def: $vgpr4_vgpr5
	s_and_saveexec_b64 s[4:5], vcc
	s_cbranch_execz .LBB25_19
; %bb.11:
	s_load_dword s22, s[0:1], 0x58
	v_mov_b64_e32 v[0:1], 0
	v_mov_b64_e32 v[4:5], v[0:1]
	s_waitcnt lgkmcnt(0)
	s_cmp_ge_i32 s2, s22
	s_cbranch_scc1 .LBB25_14
; %bb.12:
	s_ashr_i32 s21, s20, 31
	s_mul_i32 s23, s2, s20
	s_load_dwordx2 s[0:1], s[0:1], 0x48
	v_add_u32_e32 v0, s23, v6
	s_mul_hi_u32 s23, s20, s3
	s_mul_i32 s24, s21, s3
	s_add_i32 s23, s23, s24
	s_mul_i32 s3, s20, s3
	s_mul_i32 s23, s23, s22
	s_mul_hi_u32 s24, s3, s22
	s_add_i32 s25, s24, s23
	s_mul_i32 s24, s3, s22
	s_lshl_b64 s[24:25], s[24:25], 4
	s_waitcnt lgkmcnt(0)
	s_add_u32 s0, s0, s24
	v_ashrrev_i32_e32 v1, 31, v0
	s_addc_u32 s1, s1, s25
	v_lshl_add_u64 v[0:1], v[0:1], 4, s[0:1]
	v_lshl_add_u64 v[2:3], v[0:1], 0, 8
	v_mov_b64_e32 v[0:1], 0
	s_lshl_b64 s[0:1], s[20:21], 4
	v_mov_b64_e32 v[4:5], v[0:1]
.LBB25_13:                              ; =>This Inner Loop Header: Depth=1
	global_load_dwordx4 v[8:11], v[2:3], off offset:-8
	s_add_i32 s2, s2, 1
	v_lshl_add_u64 v[2:3], v[2:3], 0, s[0:1]
	s_cmp_ge_i32 s2, s22
	s_waitcnt vmcnt(0)
	v_add_f64 v[4:5], v[4:5], v[8:9]
	v_add_f64 v[0:1], v[0:1], v[10:11]
	s_cbranch_scc0 .LBB25_13
.LBB25_14:
	v_cmp_neq_f64_e64 s[2:3], s[8:9], 0
	v_cmp_neq_f64_e64 s[20:21], s[10:11], 0
	s_or_b64 s[2:3], s[2:3], s[20:21]
	v_mul_f64 v[8:9], s[14:15], v[0:1]
	v_mul_f64 v[2:3], s[12:13], v[0:1]
	v_ashrrev_i32_e32 v10, 31, v6
	s_mov_b64 s[0:1], 0
	s_andn2_b64 vcc, exec, s[2:3]
	v_fma_f64 v[0:1], s[12:13], v[4:5], -v[8:9]
	v_fmac_f64_e32 v[2:3], s[14:15], v[4:5]
	v_mul_lo_u32 v7, v6, s7
	v_mul_lo_u32 v8, v10, s6
	s_cbranch_vccz .LBB25_16
; %bb.15:
	v_mad_u64_u32 v[4:5], s[2:3], v6, s6, 0
	v_add3_u32 v5, v5, v7, v8
	s_andn2_b64 vcc, exec, s[0:1]
	s_cbranch_vccz .LBB25_17
	s_branch .LBB25_18
.LBB25_16:
                                        ; implicit-def: $vgpr4_vgpr5
.LBB25_17:
	v_mad_u64_u32 v[4:5], s[0:1], v6, s6, 0
	v_add3_u32 v5, v5, v7, v8
	v_lshl_add_u64 v[6:7], v[4:5], 4, s[16:17]
	global_load_dwordx4 v[6:9], v[6:7], off
	s_waitcnt vmcnt(0)
	v_mul_f64 v[10:11], s[10:11], v[8:9]
	v_mul_f64 v[8:9], s[8:9], v[8:9]
	v_fma_f64 v[10:11], s[8:9], v[6:7], -v[10:11]
	v_fmac_f64_e32 v[8:9], s[10:11], v[6:7]
	v_add_f64 v[0:1], v[0:1], v[10:11]
	v_add_f64 v[2:3], v[2:3], v[8:9]
.LBB25_18:
	s_or_b64 s[18:19], s[18:19], exec
.LBB25_19:
	s_or_b64 exec, exec, s[4:5]
.LBB25_20:
	s_and_saveexec_b64 s[0:1], s[18:19]
	s_cbranch_execz .LBB25_22
; %bb.21:
	v_lshl_add_u64 v[4:5], v[4:5], 4, s[16:17]
	global_store_dwordx4 v[4:5], v[0:3], off
.LBB25_22:
	s_endpgm
	.section	.rodata,"a",@progbits
	.p2align	6, 0x0
	.amdhsa_kernel _ZL36rocblas_hemvn_kernel_lower_block_sumILi64ElPK19rocblas_complex_numIdEPS1_S1_EviT1_lS5_lT2_lT0_lPT3_i
		.amdhsa_group_segment_fixed_size 0
		.amdhsa_private_segment_fixed_size 0
		.amdhsa_kernarg_size 344
		.amdhsa_user_sgpr_count 2
		.amdhsa_user_sgpr_dispatch_ptr 0
		.amdhsa_user_sgpr_queue_ptr 0
		.amdhsa_user_sgpr_kernarg_segment_ptr 1
		.amdhsa_user_sgpr_dispatch_id 0
		.amdhsa_user_sgpr_kernarg_preload_length 0
		.amdhsa_user_sgpr_kernarg_preload_offset 0
		.amdhsa_user_sgpr_private_segment_size 0
		.amdhsa_uses_dynamic_stack 0
		.amdhsa_enable_private_segment 0
		.amdhsa_system_sgpr_workgroup_id_x 1
		.amdhsa_system_sgpr_workgroup_id_y 0
		.amdhsa_system_sgpr_workgroup_id_z 1
		.amdhsa_system_sgpr_workgroup_info 0
		.amdhsa_system_vgpr_workitem_id 0
		.amdhsa_next_free_vgpr 12
		.amdhsa_next_free_sgpr 28
		.amdhsa_accum_offset 12
		.amdhsa_reserve_vcc 1
		.amdhsa_float_round_mode_32 0
		.amdhsa_float_round_mode_16_64 0
		.amdhsa_float_denorm_mode_32 3
		.amdhsa_float_denorm_mode_16_64 3
		.amdhsa_dx10_clamp 1
		.amdhsa_ieee_mode 1
		.amdhsa_fp16_overflow 0
		.amdhsa_tg_split 0
		.amdhsa_exception_fp_ieee_invalid_op 0
		.amdhsa_exception_fp_denorm_src 0
		.amdhsa_exception_fp_ieee_div_zero 0
		.amdhsa_exception_fp_ieee_overflow 0
		.amdhsa_exception_fp_ieee_underflow 0
		.amdhsa_exception_fp_ieee_inexact 0
		.amdhsa_exception_int_div_zero 0
	.end_amdhsa_kernel
	.section	.text._ZL36rocblas_hemvn_kernel_lower_block_sumILi64ElPK19rocblas_complex_numIdEPS1_S1_EviT1_lS5_lT2_lT0_lPT3_i,"axG",@progbits,_ZL36rocblas_hemvn_kernel_lower_block_sumILi64ElPK19rocblas_complex_numIdEPS1_S1_EviT1_lS5_lT2_lT0_lPT3_i,comdat
.Lfunc_end25:
	.size	_ZL36rocblas_hemvn_kernel_lower_block_sumILi64ElPK19rocblas_complex_numIdEPS1_S1_EviT1_lS5_lT2_lT0_lPT3_i, .Lfunc_end25-_ZL36rocblas_hemvn_kernel_lower_block_sumILi64ElPK19rocblas_complex_numIdEPS1_S1_EviT1_lS5_lT2_lT0_lPT3_i
                                        ; -- End function
	.section	.AMDGPU.csdata,"",@progbits
; Kernel info:
; codeLenInByte = 844
; NumSgprs: 34
; NumVgprs: 12
; NumAgprs: 0
; TotalNumVgprs: 12
; ScratchSize: 0
; MemoryBound: 0
; FloatMode: 240
; IeeeMode: 1
; LDSByteSize: 0 bytes/workgroup (compile time only)
; SGPRBlocks: 4
; VGPRBlocks: 1
; NumSGPRsForWavesPerEU: 34
; NumVGPRsForWavesPerEU: 12
; AccumOffset: 12
; Occupancy: 8
; WaveLimiterHint : 0
; COMPUTE_PGM_RSRC2:SCRATCH_EN: 0
; COMPUTE_PGM_RSRC2:USER_SGPR: 2
; COMPUTE_PGM_RSRC2:TRAP_HANDLER: 0
; COMPUTE_PGM_RSRC2:TGID_X_EN: 1
; COMPUTE_PGM_RSRC2:TGID_Y_EN: 0
; COMPUTE_PGM_RSRC2:TGID_Z_EN: 1
; COMPUTE_PGM_RSRC2:TIDIG_COMP_CNT: 0
; COMPUTE_PGM_RSRC3_GFX90A:ACCUM_OFFSET: 2
; COMPUTE_PGM_RSRC3_GFX90A:TG_SPLIT: 0
	.section	.text._ZL26rocblas_hemvn_kernel_lowerILb1ELi64ELi4ELi33ELi32ELi16EiPK19rocblas_complex_numIdES3_PS1_EviT6_lT7_lT5_lS6_lS7_lS5_lT8_i,"axG",@progbits,_ZL26rocblas_hemvn_kernel_lowerILb1ELi64ELi4ELi33ELi32ELi16EiPK19rocblas_complex_numIdES3_PS1_EviT6_lT7_lT5_lS6_lS7_lS5_lT8_i,comdat
	.globl	_ZL26rocblas_hemvn_kernel_lowerILb1ELi64ELi4ELi33ELi32ELi16EiPK19rocblas_complex_numIdES3_PS1_EviT6_lT7_lT5_lS6_lS7_lS5_lT8_i ; -- Begin function _ZL26rocblas_hemvn_kernel_lowerILb1ELi64ELi4ELi33ELi32ELi16EiPK19rocblas_complex_numIdES3_PS1_EviT6_lT7_lT5_lS6_lS7_lS5_lT8_i
	.p2align	8
	.type	_ZL26rocblas_hemvn_kernel_lowerILb1ELi64ELi4ELi33ELi32ELi16EiPK19rocblas_complex_numIdES3_PS1_EviT6_lT7_lT5_lS6_lS7_lS5_lT8_i,@function
_ZL26rocblas_hemvn_kernel_lowerILb1ELi64ELi4ELi33ELi32ELi16EiPK19rocblas_complex_numIdES3_PS1_EviT6_lT7_lT5_lS6_lS7_lS5_lT8_i: ; @_ZL26rocblas_hemvn_kernel_lowerILb1ELi64ELi4ELi33ELi32ELi16EiPK19rocblas_complex_numIdES3_PS1_EviT6_lT7_lT5_lS6_lS7_lS5_lT8_i
; %bb.0:
	s_load_dwordx2 s[4:5], s[0:1], 0x84
	s_add_u32 s12, s0, 0x78
	s_addc_u32 s13, s1, 0
	s_waitcnt lgkmcnt(0)
	s_lshr_b32 s6, s4, 16
	s_and_b32 s4, s4, 0xffff
	s_and_b32 s5, s5, 0xffff
	s_mul_i32 s4, s6, s4
	s_mul_i32 s4, s4, s5
	s_cmpk_lg_i32 s4, 0x100
	s_cbranch_scc1 .LBB26_135
; %bb.1:
	s_load_dwordx8 s[4:11], s[0:1], 0x8
	s_waitcnt lgkmcnt(0)
	s_mul_i32 s7, s3, s7
	s_mul_hi_u32 s14, s3, s6
	s_mul_i32 s6, s3, s6
	s_add_i32 s7, s14, s7
	s_lshl_b64 s[6:7], s[6:7], 4
	s_add_u32 s14, s4, s6
	s_addc_u32 s15, s5, s7
	s_load_dwordx4 s[4:7], s[14:15], 0x0
	s_load_dwordx8 s[16:23], s[0:1], 0x50
	s_waitcnt lgkmcnt(0)
	v_cmp_neq_f64_e64 s[4:5], s[4:5], 0
	v_cmp_neq_f64_e64 s[6:7], s[6:7], 0
	s_or_b64 s[4:5], s[4:5], s[6:7]
	s_mov_b64 s[6:7], -1
	s_and_b64 vcc, exec, s[4:5]
	s_cbranch_vccnz .LBB26_3
; %bb.2:
	s_mul_i32 s6, s3, s21
	s_mul_hi_u32 s7, s3, s20
	s_add_i32 s7, s7, s6
	s_mul_i32 s6, s3, s20
	s_lshl_b64 s[6:7], s[6:7], 4
	s_add_u32 s6, s18, s6
	s_addc_u32 s7, s19, s7
	s_load_dwordx4 s[24:27], s[6:7], 0x0
	s_waitcnt lgkmcnt(0)
	v_cmp_neq_f64_e64 s[6:7], s[24:25], 1.0
	v_cmp_neq_f64_e64 s[14:15], s[26:27], 0
	s_or_b64 s[6:7], s[6:7], s[14:15]
.LBB26_3:
	s_andn2_b64 vcc, exec, s[6:7]
	s_cbranch_vccnz .LBB26_135
; %bb.4:
	s_andn2_b64 vcc, exec, s[4:5]
	s_cbranch_vccnz .LBB26_135
; %bb.5:
	s_load_dword s39, s[12:13], 0x0
	s_load_dword s38, s[0:1], 0x0
	s_load_dwordx4 s[4:7], s[0:1], 0x30
	s_load_dwordx2 s[14:15], s[0:1], 0x40
	s_load_dword s33, s[0:1], 0x48
	s_mul_i32 s12, s3, s17
	s_mul_hi_u32 s13, s3, s16
	s_add_i32 s13, s13, s12
	s_mul_i32 s12, s3, s16
	s_lshl_b64 s[12:13], s[12:13], 4
	s_waitcnt lgkmcnt(0)
	s_add_u32 s12, s6, s12
	s_addc_u32 s13, s7, s13
	s_lshl_b64 s[6:7], s[14:15], 4
	s_add_u32 s6, s12, s6
	s_addc_u32 s7, s13, s7
	s_ashr_i32 s40, s38, 31
	s_lshr_b32 s13, s40, 26
	v_and_b32_e32 v42, 0x3ff, v0
	s_lshl_b32 s24, s2, 6
	s_add_i32 s13, s38, s13
	s_andn2_b32 s13, s13, 63
	v_add_u32_e32 v132, s24, v42
	v_bfe_u32 v133, v0, 10, 10
	s_add_i32 s12, s39, -1
	s_sub_i32 s13, s38, s13
	v_mul_lo_u32 v0, v132, s33
	s_cmp_eq_u32 s2, s12
	v_ashrrev_i32_e32 v1, 31, v0
	s_cselect_b32 s20, s13, 0
	v_lshl_add_u64 v[36:37], v[0:1], 4, s[6:7]
	v_cmp_ne_u32_e64 s[16:17], 0, v133
	v_cmp_eq_u32_e64 s[18:19], 0, v133
	s_and_saveexec_b64 s[6:7], s[18:19]
	s_cbranch_execz .LBB26_10
; %bb.6:
	s_cmp_lg_u32 s20, 0
	s_cselect_b64 s[12:13], -1, 0
	v_cmp_le_i32_e32 vcc, s20, v42
	v_mov_b32_e32 v0, 0x4700
	s_and_b64 s[12:13], s[12:13], vcc
	v_lshl_add_u32 v0, v42, 4, v0
	s_and_saveexec_b64 s[14:15], s[12:13]
	s_xor_b64 s[12:13], exec, s[14:15]
	s_cbranch_execz .LBB26_8
; %bb.7:
	v_mov_b32_e32 v2, 0
	v_mov_b32_e32 v3, v2
	;; [unrolled: 1-line block ×4, first 2 shown]
	ds_write_b128 v0, v[2:5]
                                        ; implicit-def: $vgpr0
.LBB26_8:
	s_andn2_saveexec_b64 s[12:13], s[12:13]
	s_cbranch_execz .LBB26_10
; %bb.9:
	global_load_dwordx4 v[2:5], v[36:37], off
	s_waitcnt vmcnt(0)
	ds_write2_b64 v0, v[2:3], v[4:5] offset1:1
.LBB26_10:
	s_or_b64 exec, exec, s[6:7]
	s_mul_i32 s5, s3, s5
	s_mul_hi_u32 s6, s3, s4
	s_add_i32 s5, s6, s5
	s_mul_i32 s4, s3, s4
	s_lshl_b64 s[4:5], s[4:5], 4
	s_add_u32 s6, s8, s4
	s_addc_u32 s7, s9, s5
	s_lshl_b64 s[4:5], s[10:11], 4
	s_load_dword s26, s[0:1], 0x28
	s_add_u32 s4, s6, s4
	s_addc_u32 s5, s7, s5
	s_ashr_i32 s25, s24, 31
	v_lshl_add_u32 v43, v133, 6, v42
	s_lshl_b64 s[0:1], s[24:25], 4
	v_and_b32_e32 v4, 31, v42
	v_lshrrev_b32_e32 v5, 5, v43
	s_add_u32 s4, s4, s0
	s_addc_u32 s5, s5, s1
	s_waitcnt lgkmcnt(0)
	v_mad_u64_u32 v[38:39], s[0:1], v5, s26, v[4:5]
	s_mul_i32 s0, s24, s26
	s_ashr_i32 s1, s0, 31
	s_lshl_b64 s[28:29], s[0:1], 4
	s_add_u32 s0, s28, s4
	s_addc_u32 s1, s29, s5
	s_cmp_lg_u32 s20, 0
	v_ashrrev_i32_e32 v39, 31, v38
	s_cselect_b64 s[30:31], -1, 0
	s_cmp_eq_u32 s20, 0
	v_lshl_add_u64 v[6:7], v[38:39], 4, s[0:1]
	s_cselect_b64 s[34:35], -1, 0
	s_and_b64 vcc, exec, s[30:31]
	s_cbranch_vccnz .LBB26_12
; %bb.11:
	s_lshl_b32 s0, s26, 3
	s_ashr_i32 s1, s0, 31
	s_ashr_i32 s27, s26, 31
	global_load_dwordx4 v[0:3], v[6:7], off
	v_lshl_add_u64 v[12:13], s[0:1], 4, v[6:7]
	global_load_dwordx4 v[8:11], v[12:13], off
	s_lshl_b64 s[0:1], s[26:27], 7
	v_lshl_add_u64 v[16:17], v[12:13], 0, s[0:1]
	global_load_dwordx4 v[12:15], v[16:17], off
	v_lshl_add_u64 v[16:17], v[16:17], 0, s[0:1]
	global_load_dwordx4 v[16:19], v[16:17], off
	v_mul_u32_u24_e32 v20, 33, v5
	v_add_lshl_u32 v20, v20, v4, 4
	v_add_u32_e32 v21, 0x1080, v20
	v_add_u32_e32 v22, 0x2100, v20
	v_add_u32_e32 v23, 0x3180, v20
	s_waitcnt vmcnt(3)
	ds_write2_b64 v20, v[0:1], v[2:3] offset1:1
	s_waitcnt vmcnt(2)
	ds_write2_b64 v21, v[8:9], v[10:11] offset1:1
	s_waitcnt vmcnt(1)
	ds_write2_b64 v22, v[12:13], v[14:15] offset1:1
	s_waitcnt vmcnt(0)
	ds_write2_b64 v23, v[16:17], v[18:19] offset1:1
	s_cbranch_execz .LBB26_13
	s_branch .LBB26_30
.LBB26_12:
.LBB26_13:
	v_lshlrev_b32_e32 v0, 4, v4
	v_sub_co_u32_e32 v2, vcc, v6, v0
	s_ashr_i32 s21, s20, 31
	s_nop 0
	v_subbrev_co_u32_e32 v3, vcc, 0, v7, vcc
	v_lshl_add_u64 v[2:3], s[20:21], 4, v[2:3]
	v_lshl_add_u64 v[2:3], v[2:3], 0, -16
	v_cmp_gt_i32_e32 vcc, s20, v4
	v_mul_u32_u24_e32 v1, 33, v5
	v_cmp_le_i32_e64 s[0:1], s20, v5
	v_cndmask_b32_e32 v3, v3, v7, vcc
	v_cndmask_b32_e32 v2, v2, v6, vcc
	v_add_lshl_u32 v1, v1, v4, 4
	s_and_saveexec_b64 s[4:5], s[0:1]
	s_xor_b64 s[0:1], exec, s[4:5]
	s_cbranch_execz .LBB26_15
; %bb.14:
	v_mov_b32_e32 v8, 0
	v_mov_b32_e32 v9, v8
	;; [unrolled: 1-line block ×4, first 2 shown]
	ds_write_b128 v1, v[8:11]
.LBB26_15:
	s_andn2_saveexec_b64 s[0:1], s[0:1]
	s_cbranch_execz .LBB26_17
; %bb.16:
	global_load_dwordx4 v[8:11], v[2:3], off
	s_waitcnt vmcnt(0)
	ds_write2_b64 v1, v[8:9], v[10:11] offset1:1
.LBB26_17:
	s_or_b64 exec, exec, s[0:1]
	v_add_u32_e32 v8, 8, v5
	v_cmp_le_i32_e64 s[0:1], s20, v8
	s_and_saveexec_b64 s[4:5], s[0:1]
	s_xor_b64 s[0:1], exec, s[4:5]
	s_cbranch_execz .LBB26_19
; %bb.18:
	v_mul_u32_u24_e32 v8, 33, v8
	v_add_lshl_u32 v12, v8, v4, 4
	v_mov_b32_e32 v8, 0
	v_mov_b32_e32 v9, v8
	;; [unrolled: 1-line block ×4, first 2 shown]
	ds_write_b128 v12, v[8:11]
.LBB26_19:
	s_andn2_saveexec_b64 s[0:1], s[0:1]
	s_cbranch_execz .LBB26_21
; %bb.20:
	s_lshl_b32 s4, s26, 3
	s_ashr_i32 s5, s4, 31
	v_lshl_add_u64 v[8:9], s[4:5], 4, v[2:3]
	global_load_dwordx4 v[8:11], v[8:9], off
	v_add_u32_e32 v12, 0x1080, v1
	s_waitcnt vmcnt(0)
	ds_write2_b64 v12, v[8:9], v[10:11] offset1:1
.LBB26_21:
	s_or_b64 exec, exec, s[0:1]
	v_add_u32_e32 v8, 16, v5
	v_cmp_le_i32_e64 s[0:1], s20, v8
	s_and_saveexec_b64 s[4:5], s[0:1]
	s_xor_b64 s[0:1], exec, s[4:5]
	s_cbranch_execz .LBB26_23
; %bb.22:
	v_mul_u32_u24_e32 v8, 33, v8
	v_add_lshl_u32 v12, v8, v4, 4
	v_mov_b32_e32 v8, 0
	v_mov_b32_e32 v9, v8
	;; [unrolled: 1-line block ×4, first 2 shown]
	ds_write_b128 v12, v[8:11]
.LBB26_23:
	s_andn2_saveexec_b64 s[0:1], s[0:1]
	s_cbranch_execz .LBB26_25
; %bb.24:
	s_lshl_b32 s4, s26, 4
	s_ashr_i32 s5, s4, 31
	v_lshl_add_u64 v[8:9], s[4:5], 4, v[2:3]
	global_load_dwordx4 v[8:11], v[8:9], off
	v_add_u32_e32 v12, 0x2100, v1
	s_waitcnt vmcnt(0)
	ds_write2_b64 v12, v[8:9], v[10:11] offset1:1
.LBB26_25:
	s_or_b64 exec, exec, s[0:1]
	v_add_u32_e32 v8, 24, v5
	v_cmp_le_i32_e64 s[0:1], s20, v8
	s_and_saveexec_b64 s[4:5], s[0:1]
	s_xor_b64 s[0:1], exec, s[4:5]
	s_cbranch_execz .LBB26_27
; %bb.26:
	v_mov_b32_e32 v8, 0
	v_mov_b32_e32 v9, v8
	;; [unrolled: 1-line block ×4, first 2 shown]
	ds_write_b128 v1, v[8:11] offset:12672
                                        ; implicit-def: $vgpr1
.LBB26_27:
	s_andn2_saveexec_b64 s[0:1], s[0:1]
	s_cbranch_execz .LBB26_29
; %bb.28:
	s_mul_i32 s4, s26, 24
	s_ashr_i32 s5, s4, 31
	v_lshl_add_u64 v[8:9], s[4:5], 4, v[2:3]
	global_load_dwordx4 v[8:11], v[8:9], off
	v_add_u32_e32 v1, 0x3180, v1
	s_waitcnt vmcnt(0)
	ds_write2_b64 v1, v[8:9], v[10:11] offset1:1
.LBB26_29:
	s_or_b64 exec, exec, s[0:1]
	v_mov_b32_e32 v1, 0
	v_lshl_add_u64 v[0:1], v[2:3], 0, v[0:1]
	s_lshl_b64 s[0:1], s[20:21], 4
	v_mov_b32_e32 v2, s1
	v_subrev_co_u32_e64 v0, s[0:1], s0, v0
	s_nop 1
	v_subb_co_u32_e64 v1, s[0:1], v1, v2, s[0:1]
	v_lshl_add_u64 v[0:1], v[0:1], 0, 16
	v_cndmask_b32_e32 v7, v1, v7, vcc
	v_cndmask_b32_e32 v6, v0, v6, vcc
.LBB26_30:
	v_lshlrev_b32_e32 v13, 2, v5
	v_cmp_ge_u32_e64 s[6:7], v13, v4
	s_waitcnt lgkmcnt(0)
	s_barrier
	s_and_saveexec_b64 s[0:1], s[6:7]
	s_xor_b64 s[0:1], exec, s[0:1]
	s_cbranch_execz .LBB26_34
; %bb.31:
	v_cmp_eq_u32_e32 vcc, v13, v4
	s_and_saveexec_b64 s[4:5], vcc
	s_cbranch_execz .LBB26_33
; %bb.32:
	v_mul_u32_u24_e32 v0, 34, v4
	v_lshlrev_b32_e32 v2, 4, v0
	v_mov_b32_e32 v0, 0
	v_mov_b32_e32 v1, v0
	ds_write_b64 v2, v[0:1] offset:8
.LBB26_33:
	s_or_b64 exec, exec, s[4:5]
.LBB26_34:
	s_or_saveexec_b64 s[0:1], s[0:1]
	v_mul_u32_u24_e32 v44, 33, v4
	v_add_lshl_u32 v16, v13, v44, 4
	s_xor_b64 exec, exec, s[0:1]
	s_cbranch_execz .LBB26_36
; %bb.35:
	v_mul_u32_u24_e32 v0, 0x84, v5
	v_add_lshl_u32 v0, v0, v4, 4
	ds_read_b128 v[0:3], v0
	s_waitcnt lgkmcnt(0)
	v_xor_b32_e32 v3, 0x80000000, v3
	ds_write_b128 v16, v[0:3]
.LBB26_36:
	s_or_b64 exec, exec, s[0:1]
	v_or_b32_e32 v14, 1, v13
	v_cmp_ge_u32_e64 s[8:9], v14, v4
	s_and_saveexec_b64 s[0:1], s[8:9]
	s_xor_b64 s[0:1], exec, s[0:1]
	s_cbranch_execz .LBB26_40
; %bb.37:
	v_cmp_eq_u32_e32 vcc, v14, v4
	s_and_saveexec_b64 s[4:5], vcc
	s_cbranch_execz .LBB26_39
; %bb.38:
	v_mul_u32_u24_e32 v0, 34, v4
	v_lshlrev_b32_e32 v2, 4, v0
	v_mov_b32_e32 v0, 0
	v_mov_b32_e32 v1, v0
	ds_write_b64 v2, v[0:1] offset:8
.LBB26_39:
	s_or_b64 exec, exec, s[4:5]
.LBB26_40:
	s_or_saveexec_b64 s[0:1], s[0:1]
	v_mul_u32_u24_e32 v0, 33, v14
	s_xor_b64 exec, exec, s[0:1]
	s_cbranch_execz .LBB26_42
; %bb.41:
	v_add_lshl_u32 v1, v0, v4, 4
	ds_read_b128 v[8:11], v1
	s_waitcnt lgkmcnt(0)
	v_xor_b32_e32 v11, 0x80000000, v11
	ds_write_b128 v16, v[8:11] offset:16
.LBB26_42:
	s_or_b64 exec, exec, s[0:1]
	v_or_b32_e32 v15, 2, v13
	v_cmp_ge_u32_e64 s[10:11], v15, v4
	s_and_saveexec_b64 s[0:1], s[10:11]
	s_xor_b64 s[0:1], exec, s[0:1]
	s_cbranch_execz .LBB26_46
; %bb.43:
	v_cmp_eq_u32_e32 vcc, v15, v4
	s_and_saveexec_b64 s[4:5], vcc
	s_cbranch_execz .LBB26_45
; %bb.44:
	v_mul_u32_u24_e32 v1, 34, v4
	v_mov_b32_e32 v2, 0
	v_lshlrev_b32_e32 v1, 4, v1
	v_mov_b32_e32 v3, v2
	ds_write_b64 v1, v[2:3] offset:8
.LBB26_45:
	s_or_b64 exec, exec, s[4:5]
.LBB26_46:
	s_andn2_saveexec_b64 s[0:1], s[0:1]
	s_cbranch_execz .LBB26_48
; %bb.47:
	v_mul_u32_u24_e32 v1, 33, v15
	v_add_lshl_u32 v1, v1, v4, 4
	ds_read_b128 v[8:11], v1
	s_waitcnt lgkmcnt(0)
	v_xor_b32_e32 v11, 0x80000000, v11
	ds_write_b128 v16, v[8:11] offset:32
.LBB26_48:
	s_or_b64 exec, exec, s[0:1]
	v_or_b32_e32 v17, 3, v13
	v_cmp_ge_u32_e64 s[12:13], v17, v4
	s_and_saveexec_b64 s[0:1], s[12:13]
	s_xor_b64 s[0:1], exec, s[0:1]
	s_cbranch_execz .LBB26_52
; %bb.49:
	v_cmp_eq_u32_e32 vcc, v17, v4
	s_and_saveexec_b64 s[4:5], vcc
	s_cbranch_execz .LBB26_51
; %bb.50:
	v_mul_u32_u24_e32 v1, 34, v4
	v_mov_b32_e32 v2, 0
	v_lshlrev_b32_e32 v1, 4, v1
	v_mov_b32_e32 v3, v2
	ds_write_b64 v1, v[2:3] offset:8
.LBB26_51:
	s_or_b64 exec, exec, s[4:5]
.LBB26_52:
	s_andn2_saveexec_b64 s[0:1], s[0:1]
	s_cbranch_execz .LBB26_54
; %bb.53:
	v_mul_u32_u24_e32 v1, 33, v17
	v_add_lshl_u32 v1, v1, v4, 4
	ds_read_b128 v[8:11], v1
	s_waitcnt lgkmcnt(0)
	v_xor_b32_e32 v11, 0x80000000, v11
	ds_write_b128 v16, v[8:11] offset:48
.LBB26_54:
	s_or_b64 exec, exec, s[0:1]
	v_mul_u32_u24_e32 v1, 0x84, v5
	v_lshlrev_b32_e32 v19, 4, v13
	s_waitcnt lgkmcnt(0)
	s_barrier
	v_add_lshl_u32 v18, v1, v4, 4
	ds_read_b128 v[8:11], v19 offset:18176
	ds_read_b128 v[20:23], v19 offset:18192
	ds_read_b128 v[24:27], v18
	ds_read_b128 v[28:31], v19 offset:18208
	ds_read_b128 v[32:35], v19 offset:18224
	v_add_lshl_u32 v12, v0, v4, 4
	ds_read_b128 v[0:3], v12
	s_waitcnt lgkmcnt(3)
	v_mul_f64 v[40:41], v[10:11], v[26:27]
	v_fma_f64 v[40:41], v[8:9], v[24:25], -v[40:41]
	v_mul_f64 v[8:9], v[8:9], v[26:27]
	v_fmac_f64_e32 v[8:9], v[10:11], v[24:25]
	v_add_f64 v[26:27], v[8:9], 0
	s_waitcnt lgkmcnt(0)
	v_mul_f64 v[8:9], v[22:23], v[2:3]
	v_add_f64 v[24:25], v[40:41], 0
	v_fma_f64 v[40:41], v[20:21], v[0:1], -v[8:9]
	v_mul_f64 v[2:3], v[20:21], v[2:3]
	ds_read_b128 v[8:11], v12 offset:528
	v_fmac_f64_e32 v[2:3], v[22:23], v[0:1]
	v_add_f64 v[22:23], v[26:27], v[2:3]
	ds_read_b128 v[0:3], v12 offset:1056
	v_add_f64 v[20:21], v[24:25], v[40:41]
	s_waitcnt lgkmcnt(1)
	v_mul_f64 v[24:25], v[30:31], v[10:11]
	v_fma_f64 v[24:25], v[28:29], v[8:9], -v[24:25]
	v_mul_f64 v[10:11], v[28:29], v[10:11]
	v_fmac_f64_e32 v[10:11], v[30:31], v[8:9]
	v_add_f64 v[8:9], v[20:21], v[24:25]
	s_waitcnt lgkmcnt(0)
	v_mul_f64 v[20:21], v[34:35], v[2:3]
	v_mul_f64 v[2:3], v[32:33], v[2:3]
	v_add_f64 v[10:11], v[22:23], v[10:11]
	v_fma_f64 v[20:21], v[32:33], v[0:1], -v[20:21]
	v_fmac_f64_e32 v[2:3], v[34:35], v[0:1]
	v_add_f64 v[0:1], v[8:9], v[20:21]
	v_add_f64 v[2:3], v[10:11], v[2:3]
	v_add_lshl_u32 v45, v5, v44, 4
	s_barrier
	ds_write_b128 v45, v[0:3]
	v_mov_b64_e32 v[0:1], 0
	v_cmp_gt_u32_e64 s[4:5], 32, v43
	v_mov_b64_e32 v[2:3], v[0:1]
	s_waitcnt lgkmcnt(0)
	s_barrier
	s_and_saveexec_b64 s[0:1], s[4:5]
	s_cbranch_execz .LBB26_56
; %bb.55:
	v_lshlrev_b32_e32 v28, 4, v44
	ds_read_b128 v[0:3], v28
	ds_read_b128 v[8:11], v28 offset:16
	ds_read_b128 v[20:23], v28 offset:32
	;; [unrolled: 1-line block ×3, first 2 shown]
	s_waitcnt lgkmcnt(2)
	v_add_f64 v[0:1], v[8:9], v[0:1]
	v_add_f64 v[8:9], v[10:11], v[2:3]
	s_waitcnt lgkmcnt(1)
	v_add_f64 v[10:11], v[0:1], v[20:21]
	ds_read_b128 v[0:3], v28 offset:64
	v_add_f64 v[8:9], v[8:9], v[22:23]
	s_waitcnt lgkmcnt(1)
	v_add_f64 v[20:21], v[10:11], v[24:25]
	v_add_f64 v[24:25], v[8:9], v[26:27]
	ds_read_b128 v[8:11], v28 offset:80
	s_waitcnt lgkmcnt(1)
	v_add_f64 v[26:27], v[20:21], v[0:1]
	ds_read_b128 v[20:23], v28 offset:96
	v_add_f64 v[24:25], v[24:25], v[2:3]
	ds_read_b128 v[0:3], v28 offset:112
	s_waitcnt lgkmcnt(2)
	v_add_f64 v[8:9], v[26:27], v[8:9]
	v_add_f64 v[10:11], v[24:25], v[10:11]
	s_waitcnt lgkmcnt(1)
	v_add_f64 v[8:9], v[8:9], v[20:21]
	v_add_f64 v[10:11], v[10:11], v[22:23]
	;; [unrolled: 3-line block ×3, first 2 shown]
.LBB26_56:
	s_or_b64 exec, exec, s[0:1]
	s_lshl_b32 s36, s26, 5
	s_ashr_i32 s37, s36, 31
	v_lshl_add_u64 v[8:9], s[36:37], 4, v[6:7]
	s_mov_b64 s[0:1], 0x200
	v_cndmask_b32_e64 v6, 0, 1, s[34:35]
	v_cmp_ne_u32_e64 s[14:15], 1, v6
	s_andn2_b64 vcc, exec, s[34:35]
	v_lshl_add_u64 v[6:7], v[8:9], 0, s[0:1]
	s_barrier
	s_cbranch_vccnz .LBB26_58
; %bb.57:
	s_lshl_b32 s0, s26, 3
	s_ashr_i32 s1, s0, 31
	s_ashr_i32 s27, s26, 31
	v_lshl_add_u64 v[28:29], s[0:1], 4, v[8:9]
	s_lshl_b64 s[0:1], s[26:27], 7
	global_load_dwordx4 v[20:23], v[6:7], off
	v_lshl_add_u64 v[30:31], v[28:29], 0, s[0:1]
	global_load_dwordx4 v[8:11], v[28:29], off offset:512
	global_load_dwordx4 v[24:27], v[30:31], off offset:512
	v_lshl_add_u64 v[28:29], v[30:31], 0, s[0:1]
	global_load_dwordx4 v[28:31], v[28:29], off offset:512
	v_mul_u32_u24_e32 v32, 33, v5
	v_add_lshl_u32 v32, v32, v4, 4
	v_add_u32_e32 v33, 0x1080, v32
	v_add_u32_e32 v34, 0x2100, v32
	;; [unrolled: 1-line block ×3, first 2 shown]
	s_waitcnt vmcnt(3)
	ds_write2_b64 v32, v[20:21], v[22:23] offset1:1
	s_waitcnt vmcnt(2)
	ds_write2_b64 v33, v[8:9], v[10:11] offset1:1
	;; [unrolled: 2-line block ×4, first 2 shown]
	s_cbranch_execz .LBB26_59
	s_branch .LBB26_76
.LBB26_58:
.LBB26_59:
	v_lshlrev_b32_e32 v8, 4, v4
	v_sub_co_u32_e32 v10, vcc, v6, v8
	s_ashr_i32 s21, s20, 31
	s_nop 0
	v_subbrev_co_u32_e32 v11, vcc, 0, v7, vcc
	s_movk_i32 s0, 0xfdf0
	v_or_b32_e32 v9, 32, v4
	v_lshl_add_u64 v[10:11], s[20:21], 4, v[10:11]
	s_mov_b32 s1, -1
	v_lshl_add_u64 v[10:11], v[10:11], 0, s[0:1]
	v_cmp_gt_i32_e32 vcc, s20, v9
	s_sub_i32 s25, s20, 32
	v_mul_u32_u24_e32 v9, 33, v5
	v_cndmask_b32_e32 v11, v11, v7, vcc
	v_cndmask_b32_e32 v10, v10, v6, vcc
	v_cmp_le_i32_e64 s[0:1], s25, v5
	v_add_lshl_u32 v9, v9, v4, 4
	s_and_saveexec_b64 s[34:35], s[0:1]
	s_xor_b64 s[0:1], exec, s[34:35]
	s_cbranch_execz .LBB26_61
; %bb.60:
	v_mov_b32_e32 v20, 0
	v_mov_b32_e32 v21, v20
	;; [unrolled: 1-line block ×4, first 2 shown]
	ds_write_b128 v9, v[20:23]
.LBB26_61:
	s_andn2_saveexec_b64 s[0:1], s[0:1]
	s_cbranch_execz .LBB26_63
; %bb.62:
	global_load_dwordx4 v[20:23], v[10:11], off
	s_waitcnt vmcnt(0)
	ds_write2_b64 v9, v[20:21], v[22:23] offset1:1
.LBB26_63:
	s_or_b64 exec, exec, s[0:1]
	v_add_u32_e32 v20, 8, v5
	v_cmp_le_i32_e64 s[0:1], s25, v20
	s_and_saveexec_b64 s[34:35], s[0:1]
	s_xor_b64 s[0:1], exec, s[34:35]
	s_cbranch_execz .LBB26_65
; %bb.64:
	v_mul_u32_u24_e32 v20, 33, v20
	v_add_lshl_u32 v24, v20, v4, 4
	v_mov_b32_e32 v20, 0
	v_mov_b32_e32 v21, v20
	;; [unrolled: 1-line block ×4, first 2 shown]
	ds_write_b128 v24, v[20:23]
.LBB26_65:
	s_andn2_saveexec_b64 s[0:1], s[0:1]
	s_cbranch_execz .LBB26_67
; %bb.66:
	s_lshl_b32 s34, s26, 3
	s_ashr_i32 s35, s34, 31
	v_lshl_add_u64 v[20:21], s[34:35], 4, v[10:11]
	global_load_dwordx4 v[20:23], v[20:21], off
	v_add_u32_e32 v24, 0x1080, v9
	s_waitcnt vmcnt(0)
	ds_write2_b64 v24, v[20:21], v[22:23] offset1:1
.LBB26_67:
	s_or_b64 exec, exec, s[0:1]
	v_add_u32_e32 v20, 16, v5
	v_cmp_le_i32_e64 s[0:1], s25, v20
	s_and_saveexec_b64 s[34:35], s[0:1]
	s_xor_b64 s[0:1], exec, s[34:35]
	s_cbranch_execz .LBB26_69
; %bb.68:
	v_mul_u32_u24_e32 v20, 33, v20
	v_add_lshl_u32 v24, v20, v4, 4
	v_mov_b32_e32 v20, 0
	v_mov_b32_e32 v21, v20
	;; [unrolled: 1-line block ×4, first 2 shown]
	ds_write_b128 v24, v[20:23]
.LBB26_69:
	s_andn2_saveexec_b64 s[0:1], s[0:1]
	s_cbranch_execz .LBB26_71
; %bb.70:
	s_lshl_b32 s34, s26, 4
	s_ashr_i32 s35, s34, 31
	v_lshl_add_u64 v[20:21], s[34:35], 4, v[10:11]
	global_load_dwordx4 v[20:23], v[20:21], off
	v_add_u32_e32 v24, 0x2100, v9
	s_waitcnt vmcnt(0)
	ds_write2_b64 v24, v[20:21], v[22:23] offset1:1
.LBB26_71:
	s_or_b64 exec, exec, s[0:1]
	v_add_u32_e32 v20, 24, v5
	v_cmp_le_i32_e64 s[0:1], s25, v20
	s_and_saveexec_b64 s[34:35], s[0:1]
	s_xor_b64 s[0:1], exec, s[34:35]
	s_cbranch_execz .LBB26_73
; %bb.72:
	v_mov_b32_e32 v20, 0
	v_mov_b32_e32 v21, v20
	;; [unrolled: 1-line block ×4, first 2 shown]
	ds_write_b128 v9, v[20:23] offset:12672
                                        ; implicit-def: $vgpr9
.LBB26_73:
	s_andn2_saveexec_b64 s[0:1], s[0:1]
	s_cbranch_execz .LBB26_75
; %bb.74:
	s_mul_i32 s34, s26, 24
	s_ashr_i32 s35, s34, 31
	v_lshl_add_u64 v[20:21], s[34:35], 4, v[10:11]
	global_load_dwordx4 v[20:23], v[20:21], off
	v_add_u32_e32 v9, 0x3180, v9
	s_waitcnt vmcnt(0)
	ds_write2_b64 v9, v[20:21], v[22:23] offset1:1
.LBB26_75:
	s_or_b64 exec, exec, s[0:1]
	v_mov_b32_e32 v9, 0
	v_lshl_add_u64 v[8:9], v[10:11], 0, v[8:9]
	s_lshl_b64 s[0:1], s[20:21], 4
	v_mov_b32_e32 v10, s1
	v_subrev_co_u32_e64 v8, s[0:1], s0, v8
	s_nop 1
	v_subb_co_u32_e64 v9, s[0:1], v9, v10, s[0:1]
	s_mov_b64 s[0:1], 0x210
	s_nop 0
	v_lshl_add_u64 v[8:9], v[8:9], 0, s[0:1]
	v_cndmask_b32_e32 v7, v9, v7, vcc
	v_cndmask_b32_e32 v6, v8, v6, vcc
.LBB26_76:
	v_add_u32_e32 v10, 0x4700, v19
	s_waitcnt lgkmcnt(0)
	s_barrier
	s_and_saveexec_b64 s[0:1], s[6:7]
	s_xor_b64 s[0:1], exec, s[0:1]
	s_cbranch_execnz .LBB26_89
; %bb.77:
	s_andn2_saveexec_b64 s[0:1], s[0:1]
	s_cbranch_execnz .LBB26_92
.LBB26_78:
	s_or_b64 exec, exec, s[0:1]
	s_and_saveexec_b64 s[0:1], s[8:9]
	s_xor_b64 s[0:1], exec, s[0:1]
	s_cbranch_execnz .LBB26_93
.LBB26_79:
	s_andn2_saveexec_b64 s[0:1], s[0:1]
	s_cbranch_execnz .LBB26_96
.LBB26_80:
	s_or_b64 exec, exec, s[0:1]
	s_and_saveexec_b64 s[0:1], s[10:11]
	s_xor_b64 s[0:1], exec, s[0:1]
	s_cbranch_execnz .LBB26_97
.LBB26_81:
	s_andn2_saveexec_b64 s[0:1], s[0:1]
	s_cbranch_execnz .LBB26_100
.LBB26_82:
	s_or_b64 exec, exec, s[0:1]
	s_and_saveexec_b64 s[0:1], s[12:13]
	s_xor_b64 s[0:1], exec, s[0:1]
	s_cbranch_execnz .LBB26_101
.LBB26_83:
	s_andn2_saveexec_b64 s[0:1], s[0:1]
	s_cbranch_execz .LBB26_85
.LBB26_84:
	ds_read_b128 v[20:23], v12 offset:1056
	s_waitcnt lgkmcnt(0)
	v_xor_b32_e32 v23, 0x80000000, v23
	ds_write_b128 v16, v[20:23] offset:48
.LBB26_85:
	s_or_b64 exec, exec, s[0:1]
	s_waitcnt lgkmcnt(0)
	s_barrier
	ds_read_b128 v[20:23], v10 offset:512
	ds_read_b128 v[24:27], v18
	ds_read_b128 v[28:31], v10 offset:528
	ds_read_b128 v[32:35], v10 offset:544
	ds_read_b128 v[46:49], v10 offset:560
	ds_read_b128 v[50:53], v12
	v_cmp_eq_u32_e64 s[6:7], 1, v5
	s_waitcnt lgkmcnt(4)
	v_mul_f64 v[8:9], v[22:23], v[26:27]
	v_mul_f64 v[14:15], v[20:21], v[26:27]
	v_fma_f64 v[8:9], v[20:21], v[24:25], -v[8:9]
	s_waitcnt lgkmcnt(0)
	v_mul_f64 v[18:19], v[30:31], v[52:53]
	v_fmac_f64_e32 v[14:15], v[22:23], v[24:25]
	v_fma_f64 v[22:23], v[28:29], v[50:51], -v[18:19]
	v_mul_f64 v[24:25], v[28:29], v[52:53]
	ds_read_b128 v[18:21], v12 offset:528
	v_add_f64 v[8:9], v[8:9], 0
	v_add_f64 v[14:15], v[14:15], 0
	v_fmac_f64_e32 v[24:25], v[30:31], v[50:51]
	v_add_f64 v[8:9], v[8:9], v[22:23]
	v_add_f64 v[22:23], v[14:15], v[24:25]
	ds_read_b128 v[12:15], v12 offset:1056
	s_waitcnt lgkmcnt(1)
	v_mul_f64 v[24:25], v[34:35], v[20:21]
	v_mul_f64 v[20:21], v[32:33], v[20:21]
	v_fmac_f64_e32 v[20:21], v[34:35], v[18:19]
	v_fma_f64 v[24:25], v[32:33], v[18:19], -v[24:25]
	v_add_f64 v[18:19], v[22:23], v[20:21]
	s_waitcnt lgkmcnt(0)
	v_mul_f64 v[20:21], v[48:49], v[14:15]
	v_mul_f64 v[14:15], v[46:47], v[14:15]
	v_add_f64 v[8:9], v[8:9], v[24:25]
	v_fma_f64 v[20:21], v[46:47], v[12:13], -v[20:21]
	v_fmac_f64_e32 v[14:15], v[48:49], v[12:13]
	v_add_f64 v[12:13], v[8:9], v[20:21]
	v_add_f64 v[14:15], v[18:19], v[14:15]
	s_barrier
	ds_write_b128 v45, v[12:15]
	s_waitcnt lgkmcnt(0)
	s_barrier
	s_and_saveexec_b64 s[0:1], s[6:7]
	s_cbranch_execz .LBB26_87
; %bb.86:
	v_lshlrev_b32_e32 v11, 4, v44
	ds_read_b128 v[0:3], v11
	ds_read_b128 v[12:15], v11 offset:16
	ds_read_b128 v[18:21], v11 offset:32
	ds_read_b128 v[22:25], v11 offset:48
	s_waitcnt lgkmcnt(2)
	v_add_f64 v[0:1], v[12:13], v[0:1]
	v_add_f64 v[8:9], v[14:15], v[2:3]
	s_waitcnt lgkmcnt(1)
	v_add_f64 v[12:13], v[0:1], v[18:19]
	ds_read_b128 v[0:3], v11 offset:64
	v_add_f64 v[8:9], v[8:9], v[20:21]
	s_waitcnt lgkmcnt(1)
	v_add_f64 v[18:19], v[12:13], v[22:23]
	ds_read_b128 v[12:15], v11 offset:80
	;; [unrolled: 4-line block ×3, first 2 shown]
	v_add_f64 v[8:9], v[8:9], v[2:3]
	ds_read_b128 v[0:3], v11 offset:112
	s_waitcnt lgkmcnt(2)
	v_add_f64 v[12:13], v[22:23], v[12:13]
	v_add_f64 v[8:9], v[8:9], v[14:15]
	s_waitcnt lgkmcnt(1)
	v_add_f64 v[12:13], v[12:13], v[18:19]
	v_add_f64 v[8:9], v[8:9], v[20:21]
	;; [unrolled: 3-line block ×3, first 2 shown]
.LBB26_87:
	s_or_b64 exec, exec, s[0:1]
	s_lshl_b64 s[0:1], s[36:37], 4
	v_mov_b32_e32 v8, s1
	v_subrev_co_u32_e64 v40, s[0:1], s0, v6
	s_and_b64 vcc, exec, s[14:15]
	s_nop 0
	v_subb_co_u32_e64 v41, s[0:1], v7, v8, s[0:1]
	s_barrier
	s_cbranch_vccnz .LBB26_104
; %bb.88:
	s_lshl_b32 s0, s26, 3
	s_ashr_i32 s1, s0, 31
	s_ashr_i32 s27, s26, 31
	v_lshl_add_u64 v[6:7], s[0:1], 4, v[40:41]
	s_lshl_b64 s[0:1], s[26:27], 7
	global_load_dwordx4 v[18:21], v[40:41], off
	global_load_dwordx4 v[22:25], v[6:7], off
	v_lshl_add_u64 v[6:7], v[6:7], 0, s[0:1]
	v_lshl_add_u64 v[8:9], v[6:7], 0, s[0:1]
	global_load_dwordx4 v[26:29], v[6:7], off
	global_load_dwordx4 v[30:33], v[8:9], off
	v_mad_u32_u24 v11, v5, 33, v4
	v_add_u32_e32 v12, 8, v5
	v_add_u32_e32 v13, 16, v5
	;; [unrolled: 1-line block ×3, first 2 shown]
	v_lshlrev_b32_e32 v8, 4, v11
	v_add_u32_e32 v7, 0x108, v11
	v_add_u32_e32 v6, 0x210, v11
	v_add_u32_e32 v15, 0x318, v11
	v_add_u32_e32 v9, 0x1080, v8
	v_add_u32_e32 v17, 0x2100, v8
	v_add_u32_e32 v34, 0x3180, v8
	s_waitcnt vmcnt(3)
	ds_write2_b64 v8, v[18:19], v[20:21] offset1:1
	s_waitcnt vmcnt(2)
	ds_write2_b64 v9, v[22:23], v[24:25] offset1:1
	;; [unrolled: 2-line block ×4, first 2 shown]
	s_cbranch_execz .LBB26_105
	s_branch .LBB26_122
.LBB26_89:
	v_cmp_eq_u32_e32 vcc, v13, v4
	s_and_saveexec_b64 s[6:7], vcc
	s_cbranch_execz .LBB26_91
; %bb.90:
	v_mul_u32_u24_e32 v8, 34, v4
	v_lshlrev_b32_e32 v11, 4, v8
	v_mov_b32_e32 v8, 0
	v_mov_b32_e32 v9, v8
	ds_write_b64 v11, v[8:9] offset:8
.LBB26_91:
	s_or_b64 exec, exec, s[6:7]
	s_andn2_saveexec_b64 s[0:1], s[0:1]
	s_cbranch_execz .LBB26_78
.LBB26_92:
	ds_read_b128 v[20:23], v18
	s_waitcnt lgkmcnt(0)
	v_xor_b32_e32 v23, 0x80000000, v23
	ds_write_b128 v16, v[20:23]
	s_or_b64 exec, exec, s[0:1]
	s_and_saveexec_b64 s[0:1], s[8:9]
	s_xor_b64 s[0:1], exec, s[0:1]
	s_cbranch_execz .LBB26_79
.LBB26_93:
	v_cmp_eq_u32_e32 vcc, v14, v4
	s_and_saveexec_b64 s[6:7], vcc
	s_cbranch_execz .LBB26_95
; %bb.94:
	v_mul_u32_u24_e32 v8, 34, v4
	v_lshlrev_b32_e32 v11, 4, v8
	v_mov_b32_e32 v8, 0
	v_mov_b32_e32 v9, v8
	ds_write_b64 v11, v[8:9] offset:8
.LBB26_95:
	s_or_b64 exec, exec, s[6:7]
	s_andn2_saveexec_b64 s[0:1], s[0:1]
	s_cbranch_execz .LBB26_80
.LBB26_96:
	ds_read_b128 v[20:23], v12
	s_waitcnt lgkmcnt(0)
	v_xor_b32_e32 v23, 0x80000000, v23
	ds_write_b128 v16, v[20:23] offset:16
	s_or_b64 exec, exec, s[0:1]
	s_and_saveexec_b64 s[0:1], s[10:11]
	s_xor_b64 s[0:1], exec, s[0:1]
	s_cbranch_execz .LBB26_81
.LBB26_97:
	v_cmp_eq_u32_e32 vcc, v15, v4
	s_and_saveexec_b64 s[6:7], vcc
	s_cbranch_execz .LBB26_99
; %bb.98:
	v_mul_u32_u24_e32 v8, 34, v4
	v_lshlrev_b32_e32 v11, 4, v8
	v_mov_b32_e32 v8, 0
	v_mov_b32_e32 v9, v8
	ds_write_b64 v11, v[8:9] offset:8
.LBB26_99:
	s_or_b64 exec, exec, s[6:7]
	s_andn2_saveexec_b64 s[0:1], s[0:1]
	s_cbranch_execz .LBB26_82
.LBB26_100:
	ds_read_b128 v[20:23], v12 offset:528
	s_waitcnt lgkmcnt(0)
	v_xor_b32_e32 v23, 0x80000000, v23
	ds_write_b128 v16, v[20:23] offset:32
	s_or_b64 exec, exec, s[0:1]
	s_and_saveexec_b64 s[0:1], s[12:13]
	s_xor_b64 s[0:1], exec, s[0:1]
	s_cbranch_execz .LBB26_83
.LBB26_101:
	v_cmp_eq_u32_e32 vcc, v17, v4
	s_and_saveexec_b64 s[6:7], vcc
	s_cbranch_execz .LBB26_103
; %bb.102:
	v_mul_u32_u24_e32 v8, 34, v4
	v_lshlrev_b32_e32 v11, 4, v8
	v_mov_b32_e32 v8, 0
	v_mov_b32_e32 v9, v8
	ds_write_b64 v11, v[8:9] offset:8
.LBB26_103:
	s_or_b64 exec, exec, s[6:7]
	s_andn2_saveexec_b64 s[0:1], s[0:1]
	s_cbranch_execnz .LBB26_84
	s_branch .LBB26_85
.LBB26_104:
                                        ; implicit-def: $vgpr11
                                        ; implicit-def: $vgpr12
                                        ; implicit-def: $vgpr7
                                        ; implicit-def: $vgpr13
                                        ; implicit-def: $vgpr6
                                        ; implicit-def: $vgpr14
                                        ; implicit-def: $vgpr15
.LBB26_105:
	v_lshlrev_b32_e32 v6, 4, v4
	v_sub_co_u32_e32 v8, vcc, v40, v6
	s_ashr_i32 s21, s20, 31
	s_nop 0
	v_subbrev_co_u32_e32 v9, vcc, 0, v41, vcc
	s_movk_i32 s0, 0xfdf0
	v_or_b32_e32 v7, 32, v4
	v_lshl_add_u64 v[8:9], s[20:21], 4, v[8:9]
	s_mov_b32 s1, -1
	v_lshl_add_u64 v[8:9], v[8:9], 0, s[0:1]
	v_cmp_gt_i32_e32 vcc, s20, v7
	v_mad_u32_u24 v11, v5, 33, v4
	v_cmp_le_i32_e64 s[0:1], s20, v5
	v_cndmask_b32_e32 v9, v9, v41, vcc
	v_cndmask_b32_e32 v8, v8, v40, vcc
	v_lshlrev_b32_e32 v7, 4, v11
	s_and_saveexec_b64 s[8:9], s[0:1]
	s_xor_b64 s[0:1], exec, s[8:9]
	s_cbranch_execz .LBB26_107
; %bb.106:
	v_mov_b32_e32 v12, 0
	v_mov_b32_e32 v13, v12
	;; [unrolled: 1-line block ×4, first 2 shown]
	ds_write_b128 v7, v[12:15]
.LBB26_107:
	s_andn2_saveexec_b64 s[0:1], s[0:1]
	s_cbranch_execz .LBB26_109
; %bb.108:
	global_load_dwordx4 v[12:15], v[8:9], off
	s_waitcnt vmcnt(0)
	ds_write2_b64 v7, v[12:13], v[14:15] offset1:1
.LBB26_109:
	s_or_b64 exec, exec, s[0:1]
	v_add_u32_e32 v12, 8, v5
	v_cmp_le_i32_e64 s[0:1], s20, v12
	s_and_saveexec_b64 s[8:9], s[0:1]
	s_xor_b64 s[0:1], exec, s[8:9]
	s_cbranch_execz .LBB26_111
; %bb.110:
	v_mul_u32_u24_e32 v13, 33, v12
	v_mov_b32_e32 v18, 0
	v_add_lshl_u32 v13, v13, v4, 4
	v_mov_b32_e32 v19, v18
	v_mov_b32_e32 v20, v18
	;; [unrolled: 1-line block ×3, first 2 shown]
	ds_write_b128 v13, v[18:21]
.LBB26_111:
	s_andn2_saveexec_b64 s[0:1], s[0:1]
	s_cbranch_execz .LBB26_113
; %bb.112:
	s_lshl_b32 s8, s26, 3
	s_ashr_i32 s9, s8, 31
	v_lshl_add_u64 v[14:15], s[8:9], 4, v[8:9]
	global_load_dwordx4 v[18:21], v[14:15], off
	v_add_u32_e32 v13, 0x1080, v7
	s_waitcnt vmcnt(0)
	ds_write2_b64 v13, v[18:19], v[20:21] offset1:1
.LBB26_113:
	s_or_b64 exec, exec, s[0:1]
	v_add_u32_e32 v13, 16, v5
	v_cmp_le_i32_e64 s[0:1], s20, v13
	s_and_saveexec_b64 s[8:9], s[0:1]
	s_xor_b64 s[0:1], exec, s[8:9]
	s_cbranch_execz .LBB26_115
; %bb.114:
	v_mul_u32_u24_e32 v14, 33, v13
	v_mov_b32_e32 v18, 0
	v_add_lshl_u32 v14, v14, v4, 4
	v_mov_b32_e32 v19, v18
	v_mov_b32_e32 v20, v18
	;; [unrolled: 1-line block ×3, first 2 shown]
	ds_write_b128 v14, v[18:21]
.LBB26_115:
	s_andn2_saveexec_b64 s[0:1], s[0:1]
	s_cbranch_execz .LBB26_117
; %bb.116:
	s_lshl_b32 s8, s26, 4
	s_ashr_i32 s9, s8, 31
	v_lshl_add_u64 v[14:15], s[8:9], 4, v[8:9]
	global_load_dwordx4 v[18:21], v[14:15], off
	v_add_u32_e32 v14, 0x2100, v7
	s_waitcnt vmcnt(0)
	ds_write2_b64 v14, v[18:19], v[20:21] offset1:1
.LBB26_117:
	s_or_b64 exec, exec, s[0:1]
	v_add_u32_e32 v14, 24, v5
	v_cmp_le_i32_e64 s[0:1], s20, v14
                                        ; implicit-def: $vgpr15
	s_and_saveexec_b64 s[8:9], s[0:1]
	s_xor_b64 s[0:1], exec, s[8:9]
	s_cbranch_execz .LBB26_119
; %bb.118:
	v_mad_u32_u24 v15, v14, 33, v4
	v_mov_b32_e32 v18, 0
	v_lshlrev_b32_e32 v4, 4, v15
	v_mov_b32_e32 v19, v18
	v_mov_b32_e32 v20, v18
	;; [unrolled: 1-line block ×3, first 2 shown]
	ds_write_b128 v4, v[18:21]
                                        ; implicit-def: $vgpr7
.LBB26_119:
	s_andn2_saveexec_b64 s[0:1], s[0:1]
	s_cbranch_execz .LBB26_121
; %bb.120:
	s_mul_i32 s8, s26, 24
	s_ashr_i32 s9, s8, 31
	v_lshl_add_u64 v[18:19], s[8:9], 4, v[8:9]
	global_load_dwordx4 v[18:21], v[18:19], off
	v_add_u32_e32 v15, 0x318, v11
	v_add_u32_e32 v4, 0x3180, v7
	s_waitcnt vmcnt(0)
	ds_write2_b64 v4, v[18:19], v[20:21] offset1:1
.LBB26_121:
	s_or_b64 exec, exec, s[0:1]
	v_mov_b32_e32 v7, 0
	v_lshl_add_u64 v[6:7], v[8:9], 0, v[6:7]
	s_lshl_b64 s[0:1], s[20:21], 4
	v_mov_b32_e32 v4, s1
	v_subrev_co_u32_e64 v6, s[0:1], s0, v6
	s_nop 1
	v_subb_co_u32_e64 v7, s[0:1], v7, v4, s[0:1]
	s_mov_b64 s[0:1], 0x210
	s_nop 0
	v_lshl_add_u64 v[6:7], v[6:7], 0, s[0:1]
	v_cndmask_b32_e32 v41, v7, v41, vcc
	v_cndmask_b32_e32 v40, v6, v40, vcc
	v_add_u32_e32 v7, 0x108, v11
	v_add_u32_e32 v6, 0x210, v11
.LBB26_122:
	v_lshlrev_b32_e32 v5, 4, v5
	s_waitcnt lgkmcnt(0)
	s_barrier
	v_lshlrev_b32_e32 v4, 4, v11
	ds_read_b128 v[46:49], v5 offset:18176
	ds_read_b128 v[50:53], v4
	v_lshlrev_b32_e32 v5, 4, v12
	v_lshlrev_b32_e32 v4, 4, v7
	ds_read_b128 v[54:57], v5 offset:18176
	ds_read_b128 v[58:61], v4
	v_lshlrev_b32_e32 v7, 4, v13
	;; [unrolled: 4-line block ×3, first 2 shown]
	v_lshlrev_b32_e32 v6, 4, v15
	ds_read_b128 v[70:73], v7 offset:18176
	ds_read_b128 v[74:77], v6
	s_waitcnt lgkmcnt(6)
	v_mul_f64 v[4:5], v[48:49], v[52:53]
	v_fma_f64 v[4:5], v[46:47], v[50:51], -v[4:5]
	s_waitcnt lgkmcnt(4)
	v_mul_f64 v[8:9], v[56:57], v[60:61]
	v_add_f64 v[4:5], v[4:5], 0
	v_fma_f64 v[8:9], v[54:55], v[58:59], -v[8:9]
	s_waitcnt lgkmcnt(2)
	v_mul_f64 v[6:7], v[64:65], v[68:69]
	v_add_f64 v[4:5], v[4:5], v[8:9]
	v_fma_f64 v[6:7], v[62:63], v[66:67], -v[6:7]
	v_add_f64 v[4:5], v[4:5], v[6:7]
	s_waitcnt lgkmcnt(0)
	v_mul_f64 v[6:7], v[72:73], v[76:77]
	v_fma_f64 v[6:7], v[70:71], v[74:75], -v[6:7]
	v_add_f64 v[78:79], v[4:5], v[6:7]
	ds_read_b128 v[28:31], v16
	ds_read_b128 v[20:23], v16 offset:16
	ds_read_b128 v[12:15], v16 offset:32
	;; [unrolled: 1-line block ×7, first 2 shown]
	v_mul_f64 v[46:47], v[46:47], v[52:53]
	v_fmac_f64_e32 v[46:47], v[48:49], v[50:51]
	v_mul_f64 v[48:49], v[54:55], v[60:61]
	v_add_f64 v[46:47], v[46:47], 0
	v_fmac_f64_e32 v[48:49], v[56:57], v[58:59]
	v_add_f64 v[46:47], v[46:47], v[48:49]
	v_mul_f64 v[48:49], v[62:63], v[68:69]
	v_fmac_f64_e32 v[48:49], v[64:65], v[66:67]
	v_add_f64 v[46:47], v[46:47], v[48:49]
	v_mul_f64 v[48:49], v[70:71], v[76:77]
	v_fmac_f64_e32 v[48:49], v[72:73], v[74:75]
	v_add_f64 v[80:81], v[46:47], v[48:49]
	s_waitcnt lgkmcnt(0)
	s_barrier
	ds_write_b128 v45, v[78:81]
	s_waitcnt lgkmcnt(0)
	s_barrier
	s_and_saveexec_b64 s[0:1], s[6:7]
	s_cbranch_execz .LBB26_124
; %bb.123:
	v_lshlrev_b32_e32 v62, 4, v44
	ds_read_b128 v[46:49], v62
	ds_read_b128 v[50:53], v62 offset:16
	ds_read_b128 v[54:57], v62 offset:32
	;; [unrolled: 1-line block ×3, first 2 shown]
	s_waitcnt lgkmcnt(3)
	v_add_f64 v[0:1], v[0:1], v[46:47]
	v_add_f64 v[2:3], v[2:3], v[48:49]
	s_waitcnt lgkmcnt(2)
	v_add_f64 v[0:1], v[0:1], v[50:51]
	v_add_f64 v[46:47], v[2:3], v[52:53]
	s_waitcnt lgkmcnt(1)
	v_add_f64 v[48:49], v[0:1], v[54:55]
	ds_read_b128 v[0:3], v62 offset:64
	v_add_f64 v[46:47], v[46:47], v[56:57]
	s_waitcnt lgkmcnt(1)
	v_add_f64 v[50:51], v[48:49], v[58:59]
	v_add_f64 v[54:55], v[46:47], v[60:61]
	ds_read_b128 v[46:49], v62 offset:80
	s_waitcnt lgkmcnt(1)
	v_add_f64 v[56:57], v[50:51], v[0:1]
	ds_read_b128 v[50:53], v62 offset:96
	v_add_f64 v[54:55], v[54:55], v[2:3]
	ds_read_b128 v[0:3], v62 offset:112
	s_waitcnt lgkmcnt(2)
	v_add_f64 v[46:47], v[56:57], v[46:47]
	v_add_f64 v[48:49], v[54:55], v[48:49]
	s_waitcnt lgkmcnt(1)
	v_add_f64 v[46:47], v[46:47], v[50:51]
	v_add_f64 v[48:49], v[48:49], v[52:53]
	;; [unrolled: 3-line block ×3, first 2 shown]
.LBB26_124:
	s_or_b64 exec, exec, s[0:1]
	v_mul_f64 v[46:47], v[30:31], v[34:35]
	v_mul_f64 v[30:31], v[30:31], v[32:33]
	v_fmac_f64_e32 v[46:47], v[28:29], v[32:33]
	v_fma_f64 v[28:29], v[28:29], v[34:35], -v[30:31]
	v_mul_f64 v[32:33], v[22:23], v[26:27]
	v_mul_f64 v[22:23], v[22:23], v[24:25]
	v_add_f64 v[30:31], v[46:47], 0
	v_add_f64 v[28:29], v[28:29], 0
	v_fmac_f64_e32 v[32:33], v[20:21], v[24:25]
	v_fma_f64 v[20:21], v[20:21], v[26:27], -v[22:23]
	v_mul_f64 v[24:25], v[14:15], v[18:19]
	v_mul_f64 v[14:15], v[14:15], v[16:17]
	v_add_f64 v[22:23], v[30:31], v[32:33]
	v_add_f64 v[20:21], v[28:29], v[20:21]
	v_fmac_f64_e32 v[24:25], v[12:13], v[16:17]
	v_fma_f64 v[12:13], v[12:13], v[18:19], -v[14:15]
	v_mul_f64 v[16:17], v[6:7], v[10:11]
	v_mul_f64 v[6:7], v[6:7], v[8:9]
	v_add_f64 v[14:15], v[22:23], v[24:25]
	v_add_f64 v[12:13], v[20:21], v[12:13]
	v_fmac_f64_e32 v[16:17], v[4:5], v[8:9]
	v_fma_f64 v[6:7], v[4:5], v[10:11], -v[6:7]
	v_add_f64 v[4:5], v[14:15], v[16:17]
	v_add_f64 v[6:7], v[12:13], v[6:7]
	s_barrier
	ds_write_b128 v45, v[4:7]
	s_waitcnt lgkmcnt(0)
	s_barrier
	s_and_saveexec_b64 s[0:1], s[4:5]
	s_cbranch_execz .LBB26_126
; %bb.125:
	v_lshlrev_b32_e32 v20, 4, v44
	ds_read_b128 v[4:7], v20
	ds_read_b128 v[8:11], v20 offset:16
	ds_read_b128 v[12:15], v20 offset:32
	;; [unrolled: 1-line block ×3, first 2 shown]
	s_waitcnt lgkmcnt(3)
	v_add_f64 v[0:1], v[0:1], v[4:5]
	v_add_f64 v[2:3], v[2:3], v[6:7]
	s_waitcnt lgkmcnt(2)
	v_add_f64 v[0:1], v[0:1], v[8:9]
	v_add_f64 v[4:5], v[2:3], v[10:11]
	s_waitcnt lgkmcnt(1)
	v_add_f64 v[6:7], v[0:1], v[12:13]
	ds_read_b128 v[0:3], v20 offset:64
	v_add_f64 v[4:5], v[4:5], v[14:15]
	s_waitcnt lgkmcnt(1)
	v_add_f64 v[8:9], v[6:7], v[16:17]
	v_add_f64 v[12:13], v[4:5], v[18:19]
	ds_read_b128 v[4:7], v20 offset:80
	s_waitcnt lgkmcnt(1)
	v_add_f64 v[14:15], v[8:9], v[0:1]
	ds_read_b128 v[8:11], v20 offset:96
	v_add_f64 v[12:13], v[12:13], v[2:3]
	ds_read_b128 v[0:3], v20 offset:112
	s_waitcnt lgkmcnt(2)
	v_add_f64 v[4:5], v[14:15], v[4:5]
	v_add_f64 v[6:7], v[12:13], v[6:7]
	s_waitcnt lgkmcnt(1)
	v_add_f64 v[4:5], v[4:5], v[8:9]
	v_add_f64 v[6:7], v[6:7], v[10:11]
	;; [unrolled: 3-line block ×3, first 2 shown]
.LBB26_126:
	s_or_b64 exec, exec, s[0:1]
	s_mul_hi_u32 s0, s38, s3
	s_mul_i32 s40, s40, s3
	s_add_i32 s0, s0, s40
	s_mul_i32 s3, s38, s3
	s_mul_i32 s0, s0, s39
	s_mul_hi_u32 s1, s3, s39
	s_add_i32 s1, s1, s0
	s_mul_i32 s0, s3, s39
	s_lshl_b64 s[0:1], s[0:1], 4
	s_add_u32 s3, s22, s0
	s_mul_i32 s0, s2, s38
	s_addc_u32 s4, s23, s1
	s_ashr_i32 s1, s0, 31
	s_lshl_b64 s[0:1], s[0:1], 4
	s_add_u32 s6, s3, s0
	v_cmp_le_i32_e32 vcc, s20, v42
	s_addc_u32 s7, s4, s1
	s_and_b64 vcc, s[30:31], vcc
	s_cmp_lt_i32 s2, 1
	v_lshlrev_b32_e32 v140, 4, v42
	s_barrier
	s_cbranch_scc1 .LBB26_133
; %bb.127:
	s_mul_i32 s0, s24, s33
	s_ashr_i32 s1, s0, 31
	s_lshl_b64 s[0:1], s[0:1], 4
	v_mov_b32_e32 v4, s1
	v_subrev_co_u32_e64 v134, s[0:1], s0, v36
	s_ashr_i32 s21, s20, 31
	s_nop 0
	v_subb_co_u32_e64 v135, s[0:1], v37, v4, s[0:1]
	v_mov_b32_e32 v4, s29
	v_subrev_co_u32_e64 v6, s[0:1], s28, v40
	v_and_b32_e32 v10, 15, v42
	s_nop 0
	v_subb_co_u32_e64 v7, s[0:1], v41, v4, s[0:1]
	v_lshlrev_b64 v[4:5], 4, v[38:39]
	v_sub_co_u32_e64 v4, s[0:1], v6, v4
	v_mul_lo_u32 v6, v133, s26
	s_nop 0
	v_subb_co_u32_e64 v5, s[0:1], v7, v5, s[0:1]
	v_lshl_add_u32 v6, v6, 2, v42
	v_ashrrev_i32_e32 v7, 31, v6
	s_movk_i32 s0, 0xfe00
	v_lshl_add_u64 v[4:5], v[6:7], 4, v[4:5]
	s_mov_b32 s1, -1
	v_lshl_add_u64 v[6:7], v[4:5], 0, s[0:1]
	v_sub_co_u32_e64 v4, s[0:1], v4, v140
	s_ashr_i32 s27, s26, 31
	s_nop 0
	v_subbrev_co_u32_e64 v5, s[0:1], 0, v5, s[0:1]
	s_movk_i32 s0, 0xfdf0
	v_lshl_add_u64 v[4:5], s[20:21], 4, v[4:5]
	s_mov_b32 s1, -1
	v_lshl_add_u64 v[4:5], v[4:5], 0, s[0:1]
	v_cndmask_b32_e32 v8, v6, v4, vcc
	v_and_b32_e32 v4, 48, v42
	v_cndmask_b32_e32 v9, v7, v5, vcc
	v_lshlrev_b32_e32 v5, 4, v4
	s_movk_i32 s0, 0x430
	v_mad_u32_u24 v143, v10, s0, v5
	v_or_b32_e32 v5, 0xf0, v140
	v_mad_u32_u24 v144, v10, s0, v5
	v_lshlrev_b32_e32 v5, 2, v43
	v_and_b32_e32 v5, 0x7ffc0, v5
	v_mad_u32_u24 v145, v10, s0, v5
	v_mov_b32_e32 v5, 0x4300
	v_lshl_add_u32 v146, v133, 6, v5
	s_movk_i32 s1, 0x10c0
	v_and_b32_e32 v5, 0x1fff0, v43
	v_mov_b32_e32 v137, 0
	s_lshl_b32 s3, s33, 6
	v_add_u32_e32 v141, 0x4300, v140
	v_add_u32_e32 v142, 0x4700, v140
	v_cmp_gt_u32_e64 s[4:5], 64, v43
	v_mad_u32_u24 v147, v133, s1, v140
	v_mad_u32_u24 v148, v10, s0, v5
	s_lshl_b64 s[0:1], s[26:27], 4
	s_mul_hi_i32 s9, s26, 0xd0
	s_mul_i32 s8, s26, 0xd0
	v_or_b32_e32 v136, v4, v10
	s_mov_b32 s10, 0
	s_branch .LBB26_129
.LBB26_128:                             ;   in Loop: Header=BB26_129 Depth=1
	s_or_b64 exec, exec, s[12:13]
	v_mul_f64 v[150:151], v[6:7], v[22:23]
	v_fma_f64 v[150:151], v[4:5], v[20:21], -v[150:151]
	v_mul_f64 v[4:5], v[4:5], v[22:23]
	v_mul_f64 v[22:23], v[10:11], v[42:43]
	v_add_f64 v[0:1], v[0:1], v[150:151]
	v_fma_f64 v[22:23], v[8:9], v[40:41], -v[22:23]
	v_add_f64 v[0:1], v[0:1], v[22:23]
	v_mul_f64 v[22:23], v[14:15], v[46:47]
	v_fma_f64 v[22:23], v[12:13], v[44:45], -v[22:23]
	v_add_f64 v[0:1], v[0:1], v[22:23]
	v_mul_f64 v[22:23], v[18:19], v[50:51]
	v_fmac_f64_e32 v[4:5], v[6:7], v[20:21]
	v_fma_f64 v[22:23], v[16:17], v[48:49], -v[22:23]
	v_add_f64 v[2:3], v[2:3], v[4:5]
	v_mul_f64 v[4:5], v[26:27], v[70:71]
	v_add_f64 v[0:1], v[0:1], v[22:23]
	v_fma_f64 v[4:5], v[24:25], v[68:69], -v[4:5]
	v_add_f64 v[0:1], v[0:1], v[4:5]
	v_mul_f64 v[4:5], v[30:31], v[82:83]
	v_fma_f64 v[4:5], v[28:29], v[80:81], -v[4:5]
	v_add_f64 v[0:1], v[0:1], v[4:5]
	v_mul_f64 v[4:5], v[38:39], v[78:79]
	;; [unrolled: 3-line block ×3, first 2 shown]
	v_fma_f64 v[4:5], v[32:33], v[72:73], -v[4:5]
	v_mul_f64 v[8:9], v[8:9], v[42:43]
	v_add_f64 v[0:1], v[0:1], v[4:5]
	v_mul_f64 v[4:5], v[66:67], v[102:103]
	v_mul_f64 v[12:13], v[12:13], v[46:47]
	v_fmac_f64_e32 v[8:9], v[10:11], v[40:41]
	v_fma_f64 v[4:5], v[64:65], v[100:101], -v[4:5]
	v_mul_f64 v[16:17], v[16:17], v[50:51]
	v_add_f64 v[2:3], v[2:3], v[8:9]
	v_fmac_f64_e32 v[12:13], v[14:15], v[44:45]
	v_add_f64 v[0:1], v[0:1], v[4:5]
	v_mul_f64 v[4:5], v[62:63], v[118:119]
	v_add_f64 v[2:3], v[2:3], v[12:13]
	v_fmac_f64_e32 v[16:17], v[18:19], v[48:49]
	v_mul_f64 v[6:7], v[24:25], v[70:71]
	v_fma_f64 v[4:5], v[60:61], v[116:117], -v[4:5]
	v_add_f64 v[2:3], v[2:3], v[16:17]
	v_mul_f64 v[8:9], v[28:29], v[82:83]
	v_fmac_f64_e32 v[6:7], v[26:27], v[68:69]
	v_add_f64 v[0:1], v[0:1], v[4:5]
	v_mul_f64 v[4:5], v[58:59], v[114:115]
	v_mul_f64 v[10:11], v[36:37], v[78:79]
	v_add_f64 v[2:3], v[2:3], v[6:7]
	v_fmac_f64_e32 v[8:9], v[30:31], v[80:81]
	v_fma_f64 v[4:5], v[56:57], v[112:113], -v[4:5]
	v_mul_f64 v[12:13], v[32:33], v[74:75]
	v_add_f64 v[2:3], v[2:3], v[8:9]
	v_fmac_f64_e32 v[10:11], v[38:39], v[76:77]
	v_add_f64 v[0:1], v[0:1], v[4:5]
	v_mul_f64 v[4:5], v[54:55], v[110:111]
	v_add_f64 v[2:3], v[2:3], v[10:11]
	v_fmac_f64_e32 v[12:13], v[34:35], v[72:73]
	v_mul_f64 v[6:7], v[64:65], v[102:103]
	v_fma_f64 v[4:5], v[52:53], v[108:109], -v[4:5]
	v_add_f64 v[2:3], v[2:3], v[12:13]
	v_mul_f64 v[8:9], v[60:61], v[118:119]
	v_add_f64 v[0:1], v[0:1], v[4:5]
	v_fmac_f64_e32 v[6:7], v[66:67], v[100:101]
	v_mul_f64 v[4:5], v[86:87], v[106:107]
	v_mul_f64 v[10:11], v[56:57], v[114:115]
	v_add_f64 v[2:3], v[2:3], v[6:7]
	v_fmac_f64_e32 v[8:9], v[62:63], v[116:117]
	v_fma_f64 v[4:5], v[84:85], v[104:105], -v[4:5]
	v_mul_f64 v[12:13], v[52:53], v[110:111]
	v_add_f64 v[2:3], v[2:3], v[8:9]
	v_fmac_f64_e32 v[10:11], v[58:59], v[112:113]
	v_add_f64 v[0:1], v[0:1], v[4:5]
	v_mul_f64 v[4:5], v[90:91], v[122:123]
	v_add_f64 v[2:3], v[2:3], v[10:11]
	v_fmac_f64_e32 v[12:13], v[54:55], v[108:109]
	v_mul_f64 v[6:7], v[84:85], v[106:107]
	v_fma_f64 v[4:5], v[88:89], v[120:121], -v[4:5]
	v_add_f64 v[2:3], v[2:3], v[12:13]
	v_mul_f64 v[8:9], v[88:89], v[122:123]
	v_add_f64 v[0:1], v[0:1], v[4:5]
	v_mul_f64 v[4:5], v[94:95], v[126:127]
	v_fmac_f64_e32 v[6:7], v[86:87], v[104:105]
	v_fma_f64 v[4:5], v[92:93], v[124:125], -v[4:5]
	v_mul_f64 v[10:11], v[92:93], v[126:127]
	v_fmac_f64_e32 v[8:9], v[90:91], v[120:121]
	v_add_f64 v[2:3], v[2:3], v[6:7]
	v_add_f64 v[0:1], v[0:1], v[4:5]
	v_mul_f64 v[4:5], v[98:99], v[130:131]
	v_mul_f64 v[12:13], v[96:97], v[130:131]
	v_fmac_f64_e32 v[10:11], v[94:95], v[124:125]
	v_add_f64 v[2:3], v[2:3], v[8:9]
	v_fma_f64 v[4:5], v[96:97], v[128:129], -v[4:5]
	v_fmac_f64_e32 v[12:13], v[98:99], v[128:129]
	v_add_f64 v[2:3], v[2:3], v[10:11]
	s_add_i32 s2, s2, -1
	s_add_i32 s10, s10, s3
	v_add_f64 v[0:1], v[0:1], v[4:5]
	v_add_f64 v[2:3], v[2:3], v[12:13]
	v_add_u32_e32 v136, 64, v136
	s_cmp_eq_u32 s2, 0
	v_lshl_add_u64 v[8:9], v[138:139], 0, s[8:9]
	s_barrier
	s_cbranch_scc1 .LBB26_133
.LBB26_129:                             ; =>This Inner Loop Header: Depth=1
	s_and_saveexec_b64 s[12:13], s[18:19]
	s_cbranch_execz .LBB26_131
; %bb.130:                              ;   in Loop: Header=BB26_129 Depth=1
	s_ashr_i32 s11, s10, 31
	v_lshl_add_u64 v[4:5], s[10:11], 4, v[134:135]
	global_load_dwordx4 v[4:7], v[4:5], off
	s_waitcnt vmcnt(0)
	ds_write2_b64 v141, v[4:5], v[6:7] offset1:1
.LBB26_131:                             ;   in Loop: Header=BB26_129 Depth=1
	s_or_b64 exec, exec, s[12:13]
	s_waitcnt lgkmcnt(0)
	s_barrier
	global_load_dwordx4 v[4:7], v[8:9], off
	v_lshl_add_u64 v[12:13], v[8:9], 0, s[0:1]
	global_load_dwordx4 v[8:11], v[12:13], off
	v_lshl_add_u64 v[16:17], v[12:13], 0, s[0:1]
	;; [unrolled: 2-line block ×3, first 2 shown]
	global_load_dwordx4 v[16:19], v[28:29], off
	ds_read_b128 v[24:27], v142
	ds_read_b128 v[20:23], v146
	v_lshl_add_u64 v[36:37], v[28:29], 0, s[8:9]
	s_waitcnt vmcnt(3) lgkmcnt(1)
	v_mul_f64 v[28:29], v[6:7], v[26:27]
	v_mul_f64 v[30:31], v[6:7], v[24:25]
	v_fmac_f64_e32 v[28:29], v[4:5], v[24:25]
	v_fma_f64 v[30:31], v[4:5], v[26:27], -v[30:31]
	s_waitcnt vmcnt(2)
	v_mul_f64 v[32:33], v[10:11], v[26:27]
	v_mul_f64 v[34:35], v[10:11], v[24:25]
	ds_write_b128 v147, v[28:31]
	v_fmac_f64_e32 v[32:33], v[8:9], v[24:25]
	v_fma_f64 v[34:35], v[8:9], v[26:27], -v[34:35]
	s_waitcnt vmcnt(1)
	v_mul_f64 v[28:29], v[14:15], v[26:27]
	v_mul_f64 v[30:31], v[14:15], v[24:25]
	ds_read_b128 v[40:43], v146 offset:16
	ds_write_b128 v147, v[32:35] offset:1072
	v_fmac_f64_e32 v[28:29], v[12:13], v[24:25]
	v_fma_f64 v[30:31], v[12:13], v[26:27], -v[30:31]
	s_waitcnt vmcnt(0)
	v_mul_f64 v[32:33], v[18:19], v[26:27]
	v_mul_f64 v[34:35], v[18:19], v[24:25]
	ds_read_b128 v[44:47], v146 offset:32
	ds_write_b128 v147, v[28:31] offset:2144
	v_fmac_f64_e32 v[32:33], v[16:17], v[24:25]
	v_fma_f64 v[34:35], v[16:17], v[26:27], -v[34:35]
	ds_read_b128 v[48:51], v146 offset:48
	ds_write_b128 v147, v[32:35] offset:3216
	s_waitcnt lgkmcnt(0)
	s_barrier
	ds_read_b128 v[128:131], v145
	ds_read_b128 v[124:127], v145 offset:16
	ds_read_b128 v[120:123], v145 offset:32
	;; [unrolled: 1-line block ×3, first 2 shown]
	s_waitcnt lgkmcnt(0)
	s_barrier
	global_load_dwordx4 v[24:27], v[36:37], off
	v_lshl_add_u64 v[32:33], v[36:37], 0, s[0:1]
	global_load_dwordx4 v[28:31], v[32:33], off
	v_lshl_add_u64 v[32:33], v[32:33], 0, s[0:1]
	global_load_dwordx4 v[36:39], v[32:33], off
	v_lshl_add_u64 v[56:57], v[32:33], 0, s[0:1]
	global_load_dwordx4 v[32:35], v[56:57], off
	ds_read_b128 v[52:55], v142
	ds_read_b128 v[68:71], v146 offset:256
	v_lshl_add_u64 v[88:89], v[56:57], 0, s[8:9]
	v_add_f64 v[128:129], v[128:129], 0
	v_add_f64 v[130:131], v[130:131], 0
	;; [unrolled: 1-line block ×8, first 2 shown]
	s_waitcnt vmcnt(3) lgkmcnt(1)
	v_mul_f64 v[56:57], v[26:27], v[54:55]
	v_mul_f64 v[58:59], v[26:27], v[52:53]
	s_waitcnt vmcnt(2)
	v_mul_f64 v[60:61], v[30:31], v[54:55]
	v_mul_f64 v[62:63], v[30:31], v[52:53]
	v_fmac_f64_e32 v[56:57], v[24:25], v[52:53]
	v_fma_f64 v[58:59], v[24:25], v[54:55], -v[58:59]
	s_waitcnt vmcnt(1)
	v_mul_f64 v[64:65], v[38:39], v[54:55]
	v_mul_f64 v[66:67], v[38:39], v[52:53]
	v_fmac_f64_e32 v[60:61], v[28:29], v[52:53]
	v_fma_f64 v[62:63], v[28:29], v[54:55], -v[62:63]
	ds_write_b128 v147, v[56:59]
	s_waitcnt vmcnt(0)
	v_mul_f64 v[84:85], v[34:35], v[54:55]
	v_mul_f64 v[72:73], v[34:35], v[52:53]
	v_fmac_f64_e32 v[64:65], v[36:37], v[52:53]
	v_fma_f64 v[66:67], v[36:37], v[54:55], -v[66:67]
	ds_read_b128 v[80:83], v146 offset:272
	ds_write_b128 v147, v[60:63] offset:1072
	v_fmac_f64_e32 v[84:85], v[32:33], v[52:53]
	v_fma_f64 v[86:87], v[32:33], v[54:55], -v[72:73]
	ds_read_b128 v[76:79], v146 offset:288
	ds_write_b128 v147, v[64:67] offset:2144
	ds_read_b128 v[72:75], v146 offset:304
	ds_write_b128 v147, v[84:87] offset:3216
	s_waitcnt lgkmcnt(0)
	s_barrier
	ds_read_b128 v[150:153], v145
	ds_read_b128 v[154:157], v145 offset:16
	ds_read_b128 v[158:161], v145 offset:32
	;; [unrolled: 1-line block ×3, first 2 shown]
	s_waitcnt lgkmcnt(0)
	s_barrier
	global_load_dwordx4 v[64:67], v[88:89], off
	v_lshl_add_u64 v[52:53], v[88:89], 0, s[0:1]
	global_load_dwordx4 v[60:63], v[52:53], off
	v_lshl_add_u64 v[52:53], v[52:53], 0, s[0:1]
	;; [unrolled: 2-line block ×3, first 2 shown]
	global_load_dwordx4 v[52:55], v[88:89], off
	ds_read_b128 v[84:87], v142
	ds_read_b128 v[100:103], v146 offset:512
	v_lshl_add_u64 v[138:139], v[88:89], 0, s[8:9]
	v_add_f64 v[104:105], v[150:151], 0
	v_add_f64 v[106:107], v[152:153], 0
	;; [unrolled: 1-line block ×8, first 2 shown]
	s_waitcnt vmcnt(3) lgkmcnt(1)
	v_mul_f64 v[88:89], v[66:67], v[86:87]
	v_mul_f64 v[90:91], v[66:67], v[84:85]
	s_waitcnt vmcnt(2)
	v_mul_f64 v[92:93], v[62:63], v[86:87]
	v_mul_f64 v[94:95], v[62:63], v[84:85]
	v_fmac_f64_e32 v[88:89], v[64:65], v[84:85]
	v_fma_f64 v[90:91], v[64:65], v[86:87], -v[90:91]
	s_waitcnt vmcnt(1)
	v_mul_f64 v[96:97], v[58:59], v[86:87]
	v_mul_f64 v[98:99], v[58:59], v[84:85]
	v_fmac_f64_e32 v[92:93], v[60:61], v[84:85]
	v_fma_f64 v[94:95], v[60:61], v[86:87], -v[94:95]
	ds_write_b128 v147, v[88:91]
	s_waitcnt vmcnt(0)
	v_mul_f64 v[166:167], v[54:55], v[86:87]
	v_mul_f64 v[108:109], v[54:55], v[84:85]
	v_fmac_f64_e32 v[96:97], v[56:57], v[84:85]
	v_fma_f64 v[98:99], v[56:57], v[86:87], -v[98:99]
	ds_read_b128 v[116:119], v146 offset:528
	ds_write_b128 v147, v[92:95] offset:1072
	v_fmac_f64_e32 v[166:167], v[52:53], v[84:85]
	v_fma_f64 v[168:169], v[52:53], v[86:87], -v[108:109]
	ds_read_b128 v[112:115], v146 offset:544
	ds_write_b128 v147, v[96:99] offset:2144
	v_lshl_add_u64 v[92:93], v[138:139], 0, s[0:1]
	ds_read_b128 v[108:111], v146 offset:560
	ds_write_b128 v147, v[166:169] offset:3216
	s_waitcnt lgkmcnt(0)
	s_barrier
	ds_read_b128 v[166:169], v145
	ds_read_b128 v[170:173], v145 offset:16
	ds_read_b128 v[174:177], v145 offset:32
	;; [unrolled: 1-line block ×3, first 2 shown]
	s_waitcnt lgkmcnt(0)
	s_barrier
	global_load_dwordx4 v[84:87], v[138:139], off
	v_lshl_add_u64 v[96:97], v[92:93], 0, s[0:1]
	global_load_dwordx4 v[88:91], v[92:93], off
	v_lshl_add_u64 v[138:139], v[96:97], 0, s[0:1]
	global_load_dwordx4 v[92:95], v[96:97], off
	v_add_f64 v[124:125], v[166:167], 0
	global_load_dwordx4 v[96:99], v[138:139], off
	ds_read_b128 v[120:123], v142
	ds_read_b128 v[104:107], v146 offset:768
	v_add_f64 v[126:127], v[168:169], 0
	v_add_f64 v[124:125], v[124:125], v[170:171]
	;; [unrolled: 1-line block ×7, first 2 shown]
	s_waitcnt vmcnt(3) lgkmcnt(1)
	v_mul_f64 v[124:125], v[86:87], v[122:123]
	v_mul_f64 v[126:127], v[86:87], v[120:121]
	s_waitcnt vmcnt(2)
	v_mul_f64 v[128:129], v[90:91], v[122:123]
	v_mul_f64 v[130:131], v[90:91], v[120:121]
	v_fma_f64 v[126:127], v[84:85], v[122:123], -v[126:127]
	v_fmac_f64_e32 v[124:125], v[84:85], v[120:121]
	s_waitcnt vmcnt(1)
	v_mul_f64 v[158:159], v[94:95], v[122:123]
	v_mul_f64 v[160:161], v[94:95], v[120:121]
	s_waitcnt vmcnt(0)
	v_mul_f64 v[162:163], v[98:99], v[122:123]
	v_mul_f64 v[164:165], v[98:99], v[120:121]
	v_fma_f64 v[130:131], v[88:89], v[122:123], -v[130:131]
	v_fmac_f64_e32 v[128:129], v[88:89], v[120:121]
	ds_write_b128 v147, v[124:127]
	v_fma_f64 v[160:161], v[92:93], v[122:123], -v[160:161]
	v_fmac_f64_e32 v[158:159], v[92:93], v[120:121]
	v_fmac_f64_e32 v[162:163], v[96:97], v[120:121]
	v_fma_f64 v[164:165], v[96:97], v[122:123], -v[164:165]
	ds_read_b128 v[120:123], v146 offset:784
	ds_write_b128 v147, v[128:131] offset:1072
	ds_read_b128 v[124:127], v146 offset:800
	ds_write_b128 v147, v[158:161] offset:2144
	;; [unrolled: 2-line block ×3, first 2 shown]
	s_waitcnt lgkmcnt(0)
	s_barrier
	ds_read_b128 v[158:161], v145
	ds_read_b128 v[162:165], v145 offset:16
	ds_read_b128 v[166:169], v145 offset:32
	;; [unrolled: 1-line block ×3, first 2 shown]
	s_waitcnt lgkmcnt(0)
	s_barrier
	ds_write_b128 v148, v[182:185]
	ds_write_b128 v148, v[150:153] offset:256
	ds_write_b128 v148, v[154:157] offset:512
	v_add_f64 v[150:151], v[158:159], 0
	v_add_f64 v[152:153], v[160:161], 0
	;; [unrolled: 1-line block ×8, first 2 shown]
	ds_write_b128 v148, v[150:153] offset:768
	s_waitcnt lgkmcnt(0)
	s_barrier
	s_and_saveexec_b64 s[12:13], s[4:5]
	s_cbranch_execz .LBB26_128
; %bb.132:                              ;   in Loop: Header=BB26_129 Depth=1
	ds_read_b128 v[150:153], v143
	ds_read_b128 v[154:157], v143 offset:16
	ds_read_b128 v[158:161], v143 offset:32
	;; [unrolled: 1-line block ×3, first 2 shown]
	s_waitcnt lgkmcnt(2)
	v_add_f64 v[150:151], v[154:155], v[150:151]
	v_add_f64 v[154:155], v[156:157], v[152:153]
	s_waitcnt lgkmcnt(1)
	v_add_f64 v[156:157], v[150:151], v[158:159]
	ds_read_b128 v[150:153], v143 offset:64
	v_add_f64 v[158:159], v[154:155], v[160:161]
	s_waitcnt lgkmcnt(1)
	v_add_f64 v[160:161], v[156:157], v[162:163]
	ds_read_b128 v[154:157], v143 offset:80
	;; [unrolled: 4-line block ×9, first 2 shown]
	v_add_f64 v[152:153], v[162:163], v[152:153]
	s_waitcnt lgkmcnt(1)
	v_add_f64 v[154:155], v[150:151], v[154:155]
	v_add_f64 v[162:163], v[152:153], v[156:157]
	ds_read_b128 v[150:153], v143 offset:208
	s_waitcnt lgkmcnt(1)
	v_add_f64 v[164:165], v[154:155], v[158:159]
	ds_read_b128 v[154:157], v143 offset:224
	v_add_f64 v[162:163], v[162:163], v[160:161]
	ds_read_b128 v[158:161], v144
	s_waitcnt lgkmcnt(2)
	v_add_f64 v[150:151], v[164:165], v[150:151]
	v_add_f64 v[152:153], v[162:163], v[152:153]
	s_waitcnt lgkmcnt(1)
	v_add_f64 v[150:151], v[150:151], v[154:155]
	v_add_f64 v[152:153], v[152:153], v[156:157]
	;; [unrolled: 3-line block ×3, first 2 shown]
	v_lshl_add_u64 v[154:155], v[136:137], 4, s[6:7]
	global_store_dwordx4 v[154:155], v[150:153], off
	s_branch .LBB26_128
.LBB26_133:
	s_movk_i32 s0, 0x430
	v_mad_u32_u24 v4, v133, s0, v140
	s_or_b64 s[0:1], s[16:17], vcc
	s_xor_b64 s[0:1], s[0:1], -1
	ds_write_b128 v4, v[0:3]
	s_waitcnt lgkmcnt(0)
	s_barrier
	s_and_saveexec_b64 s[2:3], s[0:1]
	s_cbranch_execz .LBB26_135
; %bb.134:
	ds_read_b128 v[0:3], v140 offset:1072
	ds_read_b128 v[4:7], v140
	ds_read_b128 v[8:11], v140 offset:2144
	ds_read_b128 v[12:15], v140 offset:3216
	v_ashrrev_i32_e32 v133, 31, v132
	s_waitcnt lgkmcnt(2)
	v_add_f64 v[0:1], v[0:1], v[4:5]
	v_add_f64 v[2:3], v[2:3], v[6:7]
	s_waitcnt lgkmcnt(1)
	v_add_f64 v[0:1], v[0:1], v[8:9]
	v_add_f64 v[2:3], v[2:3], v[10:11]
	;; [unrolled: 3-line block ×3, first 2 shown]
	v_lshl_add_u64 v[4:5], v[132:133], 4, s[6:7]
	global_store_dwordx4 v[4:5], v[0:3], off
.LBB26_135:
	s_endpgm
	.section	.rodata,"a",@progbits
	.p2align	6, 0x0
	.amdhsa_kernel _ZL26rocblas_hemvn_kernel_lowerILb1ELi64ELi4ELi33ELi32ELi16EiPK19rocblas_complex_numIdES3_PS1_EviT6_lT7_lT5_lS6_lS7_lS5_lT8_i
		.amdhsa_group_segment_fixed_size 19200
		.amdhsa_private_segment_fixed_size 0
		.amdhsa_kernarg_size 376
		.amdhsa_user_sgpr_count 2
		.amdhsa_user_sgpr_dispatch_ptr 0
		.amdhsa_user_sgpr_queue_ptr 0
		.amdhsa_user_sgpr_kernarg_segment_ptr 1
		.amdhsa_user_sgpr_dispatch_id 0
		.amdhsa_user_sgpr_kernarg_preload_length 0
		.amdhsa_user_sgpr_kernarg_preload_offset 0
		.amdhsa_user_sgpr_private_segment_size 0
		.amdhsa_uses_dynamic_stack 0
		.amdhsa_enable_private_segment 0
		.amdhsa_system_sgpr_workgroup_id_x 1
		.amdhsa_system_sgpr_workgroup_id_y 0
		.amdhsa_system_sgpr_workgroup_id_z 1
		.amdhsa_system_sgpr_workgroup_info 0
		.amdhsa_system_vgpr_workitem_id 1
		.amdhsa_next_free_vgpr 186
		.amdhsa_next_free_sgpr 41
		.amdhsa_accum_offset 188
		.amdhsa_reserve_vcc 1
		.amdhsa_float_round_mode_32 0
		.amdhsa_float_round_mode_16_64 0
		.amdhsa_float_denorm_mode_32 3
		.amdhsa_float_denorm_mode_16_64 3
		.amdhsa_dx10_clamp 1
		.amdhsa_ieee_mode 1
		.amdhsa_fp16_overflow 0
		.amdhsa_tg_split 0
		.amdhsa_exception_fp_ieee_invalid_op 0
		.amdhsa_exception_fp_denorm_src 0
		.amdhsa_exception_fp_ieee_div_zero 0
		.amdhsa_exception_fp_ieee_overflow 0
		.amdhsa_exception_fp_ieee_underflow 0
		.amdhsa_exception_fp_ieee_inexact 0
		.amdhsa_exception_int_div_zero 0
	.end_amdhsa_kernel
	.section	.text._ZL26rocblas_hemvn_kernel_lowerILb1ELi64ELi4ELi33ELi32ELi16EiPK19rocblas_complex_numIdES3_PS1_EviT6_lT7_lT5_lS6_lS7_lS5_lT8_i,"axG",@progbits,_ZL26rocblas_hemvn_kernel_lowerILb1ELi64ELi4ELi33ELi32ELi16EiPK19rocblas_complex_numIdES3_PS1_EviT6_lT7_lT5_lS6_lS7_lS5_lT8_i,comdat
.Lfunc_end26:
	.size	_ZL26rocblas_hemvn_kernel_lowerILb1ELi64ELi4ELi33ELi32ELi16EiPK19rocblas_complex_numIdES3_PS1_EviT6_lT7_lT5_lS6_lS7_lS5_lT8_i, .Lfunc_end26-_ZL26rocblas_hemvn_kernel_lowerILb1ELi64ELi4ELi33ELi32ELi16EiPK19rocblas_complex_numIdES3_PS1_EviT6_lT7_lT5_lS6_lS7_lS5_lT8_i
                                        ; -- End function
	.section	.AMDGPU.csdata,"",@progbits
; Kernel info:
; codeLenInByte = 9444
; NumSgprs: 47
; NumVgprs: 186
; NumAgprs: 0
; TotalNumVgprs: 186
; ScratchSize: 0
; MemoryBound: 0
; FloatMode: 240
; IeeeMode: 1
; LDSByteSize: 19200 bytes/workgroup (compile time only)
; SGPRBlocks: 5
; VGPRBlocks: 23
; NumSGPRsForWavesPerEU: 47
; NumVGPRsForWavesPerEU: 186
; AccumOffset: 188
; Occupancy: 2
; WaveLimiterHint : 1
; COMPUTE_PGM_RSRC2:SCRATCH_EN: 0
; COMPUTE_PGM_RSRC2:USER_SGPR: 2
; COMPUTE_PGM_RSRC2:TRAP_HANDLER: 0
; COMPUTE_PGM_RSRC2:TGID_X_EN: 1
; COMPUTE_PGM_RSRC2:TGID_Y_EN: 0
; COMPUTE_PGM_RSRC2:TGID_Z_EN: 1
; COMPUTE_PGM_RSRC2:TIDIG_COMP_CNT: 1
; COMPUTE_PGM_RSRC3_GFX90A:ACCUM_OFFSET: 46
; COMPUTE_PGM_RSRC3_GFX90A:TG_SPLIT: 0
	.section	.text._ZL36rocblas_hemvn_kernel_lower_block_sumILi64EiPK19rocblas_complex_numIdEPS1_S1_EviT1_lS5_lT2_lT0_lPT3_i,"axG",@progbits,_ZL36rocblas_hemvn_kernel_lower_block_sumILi64EiPK19rocblas_complex_numIdEPS1_S1_EviT1_lS5_lT2_lT0_lPT3_i,comdat
	.globl	_ZL36rocblas_hemvn_kernel_lower_block_sumILi64EiPK19rocblas_complex_numIdEPS1_S1_EviT1_lS5_lT2_lT0_lPT3_i ; -- Begin function _ZL36rocblas_hemvn_kernel_lower_block_sumILi64EiPK19rocblas_complex_numIdEPS1_S1_EviT1_lS5_lT2_lT0_lPT3_i
	.p2align	8
	.type	_ZL36rocblas_hemvn_kernel_lower_block_sumILi64EiPK19rocblas_complex_numIdEPS1_S1_EviT1_lS5_lT2_lT0_lPT3_i,@function
_ZL36rocblas_hemvn_kernel_lower_block_sumILi64EiPK19rocblas_complex_numIdEPS1_S1_EviT1_lS5_lT2_lT0_lPT3_i: ; @_ZL36rocblas_hemvn_kernel_lower_block_sumILi64EiPK19rocblas_complex_numIdEPS1_S1_EviT1_lS5_lT2_lT0_lPT3_i
; %bb.0:
	s_load_dwordx8 s[4:11], s[0:1], 0x8
	s_waitcnt lgkmcnt(0)
	s_mul_i32 s7, s3, s7
	s_mul_hi_u32 s12, s3, s6
	s_add_i32 s7, s12, s7
	s_mul_i32 s6, s3, s6
	s_lshl_b64 s[6:7], s[6:7], 4
	s_add_u32 s4, s4, s6
	s_addc_u32 s5, s5, s7
	s_load_dwordx4 s[12:15], s[4:5], 0x0
	s_mul_i32 s4, s3, s11
	s_mul_hi_u32 s5, s3, s10
	s_add_i32 s5, s5, s4
	s_mul_i32 s4, s3, s10
	s_lshl_b64 s[4:5], s[4:5], 4
	s_add_u32 s4, s8, s4
	s_addc_u32 s5, s9, s5
	s_load_dwordx4 s[8:11], s[4:5], 0x0
	s_waitcnt lgkmcnt(0)
	v_cmp_neq_f64_e64 s[4:5], s[12:13], 0
	v_cmp_neq_f64_e64 s[6:7], s[14:15], 0
	s_or_b64 s[4:5], s[4:5], s[6:7]
	s_mov_b64 s[6:7], -1
	s_and_b64 vcc, exec, s[4:5]
	s_cbranch_vccnz .LBB27_2
; %bb.1:
	v_cmp_neq_f64_e64 s[6:7], s[8:9], 1.0
	v_cmp_neq_f64_e64 s[16:17], s[10:11], 0
	s_or_b64 s[6:7], s[6:7], s[16:17]
.LBB27_2:
	s_andn2_b64 vcc, exec, s[6:7]
	s_cbranch_vccnz .LBB27_22
; %bb.3:
	s_load_dwordx2 s[6:7], s[0:1], 0x40
	s_load_dword s24, s[0:1], 0x38
	s_load_dwordx4 s[20:23], s[0:1], 0x28
	s_load_dword s18, s[0:1], 0x0
	s_xor_b64 s[4:5], s[4:5], -1
	s_waitcnt lgkmcnt(0)
	s_mul_i32 s7, s3, s7
	s_mul_hi_u32 s16, s3, s6
	s_add_i32 s7, s16, s7
	s_mul_i32 s6, s3, s6
	s_lshl_b64 s[6:7], s[6:7], 4
	s_add_u32 s16, s20, s6
	s_addc_u32 s17, s21, s7
	s_lshl_b64 s[6:7], s[22:23], 4
	s_add_u32 s6, s16, s6
	v_lshl_or_b32 v8, s2, 6, v0
	s_addc_u32 s7, s17, s7
	s_andn2_b64 vcc, exec, s[4:5]
	v_cmp_gt_i32_e64 s[4:5], s18, v8
	s_cbranch_vccnz .LBB27_8
; %bb.4:
	s_mov_b64 s[20:21], 0
	s_mov_b64 s[16:17], 0
                                        ; implicit-def: $vgpr2_vgpr3
                                        ; implicit-def: $vgpr4_vgpr5
	s_and_saveexec_b64 s[22:23], s[4:5]
	s_cbranch_execz .LBB27_9
; %bb.5:
	v_cmp_neq_f64_e64 s[4:5], s[8:9], 0
	v_cmp_neq_f64_e64 s[16:17], s[10:11], 0
	v_mov_b64_e32 v[2:3], 0
	v_mul_lo_u32 v4, v8, s24
	s_or_b64 s[4:5], s[4:5], s[16:17]
	v_ashrrev_i32_e32 v5, 31, v4
	s_andn2_b64 vcc, exec, s[4:5]
	v_mov_b64_e32 v[0:1], v[2:3]
	s_cbranch_vccnz .LBB27_7
; %bb.6:
	v_lshl_add_u64 v[0:1], v[4:5], 4, s[6:7]
	global_load_dwordx4 v[10:13], v[0:1], off
	s_waitcnt vmcnt(0)
	v_mul_f64 v[0:1], s[10:11], v[12:13]
	v_mul_f64 v[2:3], s[8:9], v[12:13]
	v_fma_f64 v[0:1], s[8:9], v[10:11], -v[0:1]
	v_fmac_f64_e32 v[2:3], s[10:11], v[10:11]
.LBB27_7:
	s_mov_b64 s[16:17], exec
	s_or_b64 exec, exec, s[22:23]
	s_and_b64 vcc, exec, s[20:21]
	s_cbranch_vccnz .LBB27_10
	s_branch .LBB27_20
.LBB27_8:
	s_mov_b64 s[16:17], 0
                                        ; implicit-def: $vgpr2_vgpr3
                                        ; implicit-def: $vgpr4_vgpr5
	s_cbranch_execnz .LBB27_10
	s_branch .LBB27_20
.LBB27_9:
	s_or_b64 exec, exec, s[22:23]
	s_and_b64 vcc, exec, s[20:21]
	s_cbranch_vccz .LBB27_20
.LBB27_10:
	v_cmp_gt_i32_e32 vcc, s18, v8
                                        ; implicit-def: $vgpr2_vgpr3
                                        ; implicit-def: $vgpr4_vgpr5
	s_and_saveexec_b64 s[4:5], vcc
	s_cbranch_execz .LBB27_19
; %bb.11:
	s_load_dword s20, s[0:1], 0x58
	v_mov_b64_e32 v[0:1], 0
	v_mov_b64_e32 v[6:7], v[0:1]
	s_waitcnt lgkmcnt(0)
	s_cmp_ge_i32 s2, s20
	s_cbranch_scc1 .LBB27_14
; %bb.12:
	s_ashr_i32 s19, s18, 31
	s_mul_i32 s21, s2, s18
	s_load_dwordx2 s[0:1], s[0:1], 0x48
	v_add_u32_e32 v0, s21, v8
	s_mul_hi_u32 s21, s18, s3
	s_mul_i32 s22, s19, s3
	s_add_i32 s21, s21, s22
	s_mul_i32 s3, s18, s3
	s_mul_i32 s21, s21, s20
	s_mul_hi_u32 s22, s3, s20
	s_add_i32 s23, s22, s21
	s_mul_i32 s22, s3, s20
	s_lshl_b64 s[22:23], s[22:23], 4
	s_waitcnt lgkmcnt(0)
	s_add_u32 s0, s0, s22
	v_ashrrev_i32_e32 v1, 31, v0
	s_addc_u32 s1, s1, s23
	v_lshl_add_u64 v[0:1], v[0:1], 4, s[0:1]
	v_lshl_add_u64 v[2:3], v[0:1], 0, 8
	v_mov_b64_e32 v[0:1], 0
	s_lshl_b64 s[0:1], s[18:19], 4
	v_mov_b64_e32 v[6:7], v[0:1]
.LBB27_13:                              ; =>This Inner Loop Header: Depth=1
	global_load_dwordx4 v[10:13], v[2:3], off offset:-8
	s_add_i32 s2, s2, 1
	v_lshl_add_u64 v[2:3], v[2:3], 0, s[0:1]
	s_cmp_ge_i32 s2, s20
	s_waitcnt vmcnt(0)
	v_add_f64 v[6:7], v[6:7], v[10:11]
	v_add_f64 v[0:1], v[0:1], v[12:13]
	s_cbranch_scc0 .LBB27_13
.LBB27_14:
	v_cmp_neq_f64_e64 s[2:3], s[8:9], 0
	v_cmp_neq_f64_e64 s[18:19], s[10:11], 0
	s_or_b64 s[2:3], s[2:3], s[18:19]
	v_mul_f64 v[10:11], s[14:15], v[0:1]
	v_mul_f64 v[2:3], s[12:13], v[0:1]
	v_mul_lo_u32 v4, v8, s24
	s_mov_b64 s[0:1], 0
	s_andn2_b64 vcc, exec, s[2:3]
	v_fma_f64 v[0:1], s[12:13], v[6:7], -v[10:11]
	v_fmac_f64_e32 v[2:3], s[14:15], v[6:7]
	v_ashrrev_i32_e32 v5, 31, v4
	s_cbranch_vccnz .LBB27_16
; %bb.15:
	s_mov_b64 s[0:1], -1
.LBB27_16:
	s_andn2_b64 vcc, exec, s[0:1]
	s_cbranch_vccnz .LBB27_18
; %bb.17:
	v_lshl_add_u64 v[6:7], v[4:5], 4, s[6:7]
	global_load_dwordx4 v[6:9], v[6:7], off
	s_waitcnt vmcnt(0)
	v_mul_f64 v[10:11], s[10:11], v[8:9]
	v_mul_f64 v[8:9], s[8:9], v[8:9]
	v_fma_f64 v[10:11], s[8:9], v[6:7], -v[10:11]
	v_fmac_f64_e32 v[8:9], s[10:11], v[6:7]
	v_add_f64 v[0:1], v[0:1], v[10:11]
	v_add_f64 v[2:3], v[2:3], v[8:9]
.LBB27_18:
	s_or_b64 s[16:17], s[16:17], exec
.LBB27_19:
	s_or_b64 exec, exec, s[4:5]
.LBB27_20:
	s_and_saveexec_b64 s[0:1], s[16:17]
	s_cbranch_execz .LBB27_22
; %bb.21:
	v_lshl_add_u64 v[4:5], v[4:5], 4, s[6:7]
	global_store_dwordx4 v[4:5], v[0:3], off
.LBB27_22:
	s_endpgm
	.section	.rodata,"a",@progbits
	.p2align	6, 0x0
	.amdhsa_kernel _ZL36rocblas_hemvn_kernel_lower_block_sumILi64EiPK19rocblas_complex_numIdEPS1_S1_EviT1_lS5_lT2_lT0_lPT3_i
		.amdhsa_group_segment_fixed_size 0
		.amdhsa_private_segment_fixed_size 0
		.amdhsa_kernarg_size 344
		.amdhsa_user_sgpr_count 2
		.amdhsa_user_sgpr_dispatch_ptr 0
		.amdhsa_user_sgpr_queue_ptr 0
		.amdhsa_user_sgpr_kernarg_segment_ptr 1
		.amdhsa_user_sgpr_dispatch_id 0
		.amdhsa_user_sgpr_kernarg_preload_length 0
		.amdhsa_user_sgpr_kernarg_preload_offset 0
		.amdhsa_user_sgpr_private_segment_size 0
		.amdhsa_uses_dynamic_stack 0
		.amdhsa_enable_private_segment 0
		.amdhsa_system_sgpr_workgroup_id_x 1
		.amdhsa_system_sgpr_workgroup_id_y 0
		.amdhsa_system_sgpr_workgroup_id_z 1
		.amdhsa_system_sgpr_workgroup_info 0
		.amdhsa_system_vgpr_workitem_id 0
		.amdhsa_next_free_vgpr 14
		.amdhsa_next_free_sgpr 25
		.amdhsa_accum_offset 16
		.amdhsa_reserve_vcc 1
		.amdhsa_float_round_mode_32 0
		.amdhsa_float_round_mode_16_64 0
		.amdhsa_float_denorm_mode_32 3
		.amdhsa_float_denorm_mode_16_64 3
		.amdhsa_dx10_clamp 1
		.amdhsa_ieee_mode 1
		.amdhsa_fp16_overflow 0
		.amdhsa_tg_split 0
		.amdhsa_exception_fp_ieee_invalid_op 0
		.amdhsa_exception_fp_denorm_src 0
		.amdhsa_exception_fp_ieee_div_zero 0
		.amdhsa_exception_fp_ieee_overflow 0
		.amdhsa_exception_fp_ieee_underflow 0
		.amdhsa_exception_fp_ieee_inexact 0
		.amdhsa_exception_int_div_zero 0
	.end_amdhsa_kernel
	.section	.text._ZL36rocblas_hemvn_kernel_lower_block_sumILi64EiPK19rocblas_complex_numIdEPS1_S1_EviT1_lS5_lT2_lT0_lPT3_i,"axG",@progbits,_ZL36rocblas_hemvn_kernel_lower_block_sumILi64EiPK19rocblas_complex_numIdEPS1_S1_EviT1_lS5_lT2_lT0_lPT3_i,comdat
.Lfunc_end27:
	.size	_ZL36rocblas_hemvn_kernel_lower_block_sumILi64EiPK19rocblas_complex_numIdEPS1_S1_EviT1_lS5_lT2_lT0_lPT3_i, .Lfunc_end27-_ZL36rocblas_hemvn_kernel_lower_block_sumILi64EiPK19rocblas_complex_numIdEPS1_S1_EviT1_lS5_lT2_lT0_lPT3_i
                                        ; -- End function
	.section	.AMDGPU.csdata,"",@progbits
; Kernel info:
; codeLenInByte = 780
; NumSgprs: 31
; NumVgprs: 14
; NumAgprs: 0
; TotalNumVgprs: 14
; ScratchSize: 0
; MemoryBound: 0
; FloatMode: 240
; IeeeMode: 1
; LDSByteSize: 0 bytes/workgroup (compile time only)
; SGPRBlocks: 3
; VGPRBlocks: 1
; NumSGPRsForWavesPerEU: 31
; NumVGPRsForWavesPerEU: 14
; AccumOffset: 16
; Occupancy: 8
; WaveLimiterHint : 0
; COMPUTE_PGM_RSRC2:SCRATCH_EN: 0
; COMPUTE_PGM_RSRC2:USER_SGPR: 2
; COMPUTE_PGM_RSRC2:TRAP_HANDLER: 0
; COMPUTE_PGM_RSRC2:TGID_X_EN: 1
; COMPUTE_PGM_RSRC2:TGID_Y_EN: 0
; COMPUTE_PGM_RSRC2:TGID_Z_EN: 1
; COMPUTE_PGM_RSRC2:TIDIG_COMP_CNT: 0
; COMPUTE_PGM_RSRC3_GFX90A:ACCUM_OFFSET: 3
; COMPUTE_PGM_RSRC3_GFX90A:TG_SPLIT: 0
	.section	.text._ZL26rocblas_hemvn_kernel_lowerILb1ELi64ELi4ELi33ELi32ELi16El19rocblas_complex_numIdEPKS1_PS1_EviT6_lT7_lT5_lS6_lS7_lS5_lT8_i,"axG",@progbits,_ZL26rocblas_hemvn_kernel_lowerILb1ELi64ELi4ELi33ELi32ELi16El19rocblas_complex_numIdEPKS1_PS1_EviT6_lT7_lT5_lS6_lS7_lS5_lT8_i,comdat
	.globl	_ZL26rocblas_hemvn_kernel_lowerILb1ELi64ELi4ELi33ELi32ELi16El19rocblas_complex_numIdEPKS1_PS1_EviT6_lT7_lT5_lS6_lS7_lS5_lT8_i ; -- Begin function _ZL26rocblas_hemvn_kernel_lowerILb1ELi64ELi4ELi33ELi32ELi16El19rocblas_complex_numIdEPKS1_PS1_EviT6_lT7_lT5_lS6_lS7_lS5_lT8_i
	.p2align	8
	.type	_ZL26rocblas_hemvn_kernel_lowerILb1ELi64ELi4ELi33ELi32ELi16El19rocblas_complex_numIdEPKS1_PS1_EviT6_lT7_lT5_lS6_lS7_lS5_lT8_i,@function
_ZL26rocblas_hemvn_kernel_lowerILb1ELi64ELi4ELi33ELi32ELi16El19rocblas_complex_numIdEPKS1_PS1_EviT6_lT7_lT5_lS6_lS7_lS5_lT8_i: ; @_ZL26rocblas_hemvn_kernel_lowerILb1ELi64ELi4ELi33ELi32ELi16El19rocblas_complex_numIdEPKS1_PS1_EviT6_lT7_lT5_lS6_lS7_lS5_lT8_i
; %bb.0:
	s_load_dwordx2 s[6:7], s[0:1], 0x94
	s_add_u32 s4, s0, 0x88
	s_addc_u32 s5, s1, 0
	s_waitcnt lgkmcnt(0)
	s_lshr_b32 s8, s6, 16
	s_and_b32 s6, s6, 0xffff
	s_and_b32 s7, s7, 0xffff
	s_mul_i32 s6, s8, s6
	s_mul_i32 s6, s6, s7
	s_cmpk_lg_i32 s6, 0x100
	s_cbranch_scc1 .LBB28_135
; %bb.1:
	s_load_dwordx4 s[8:11], s[0:1], 0x8
	s_waitcnt lgkmcnt(0)
	v_cmp_neq_f64_e64 s[6:7], s[8:9], 0
	v_cmp_neq_f64_e64 s[8:9], s[10:11], 0
	s_or_b64 s[6:7], s[6:7], s[8:9]
	s_mov_b64 s[8:9], -1
	s_and_b64 vcc, exec, s[6:7]
	s_cbranch_vccnz .LBB28_3
; %bb.2:
	s_load_dwordx4 s[8:11], s[0:1], 0x60
	s_waitcnt lgkmcnt(0)
	v_cmp_neq_f64_e64 s[8:9], s[8:9], 1.0
	v_cmp_neq_f64_e64 s[10:11], s[10:11], 0
	s_or_b64 s[8:9], s[8:9], s[10:11]
.LBB28_3:
	s_andn2_b64 vcc, exec, s[8:9]
	s_cbranch_vccnz .LBB28_135
; %bb.4:
	s_andn2_b64 vcc, exec, s[6:7]
	s_cbranch_vccnz .LBB28_135
; %bb.5:
	s_load_dwordx16 s[36:51], s[0:1], 0x20
	s_load_dword s34, s[4:5], 0x0
	s_load_dword s33, s[0:1], 0x0
	v_and_b32_e32 v42, 0x3ff, v0
	v_bfe_u32 v142, v0, 10, 10
	s_waitcnt lgkmcnt(0)
	s_mul_i32 s5, s3, s51
	s_mul_hi_u32 s6, s3, s50
	s_mul_i32 s4, s3, s50
	s_add_i32 s5, s6, s5
	s_lshl_b64 s[4:5], s[4:5], 4
	s_add_u32 s6, s44, s4
	s_addc_u32 s7, s45, s5
	s_lshl_b64 s[4:5], s[46:47], 4
	s_add_u32 s4, s6, s4
	s_addc_u32 s5, s7, s5
	s_ashr_i32 s35, s33, 31
	s_lshr_b32 s7, s35, 26
	s_add_i32 s7, s33, s7
	s_lshl_b32 s24, s2, 6
	s_andn2_b32 s7, s7, 63
	s_add_i32 s6, s34, -1
	s_sub_i32 s7, s33, s7
	v_add_u32_e32 v132, s24, v42
	s_cmp_eq_u32 s2, s6
	v_ashrrev_i32_e32 v133, 31, v132
	s_cselect_b32 s22, s7, 0
	v_mul_lo_u32 v2, v133, s48
	v_mul_lo_u32 v3, v132, s49
	v_mad_u64_u32 v[0:1], s[6:7], v132, s48, 0
	v_add3_u32 v1, v1, v3, v2
	v_lshl_add_u64 v[36:37], v[0:1], 4, s[4:5]
	v_cmp_ne_u32_e64 s[4:5], 0, v142
	v_cmp_eq_u32_e64 s[18:19], 0, v142
	s_and_saveexec_b64 s[6:7], s[18:19]
	s_cbranch_execz .LBB28_10
; %bb.6:
	s_cmp_lg_u32 s22, 0
	s_cselect_b64 s[8:9], -1, 0
	v_cmp_le_i32_e32 vcc, s22, v42
	v_mov_b32_e32 v0, 0x4700
	s_and_b64 s[8:9], s[8:9], vcc
	v_lshl_add_u32 v0, v42, 4, v0
	s_and_saveexec_b64 s[10:11], s[8:9]
	s_xor_b64 s[8:9], exec, s[10:11]
	s_cbranch_execz .LBB28_8
; %bb.7:
	v_mov_b32_e32 v2, 0
	v_mov_b32_e32 v3, v2
	;; [unrolled: 1-line block ×4, first 2 shown]
	ds_write_b128 v0, v[2:5]
                                        ; implicit-def: $vgpr0
.LBB28_8:
	s_andn2_saveexec_b64 s[8:9], s[8:9]
	s_cbranch_execz .LBB28_10
; %bb.9:
	global_load_dwordx4 v[2:5], v[36:37], off
	s_waitcnt vmcnt(0)
	ds_write2_b64 v0, v[2:3], v[4:5] offset1:1
.LBB28_10:
	s_or_b64 exec, exec, s[6:7]
	s_mul_i32 s6, s3, s43
	s_mul_hi_u32 s7, s3, s42
	s_add_i32 s7, s7, s6
	s_mul_i32 s6, s3, s42
	s_lshl_b64 s[6:7], s[6:7], 4
	s_add_u32 s8, s36, s6
	s_addc_u32 s9, s37, s7
	s_lshl_b64 s[6:7], s[38:39], 4
	s_add_u32 s8, s8, s6
	s_addc_u32 s9, s9, s7
	s_ashr_i32 s25, s24, 31
	v_lshl_add_u32 v43, v142, 6, v42
	s_lshl_b64 s[6:7], s[24:25], 4
	v_and_b32_e32 v4, 31, v42
	v_lshrrev_b32_e32 v12, 5, v43
	s_add_u32 s8, s8, s6
	v_mov_b32_e32 v5, 0
	s_addc_u32 s9, s9, s7
	v_mad_u64_u32 v[38:39], s[6:7], v12, s40, v[4:5]
	v_mov_b32_e32 v0, v39
	v_mad_u64_u32 v[0:1], s[6:7], v12, s41, v[0:1]
	s_mul_i32 s6, s24, s41
	s_mul_hi_u32 s7, s24, s40
	s_add_i32 s6, s7, s6
	s_mul_i32 s7, s25, s40
	s_add_i32 s7, s6, s7
	s_mul_i32 s6, s24, s40
	s_lshl_b64 s[26:27], s[6:7], 4
	s_add_u32 s6, s26, s8
	s_addc_u32 s7, s27, s9
	s_cmp_lg_u32 s22, 0
	v_mov_b32_e32 v39, v0
	s_cselect_b64 s[28:29], -1, 0
	s_cmp_eq_u32 s22, 0
	v_lshl_add_u64 v[6:7], v[38:39], 4, s[6:7]
	s_cselect_b64 s[20:21], -1, 0
	s_and_b64 vcc, exec, s[28:29]
	s_cbranch_vccnz .LBB28_12
; %bb.11:
	s_lshl_b64 s[6:7], s[40:41], 7
	v_lshl_add_u64 v[8:9], v[6:7], 0, s[6:7]
	v_mov_b32_e32 v5, 0x180
	global_load_dwordx4 v[0:3], v[8:9], off
	global_load_dwordx4 v[14:17], v[6:7], off
	v_lshl_add_u64 v[8:9], v[8:9], 0, s[6:7]
	v_mad_u64_u32 v[18:19], s[6:7], s40, v5, v[6:7]
	s_mul_i32 s6, s41, 0x180
	global_load_dwordx4 v[8:11], v[8:9], off
	v_add_u32_e32 v19, s6, v19
	global_load_dwordx4 v[18:21], v[18:19], off
	v_mul_u32_u24_e32 v5, 33, v12
	v_add_lshl_u32 v5, v5, v4, 4
	v_add_u32_e32 v13, 0x1080, v5
	v_add_u32_e32 v22, 0x2100, v5
	;; [unrolled: 1-line block ×3, first 2 shown]
	s_waitcnt vmcnt(2)
	ds_write2_b64 v5, v[14:15], v[16:17] offset1:1
	ds_write2_b64 v13, v[0:1], v[2:3] offset1:1
	s_waitcnt vmcnt(1)
	ds_write2_b64 v22, v[8:9], v[10:11] offset1:1
	s_waitcnt vmcnt(0)
	ds_write2_b64 v23, v[18:19], v[20:21] offset1:1
	s_cbranch_execz .LBB28_13
	s_branch .LBB28_30
.LBB28_12:
.LBB28_13:
	v_lshlrev_b32_e32 v0, 4, v4
	v_sub_co_u32_e32 v2, vcc, v6, v0
	s_ashr_i32 s23, s22, 31
	s_nop 0
	v_subbrev_co_u32_e32 v3, vcc, 0, v7, vcc
	v_lshl_add_u64 v[2:3], s[22:23], 4, v[2:3]
	v_lshl_add_u64 v[2:3], v[2:3], 0, -16
	v_cmp_gt_i32_e32 vcc, s22, v4
	v_mul_u32_u24_e32 v1, 33, v12
	v_cmp_le_i32_e64 s[6:7], s22, v12
	v_cndmask_b32_e32 v3, v3, v7, vcc
	v_cndmask_b32_e32 v2, v2, v6, vcc
	v_add_lshl_u32 v1, v1, v4, 4
	s_and_saveexec_b64 s[8:9], s[6:7]
	s_xor_b64 s[6:7], exec, s[8:9]
	s_cbranch_execz .LBB28_15
; %bb.14:
	v_mov_b32_e32 v8, 0
	v_mov_b32_e32 v9, v8
	;; [unrolled: 1-line block ×4, first 2 shown]
	ds_write_b128 v1, v[8:11]
.LBB28_15:
	s_andn2_saveexec_b64 s[6:7], s[6:7]
	s_cbranch_execz .LBB28_17
; %bb.16:
	global_load_dwordx4 v[8:11], v[2:3], off
	s_waitcnt vmcnt(0)
	ds_write2_b64 v1, v[8:9], v[10:11] offset1:1
.LBB28_17:
	s_or_b64 exec, exec, s[6:7]
	v_add_u32_e32 v5, 8, v12
	v_cmp_le_i32_e64 s[6:7], s22, v5
	s_and_saveexec_b64 s[8:9], s[6:7]
	s_xor_b64 s[6:7], exec, s[8:9]
	s_cbranch_execz .LBB28_19
; %bb.18:
	v_mul_u32_u24_e32 v5, 33, v5
	v_mov_b32_e32 v8, 0
	v_add_lshl_u32 v5, v5, v4, 4
	v_mov_b32_e32 v9, v8
	v_mov_b32_e32 v10, v8
	;; [unrolled: 1-line block ×3, first 2 shown]
	ds_write_b128 v5, v[8:11]
.LBB28_19:
	s_andn2_saveexec_b64 s[6:7], s[6:7]
	s_cbranch_execz .LBB28_21
; %bb.20:
	s_lshl_b64 s[8:9], s[40:41], 7
	v_lshl_add_u64 v[8:9], v[2:3], 0, s[8:9]
	global_load_dwordx4 v[8:11], v[8:9], off
	v_add_u32_e32 v5, 0x1080, v1
	s_waitcnt vmcnt(0)
	ds_write2_b64 v5, v[8:9], v[10:11] offset1:1
.LBB28_21:
	s_or_b64 exec, exec, s[6:7]
	v_add_u32_e32 v5, 16, v12
	v_cmp_le_i32_e64 s[6:7], s22, v5
	s_and_saveexec_b64 s[8:9], s[6:7]
	s_xor_b64 s[6:7], exec, s[8:9]
	s_cbranch_execz .LBB28_23
; %bb.22:
	v_mov_b32_e32 v8, 0
	v_mov_b32_e32 v9, v8
	v_mov_b32_e32 v10, v8
	v_mov_b32_e32 v11, v8
	ds_write_b128 v1, v[8:11] offset:8448
.LBB28_23:
	s_andn2_saveexec_b64 s[6:7], s[6:7]
	s_cbranch_execz .LBB28_25
; %bb.24:
	s_lshl_b64 s[8:9], s[40:41], 8
	v_lshl_add_u64 v[8:9], v[2:3], 0, s[8:9]
	global_load_dwordx4 v[8:11], v[8:9], off
	v_add_u32_e32 v5, 0x2100, v1
	s_waitcnt vmcnt(0)
	ds_write2_b64 v5, v[8:9], v[10:11] offset1:1
.LBB28_25:
	s_or_b64 exec, exec, s[6:7]
	v_add_u32_e32 v5, 24, v12
	v_cmp_le_i32_e64 s[6:7], s22, v5
	s_and_saveexec_b64 s[8:9], s[6:7]
	s_xor_b64 s[6:7], exec, s[8:9]
	s_cbranch_execz .LBB28_27
; %bb.26:
	v_mov_b32_e32 v8, 0
	v_mov_b32_e32 v9, v8
	;; [unrolled: 1-line block ×4, first 2 shown]
	ds_write_b128 v1, v[8:11] offset:12672
                                        ; implicit-def: $vgpr1
.LBB28_27:
	s_andn2_saveexec_b64 s[6:7], s[6:7]
	s_cbranch_execz .LBB28_29
; %bb.28:
	v_mov_b32_e32 v5, 0x180
	v_mad_u64_u32 v[8:9], s[8:9], s40, v5, v[2:3]
	s_mul_i32 s8, s41, 0x180
	s_nop 0
	v_add_u32_e32 v9, s8, v9
	global_load_dwordx4 v[8:11], v[8:9], off
	v_add_u32_e32 v1, 0x3180, v1
	s_waitcnt vmcnt(0)
	ds_write2_b64 v1, v[8:9], v[10:11] offset1:1
.LBB28_29:
	s_or_b64 exec, exec, s[6:7]
	v_mov_b32_e32 v1, 0
	v_lshl_add_u64 v[0:1], v[2:3], 0, v[0:1]
	s_lshl_b64 s[6:7], s[22:23], 4
	v_mov_b32_e32 v2, s7
	v_subrev_co_u32_e64 v0, s[6:7], s6, v0
	s_nop 1
	v_subb_co_u32_e64 v1, s[6:7], v1, v2, s[6:7]
	v_lshl_add_u64 v[0:1], v[0:1], 0, 16
	v_cndmask_b32_e32 v7, v1, v7, vcc
	v_cndmask_b32_e32 v6, v0, v6, vcc
.LBB28_30:
	v_lshlrev_b32_e32 v14, 2, v12
	v_cmp_ge_u32_e64 s[8:9], v14, v4
	s_waitcnt lgkmcnt(0)
	s_barrier
	s_and_saveexec_b64 s[6:7], s[8:9]
	s_xor_b64 s[6:7], exec, s[6:7]
	s_cbranch_execz .LBB28_34
; %bb.31:
	v_cmp_eq_u32_e32 vcc, v14, v4
	s_and_saveexec_b64 s[10:11], vcc
	s_cbranch_execz .LBB28_33
; %bb.32:
	v_mul_u32_u24_e32 v0, 34, v4
	v_lshlrev_b32_e32 v2, 4, v0
	v_mov_b32_e32 v0, 0
	v_mov_b32_e32 v1, v0
	ds_write_b64 v2, v[0:1] offset:8
.LBB28_33:
	s_or_b64 exec, exec, s[10:11]
.LBB28_34:
	s_or_saveexec_b64 s[6:7], s[6:7]
	v_mul_u32_u24_e32 v44, 33, v4
	v_add_lshl_u32 v5, v14, v44, 4
	s_xor_b64 exec, exec, s[6:7]
	s_cbranch_execz .LBB28_36
; %bb.35:
	v_mul_u32_u24_e32 v0, 0x84, v12
	v_add_lshl_u32 v0, v0, v4, 4
	ds_read_b128 v[0:3], v0
	s_waitcnt lgkmcnt(0)
	v_xor_b32_e32 v3, 0x80000000, v3
	ds_write_b128 v5, v[0:3]
.LBB28_36:
	s_or_b64 exec, exec, s[6:7]
	v_or_b32_e32 v15, 1, v14
	v_cmp_ge_u32_e64 s[10:11], v15, v4
	s_and_saveexec_b64 s[6:7], s[10:11]
	s_xor_b64 s[6:7], exec, s[6:7]
	s_cbranch_execz .LBB28_40
; %bb.37:
	v_cmp_eq_u32_e32 vcc, v15, v4
	s_and_saveexec_b64 s[12:13], vcc
	s_cbranch_execz .LBB28_39
; %bb.38:
	v_mul_u32_u24_e32 v0, 34, v4
	v_lshlrev_b32_e32 v2, 4, v0
	v_mov_b32_e32 v0, 0
	v_mov_b32_e32 v1, v0
	ds_write_b64 v2, v[0:1] offset:8
.LBB28_39:
	s_or_b64 exec, exec, s[12:13]
.LBB28_40:
	s_or_saveexec_b64 s[6:7], s[6:7]
	v_mul_u32_u24_e32 v0, 33, v15
	s_xor_b64 exec, exec, s[6:7]
	s_cbranch_execz .LBB28_42
; %bb.41:
	v_add_lshl_u32 v1, v0, v4, 4
	ds_read_b128 v[8:11], v1
	s_waitcnt lgkmcnt(0)
	v_xor_b32_e32 v11, 0x80000000, v11
	ds_write_b128 v5, v[8:11] offset:16
.LBB28_42:
	s_or_b64 exec, exec, s[6:7]
	v_or_b32_e32 v16, 2, v14
	v_cmp_ge_u32_e64 s[12:13], v16, v4
	s_and_saveexec_b64 s[6:7], s[12:13]
	s_xor_b64 s[6:7], exec, s[6:7]
	s_cbranch_execz .LBB28_46
; %bb.43:
	v_cmp_eq_u32_e32 vcc, v16, v4
	s_and_saveexec_b64 s[14:15], vcc
	s_cbranch_execz .LBB28_45
; %bb.44:
	v_mul_u32_u24_e32 v1, 34, v4
	v_mov_b32_e32 v2, 0
	v_lshlrev_b32_e32 v1, 4, v1
	v_mov_b32_e32 v3, v2
	ds_write_b64 v1, v[2:3] offset:8
.LBB28_45:
	s_or_b64 exec, exec, s[14:15]
.LBB28_46:
	s_andn2_saveexec_b64 s[6:7], s[6:7]
	s_cbranch_execz .LBB28_48
; %bb.47:
	v_mul_u32_u24_e32 v1, 33, v16
	v_add_lshl_u32 v1, v1, v4, 4
	ds_read_b128 v[8:11], v1
	s_waitcnt lgkmcnt(0)
	v_xor_b32_e32 v11, 0x80000000, v11
	ds_write_b128 v5, v[8:11] offset:32
.LBB28_48:
	s_or_b64 exec, exec, s[6:7]
	v_or_b32_e32 v17, 3, v14
	v_cmp_ge_u32_e64 s[14:15], v17, v4
	s_and_saveexec_b64 s[6:7], s[14:15]
	s_xor_b64 s[6:7], exec, s[6:7]
	s_cbranch_execz .LBB28_52
; %bb.49:
	v_cmp_eq_u32_e32 vcc, v17, v4
	s_and_saveexec_b64 s[16:17], vcc
	s_cbranch_execz .LBB28_51
; %bb.50:
	v_mul_u32_u24_e32 v1, 34, v4
	v_mov_b32_e32 v2, 0
	v_lshlrev_b32_e32 v1, 4, v1
	v_mov_b32_e32 v3, v2
	ds_write_b64 v1, v[2:3] offset:8
.LBB28_51:
	s_or_b64 exec, exec, s[16:17]
.LBB28_52:
	s_andn2_saveexec_b64 s[6:7], s[6:7]
	s_cbranch_execz .LBB28_54
; %bb.53:
	v_mul_u32_u24_e32 v1, 33, v17
	v_add_lshl_u32 v1, v1, v4, 4
	ds_read_b128 v[8:11], v1
	s_waitcnt lgkmcnt(0)
	v_xor_b32_e32 v11, 0x80000000, v11
	ds_write_b128 v5, v[8:11] offset:48
.LBB28_54:
	s_or_b64 exec, exec, s[6:7]
	v_mul_u32_u24_e32 v1, 0x84, v12
	v_lshlrev_b32_e32 v19, 4, v14
	s_waitcnt lgkmcnt(0)
	s_barrier
	v_add_lshl_u32 v18, v1, v4, 4
	ds_read_b128 v[8:11], v19 offset:18176
	ds_read_b128 v[20:23], v19 offset:18192
	ds_read_b128 v[24:27], v18
	ds_read_b128 v[28:31], v19 offset:18208
	ds_read_b128 v[32:35], v19 offset:18224
	v_add_lshl_u32 v13, v0, v4, 4
	ds_read_b128 v[0:3], v13
	s_waitcnt lgkmcnt(3)
	v_mul_f64 v[40:41], v[10:11], v[26:27]
	v_fma_f64 v[40:41], v[8:9], v[24:25], -v[40:41]
	v_mul_f64 v[8:9], v[8:9], v[26:27]
	v_fmac_f64_e32 v[8:9], v[10:11], v[24:25]
	v_add_f64 v[26:27], v[8:9], 0
	s_waitcnt lgkmcnt(0)
	v_mul_f64 v[8:9], v[22:23], v[2:3]
	v_add_f64 v[24:25], v[40:41], 0
	v_fma_f64 v[40:41], v[20:21], v[0:1], -v[8:9]
	v_mul_f64 v[2:3], v[20:21], v[2:3]
	ds_read_b128 v[8:11], v13 offset:528
	v_fmac_f64_e32 v[2:3], v[22:23], v[0:1]
	v_add_f64 v[22:23], v[26:27], v[2:3]
	ds_read_b128 v[0:3], v13 offset:1056
	v_add_f64 v[20:21], v[24:25], v[40:41]
	s_waitcnt lgkmcnt(1)
	v_mul_f64 v[24:25], v[30:31], v[10:11]
	v_fma_f64 v[24:25], v[28:29], v[8:9], -v[24:25]
	v_mul_f64 v[10:11], v[28:29], v[10:11]
	v_fmac_f64_e32 v[10:11], v[30:31], v[8:9]
	v_add_f64 v[8:9], v[20:21], v[24:25]
	s_waitcnt lgkmcnt(0)
	v_mul_f64 v[20:21], v[34:35], v[2:3]
	v_mul_f64 v[2:3], v[32:33], v[2:3]
	v_add_f64 v[10:11], v[22:23], v[10:11]
	v_fma_f64 v[20:21], v[32:33], v[0:1], -v[20:21]
	v_fmac_f64_e32 v[2:3], v[34:35], v[0:1]
	v_add_f64 v[0:1], v[8:9], v[20:21]
	v_add_f64 v[2:3], v[10:11], v[2:3]
	v_add_lshl_u32 v45, v12, v44, 4
	s_barrier
	ds_write_b128 v45, v[0:3]
	v_mov_b64_e32 v[0:1], 0
	v_cmp_gt_u32_e64 s[6:7], 32, v43
	v_mov_b64_e32 v[2:3], v[0:1]
	s_waitcnt lgkmcnt(0)
	s_barrier
	s_and_saveexec_b64 s[16:17], s[6:7]
	s_cbranch_execz .LBB28_56
; %bb.55:
	v_lshlrev_b32_e32 v28, 4, v44
	ds_read_b128 v[0:3], v28
	ds_read_b128 v[8:11], v28 offset:16
	ds_read_b128 v[20:23], v28 offset:32
	;; [unrolled: 1-line block ×3, first 2 shown]
	s_waitcnt lgkmcnt(2)
	v_add_f64 v[0:1], v[8:9], v[0:1]
	v_add_f64 v[8:9], v[10:11], v[2:3]
	s_waitcnt lgkmcnt(1)
	v_add_f64 v[10:11], v[0:1], v[20:21]
	ds_read_b128 v[0:3], v28 offset:64
	v_add_f64 v[8:9], v[8:9], v[22:23]
	s_waitcnt lgkmcnt(1)
	v_add_f64 v[20:21], v[10:11], v[24:25]
	v_add_f64 v[24:25], v[8:9], v[26:27]
	ds_read_b128 v[8:11], v28 offset:80
	s_waitcnt lgkmcnt(1)
	v_add_f64 v[26:27], v[20:21], v[0:1]
	ds_read_b128 v[20:23], v28 offset:96
	v_add_f64 v[24:25], v[24:25], v[2:3]
	ds_read_b128 v[0:3], v28 offset:112
	s_waitcnt lgkmcnt(2)
	v_add_f64 v[8:9], v[26:27], v[8:9]
	v_add_f64 v[10:11], v[24:25], v[10:11]
	s_waitcnt lgkmcnt(1)
	v_add_f64 v[8:9], v[8:9], v[20:21]
	v_add_f64 v[10:11], v[10:11], v[22:23]
	;; [unrolled: 3-line block ×3, first 2 shown]
.LBB28_56:
	s_or_b64 exec, exec, s[16:17]
	s_lshl_b64 s[16:17], s[40:41], 9
	v_lshl_add_u64 v[8:9], v[6:7], 0, s[16:17]
	s_mov_b64 s[30:31], 0x200
	v_cndmask_b32_e64 v6, 0, 1, s[20:21]
	v_cmp_ne_u32_e64 s[16:17], 1, v6
	s_andn2_b64 vcc, exec, s[20:21]
	v_lshl_add_u64 v[6:7], v[8:9], 0, s[30:31]
	s_barrier
	s_cbranch_vccnz .LBB28_58
; %bb.57:
	s_lshl_b64 s[20:21], s[40:41], 7
	v_lshl_add_u64 v[10:11], v[8:9], 0, s[20:21]
	v_lshl_add_u64 v[28:29], v[10:11], 0, s[20:21]
	global_load_dwordx4 v[20:23], v[10:11], off offset:512
	global_load_dwordx4 v[24:27], v[28:29], off offset:512
	v_mov_b32_e32 v10, 0x180
	v_mad_u64_u32 v[28:29], s[20:21], s40, v10, v[8:9]
	global_load_dwordx4 v[8:11], v[6:7], off
	s_mul_i32 s20, s41, 0x180
	v_add_u32_e32 v29, s20, v29
	global_load_dwordx4 v[28:31], v[28:29], off offset:512
	v_mul_u32_u24_e32 v32, 33, v12
	v_add_lshl_u32 v32, v32, v4, 4
	v_add_u32_e32 v33, 0x1080, v32
	v_add_u32_e32 v34, 0x2100, v32
	;; [unrolled: 1-line block ×3, first 2 shown]
	s_waitcnt vmcnt(1)
	ds_write2_b64 v32, v[8:9], v[10:11] offset1:1
	ds_write2_b64 v33, v[20:21], v[22:23] offset1:1
	;; [unrolled: 1-line block ×3, first 2 shown]
	s_waitcnt vmcnt(0)
	ds_write2_b64 v35, v[28:29], v[30:31] offset1:1
	s_cbranch_execz .LBB28_59
	s_branch .LBB28_76
.LBB28_58:
.LBB28_59:
	v_lshlrev_b32_e32 v8, 4, v4
	v_sub_co_u32_e32 v10, vcc, v6, v8
	s_ashr_i32 s23, s22, 31
	s_nop 0
	v_subbrev_co_u32_e32 v11, vcc, 0, v7, vcc
	s_movk_i32 s20, 0xfdf0
	v_or_b32_e32 v9, 32, v4
	v_lshl_add_u64 v[10:11], s[22:23], 4, v[10:11]
	s_mov_b32 s21, -1
	v_lshl_add_u64 v[10:11], v[10:11], 0, s[20:21]
	v_cmp_gt_i32_e32 vcc, s22, v9
	s_sub_i32 s30, s22, 32
	v_mul_u32_u24_e32 v9, 33, v12
	v_cndmask_b32_e32 v11, v11, v7, vcc
	v_cndmask_b32_e32 v10, v10, v6, vcc
	v_cmp_le_i32_e64 s[20:21], s30, v12
	v_add_lshl_u32 v9, v9, v4, 4
	s_and_saveexec_b64 s[36:37], s[20:21]
	s_xor_b64 s[20:21], exec, s[36:37]
	s_cbranch_execz .LBB28_61
; %bb.60:
	v_mov_b32_e32 v20, 0
	v_mov_b32_e32 v21, v20
	;; [unrolled: 1-line block ×4, first 2 shown]
	ds_write_b128 v9, v[20:23]
.LBB28_61:
	s_andn2_saveexec_b64 s[20:21], s[20:21]
	s_cbranch_execz .LBB28_63
; %bb.62:
	global_load_dwordx4 v[20:23], v[10:11], off
	s_waitcnt vmcnt(0)
	ds_write2_b64 v9, v[20:21], v[22:23] offset1:1
.LBB28_63:
	s_or_b64 exec, exec, s[20:21]
	v_add_u32_e32 v20, 8, v12
	v_cmp_le_i32_e64 s[20:21], s30, v20
	s_and_saveexec_b64 s[36:37], s[20:21]
	s_xor_b64 s[20:21], exec, s[36:37]
	s_cbranch_execz .LBB28_65
; %bb.64:
	v_mul_u32_u24_e32 v20, 33, v20
	v_add_lshl_u32 v24, v20, v4, 4
	v_mov_b32_e32 v20, 0
	v_mov_b32_e32 v21, v20
	;; [unrolled: 1-line block ×4, first 2 shown]
	ds_write_b128 v24, v[20:23]
.LBB28_65:
	s_andn2_saveexec_b64 s[20:21], s[20:21]
	s_cbranch_execz .LBB28_67
; %bb.66:
	s_lshl_b64 s[36:37], s[40:41], 7
	v_lshl_add_u64 v[20:21], v[10:11], 0, s[36:37]
	global_load_dwordx4 v[20:23], v[20:21], off
	v_add_u32_e32 v24, 0x1080, v9
	s_waitcnt vmcnt(0)
	ds_write2_b64 v24, v[20:21], v[22:23] offset1:1
.LBB28_67:
	s_or_b64 exec, exec, s[20:21]
	v_add_u32_e32 v20, 16, v12
	v_cmp_le_i32_e64 s[20:21], s30, v20
	s_and_saveexec_b64 s[36:37], s[20:21]
	s_xor_b64 s[20:21], exec, s[36:37]
	s_cbranch_execz .LBB28_69
; %bb.68:
	v_mov_b32_e32 v20, 0
	v_mov_b32_e32 v21, v20
	;; [unrolled: 1-line block ×4, first 2 shown]
	ds_write_b128 v9, v[20:23] offset:8448
.LBB28_69:
	s_andn2_saveexec_b64 s[20:21], s[20:21]
	s_cbranch_execz .LBB28_71
; %bb.70:
	s_lshl_b64 s[36:37], s[40:41], 8
	v_lshl_add_u64 v[20:21], v[10:11], 0, s[36:37]
	global_load_dwordx4 v[20:23], v[20:21], off
	v_add_u32_e32 v24, 0x2100, v9
	s_waitcnt vmcnt(0)
	ds_write2_b64 v24, v[20:21], v[22:23] offset1:1
.LBB28_71:
	s_or_b64 exec, exec, s[20:21]
	v_add_u32_e32 v20, 24, v12
	v_cmp_le_i32_e64 s[20:21], s30, v20
	s_and_saveexec_b64 s[30:31], s[20:21]
	s_xor_b64 s[20:21], exec, s[30:31]
	s_cbranch_execz .LBB28_73
; %bb.72:
	v_mov_b32_e32 v20, 0
	v_mov_b32_e32 v21, v20
	;; [unrolled: 1-line block ×4, first 2 shown]
	ds_write_b128 v9, v[20:23] offset:12672
                                        ; implicit-def: $vgpr9
.LBB28_73:
	s_andn2_saveexec_b64 s[20:21], s[20:21]
	s_cbranch_execz .LBB28_75
; %bb.74:
	v_mov_b32_e32 v20, 0x180
	v_mad_u64_u32 v[20:21], s[30:31], s40, v20, v[10:11]
	s_mul_i32 s30, s41, 0x180
	s_nop 0
	v_add_u32_e32 v21, s30, v21
	global_load_dwordx4 v[20:23], v[20:21], off
	v_add_u32_e32 v9, 0x3180, v9
	s_waitcnt vmcnt(0)
	ds_write2_b64 v9, v[20:21], v[22:23] offset1:1
.LBB28_75:
	s_or_b64 exec, exec, s[20:21]
	v_mov_b32_e32 v9, 0
	v_lshl_add_u64 v[8:9], v[10:11], 0, v[8:9]
	s_lshl_b64 s[20:21], s[22:23], 4
	v_mov_b32_e32 v10, s21
	v_subrev_co_u32_e64 v8, s[20:21], s20, v8
	s_nop 1
	v_subb_co_u32_e64 v9, s[20:21], v9, v10, s[20:21]
	s_mov_b64 s[20:21], 0x210
	s_nop 0
	v_lshl_add_u64 v[8:9], v[8:9], 0, s[20:21]
	v_cndmask_b32_e32 v7, v9, v7, vcc
	v_cndmask_b32_e32 v6, v8, v6, vcc
.LBB28_76:
	v_add_u32_e32 v10, 0x4700, v19
	s_lshl_b64 s[20:21], s[40:41], 5
	s_waitcnt lgkmcnt(0)
	s_barrier
	s_and_saveexec_b64 s[30:31], s[8:9]
	s_xor_b64 s[8:9], exec, s[30:31]
	s_cbranch_execnz .LBB28_89
; %bb.77:
	s_andn2_saveexec_b64 s[8:9], s[8:9]
	s_cbranch_execnz .LBB28_92
.LBB28_78:
	s_or_b64 exec, exec, s[8:9]
	s_and_saveexec_b64 s[8:9], s[10:11]
	s_xor_b64 s[8:9], exec, s[8:9]
	s_cbranch_execnz .LBB28_93
.LBB28_79:
	s_andn2_saveexec_b64 s[8:9], s[8:9]
	s_cbranch_execnz .LBB28_96
.LBB28_80:
	s_or_b64 exec, exec, s[8:9]
	s_and_saveexec_b64 s[8:9], s[12:13]
	s_xor_b64 s[8:9], exec, s[8:9]
	s_cbranch_execnz .LBB28_97
.LBB28_81:
	s_andn2_saveexec_b64 s[8:9], s[8:9]
	s_cbranch_execnz .LBB28_100
.LBB28_82:
	s_or_b64 exec, exec, s[8:9]
	s_and_saveexec_b64 s[8:9], s[14:15]
	s_xor_b64 s[8:9], exec, s[8:9]
	s_cbranch_execnz .LBB28_101
.LBB28_83:
	s_andn2_saveexec_b64 s[8:9], s[8:9]
	s_cbranch_execz .LBB28_85
.LBB28_84:
	ds_read_b128 v[14:17], v13 offset:1056
	s_waitcnt lgkmcnt(0)
	v_xor_b32_e32 v17, 0x80000000, v17
	ds_write_b128 v5, v[14:17] offset:48
.LBB28_85:
	s_or_b64 exec, exec, s[8:9]
	s_waitcnt lgkmcnt(0)
	s_barrier
	ds_read_b128 v[14:17], v10 offset:512
	ds_read_b128 v[18:21], v18
	ds_read_b128 v[22:25], v10 offset:528
	ds_read_b128 v[26:29], v10 offset:544
	;; [unrolled: 1-line block ×3, first 2 shown]
	ds_read_b128 v[46:49], v13
	v_cmp_eq_u32_e64 s[8:9], 1, v12
	s_waitcnt lgkmcnt(4)
	v_mul_f64 v[8:9], v[16:17], v[20:21]
	v_fma_f64 v[8:9], v[14:15], v[18:19], -v[8:9]
	v_mul_f64 v[14:15], v[14:15], v[20:21]
	v_fmac_f64_e32 v[14:15], v[16:17], v[18:19]
	v_add_f64 v[18:19], v[14:15], 0
	s_waitcnt lgkmcnt(0)
	v_mul_f64 v[14:15], v[24:25], v[48:49]
	v_fma_f64 v[20:21], v[22:23], v[46:47], -v[14:15]
	v_mul_f64 v[22:23], v[22:23], v[48:49]
	v_add_f64 v[8:9], v[8:9], 0
	ds_read_b128 v[14:17], v13 offset:528
	v_fmac_f64_e32 v[22:23], v[24:25], v[46:47]
	v_add_f64 v[8:9], v[8:9], v[20:21]
	v_add_f64 v[22:23], v[18:19], v[22:23]
	ds_read_b128 v[18:21], v13 offset:1056
	s_waitcnt lgkmcnt(1)
	v_mul_f64 v[24:25], v[28:29], v[16:17]
	v_mul_f64 v[16:17], v[26:27], v[16:17]
	v_fma_f64 v[24:25], v[26:27], v[14:15], -v[24:25]
	v_fmac_f64_e32 v[16:17], v[28:29], v[14:15]
	s_waitcnt lgkmcnt(0)
	v_mul_f64 v[14:15], v[32:33], v[20:21]
	v_mul_f64 v[20:21], v[30:31], v[20:21]
	v_add_f64 v[8:9], v[8:9], v[24:25]
	v_add_f64 v[16:17], v[22:23], v[16:17]
	v_fma_f64 v[14:15], v[30:31], v[18:19], -v[14:15]
	v_fmac_f64_e32 v[20:21], v[32:33], v[18:19]
	v_add_f64 v[14:15], v[8:9], v[14:15]
	v_add_f64 v[16:17], v[16:17], v[20:21]
	s_barrier
	ds_write_b128 v45, v[14:17]
	s_waitcnt lgkmcnt(0)
	s_barrier
	s_and_saveexec_b64 s[10:11], s[8:9]
	s_cbranch_execz .LBB28_87
; %bb.86:
	v_lshlrev_b32_e32 v11, 4, v44
	ds_read_b128 v[0:3], v11
	ds_read_b128 v[14:17], v11 offset:16
	ds_read_b128 v[18:21], v11 offset:32
	;; [unrolled: 1-line block ×3, first 2 shown]
	s_waitcnt lgkmcnt(2)
	v_add_f64 v[0:1], v[14:15], v[0:1]
	v_add_f64 v[8:9], v[16:17], v[2:3]
	s_waitcnt lgkmcnt(1)
	v_add_f64 v[14:15], v[0:1], v[18:19]
	ds_read_b128 v[0:3], v11 offset:64
	v_add_f64 v[8:9], v[8:9], v[20:21]
	s_waitcnt lgkmcnt(1)
	v_add_f64 v[18:19], v[14:15], v[22:23]
	ds_read_b128 v[14:17], v11 offset:80
	;; [unrolled: 4-line block ×3, first 2 shown]
	v_add_f64 v[8:9], v[8:9], v[2:3]
	ds_read_b128 v[0:3], v11 offset:112
	s_waitcnt lgkmcnt(2)
	v_add_f64 v[14:15], v[22:23], v[14:15]
	v_add_f64 v[8:9], v[8:9], v[16:17]
	s_waitcnt lgkmcnt(1)
	v_add_f64 v[14:15], v[14:15], v[18:19]
	v_add_f64 v[8:9], v[8:9], v[20:21]
	;; [unrolled: 3-line block ×3, first 2 shown]
.LBB28_87:
	s_or_b64 exec, exec, s[10:11]
	s_lshl_b64 s[10:11], s[20:21], 4
	v_mov_b32_e32 v8, s11
	v_subrev_co_u32_e64 v40, s[10:11], s10, v6
	s_and_b64 vcc, exec, s[16:17]
	s_nop 0
	v_subb_co_u32_e64 v41, s[10:11], v7, v8, s[10:11]
	s_barrier
	s_cbranch_vccnz .LBB28_104
; %bb.88:
	s_lshl_b64 s[10:11], s[40:41], 7
	v_lshl_add_u64 v[6:7], v[40:41], 0, s[10:11]
	v_mov_b32_e32 v8, 0x180
	global_load_dwordx4 v[18:21], v[40:41], off
	global_load_dwordx4 v[22:25], v[6:7], off
	v_lshl_add_u64 v[6:7], v[6:7], 0, s[10:11]
	v_mad_u64_u32 v[8:9], s[10:11], s40, v8, v[40:41]
	s_mul_i32 s10, s41, 0x180
	s_nop 0
	v_add_u32_e32 v9, s10, v9
	global_load_dwordx4 v[26:29], v[6:7], off
	global_load_dwordx4 v[30:33], v[8:9], off
	v_mad_u32_u24 v11, v12, 33, v4
	v_add_u32_e32 v13, 8, v12
	v_add_u32_e32 v14, 16, v12
	;; [unrolled: 1-line block ×3, first 2 shown]
	v_lshlrev_b32_e32 v8, 4, v11
	v_add_u32_e32 v7, 0x108, v11
	v_add_u32_e32 v6, 0x210, v11
	;; [unrolled: 1-line block ×6, first 2 shown]
	s_waitcnt vmcnt(3)
	ds_write2_b64 v8, v[18:19], v[20:21] offset1:1
	s_waitcnt vmcnt(2)
	ds_write2_b64 v9, v[22:23], v[24:25] offset1:1
	s_waitcnt vmcnt(1)
	ds_write2_b64 v17, v[26:27], v[28:29] offset1:1
	s_waitcnt vmcnt(0)
	ds_write2_b64 v34, v[30:31], v[32:33] offset1:1
	s_cbranch_execz .LBB28_105
	s_branch .LBB28_122
.LBB28_89:
	v_cmp_eq_u32_e32 vcc, v14, v4
	s_and_saveexec_b64 s[30:31], vcc
	s_cbranch_execz .LBB28_91
; %bb.90:
	v_mul_u32_u24_e32 v8, 34, v4
	v_lshlrev_b32_e32 v11, 4, v8
	v_mov_b32_e32 v8, 0
	v_mov_b32_e32 v9, v8
	ds_write_b64 v11, v[8:9] offset:8
.LBB28_91:
	s_or_b64 exec, exec, s[30:31]
	s_andn2_saveexec_b64 s[8:9], s[8:9]
	s_cbranch_execz .LBB28_78
.LBB28_92:
	ds_read_b128 v[20:23], v18
	s_waitcnt lgkmcnt(0)
	v_xor_b32_e32 v23, 0x80000000, v23
	ds_write_b128 v5, v[20:23]
	s_or_b64 exec, exec, s[8:9]
	s_and_saveexec_b64 s[8:9], s[10:11]
	s_xor_b64 s[8:9], exec, s[8:9]
	s_cbranch_execz .LBB28_79
.LBB28_93:
	v_cmp_eq_u32_e32 vcc, v15, v4
	s_and_saveexec_b64 s[10:11], vcc
	s_cbranch_execz .LBB28_95
; %bb.94:
	v_mul_u32_u24_e32 v8, 34, v4
	v_lshlrev_b32_e32 v11, 4, v8
	v_mov_b32_e32 v8, 0
	v_mov_b32_e32 v9, v8
	ds_write_b64 v11, v[8:9] offset:8
.LBB28_95:
	s_or_b64 exec, exec, s[10:11]
	s_andn2_saveexec_b64 s[8:9], s[8:9]
	s_cbranch_execz .LBB28_80
.LBB28_96:
	ds_read_b128 v[20:23], v13
	s_waitcnt lgkmcnt(0)
	v_xor_b32_e32 v23, 0x80000000, v23
	ds_write_b128 v5, v[20:23] offset:16
	s_or_b64 exec, exec, s[8:9]
	s_and_saveexec_b64 s[8:9], s[12:13]
	s_xor_b64 s[8:9], exec, s[8:9]
	s_cbranch_execz .LBB28_81
.LBB28_97:
	v_cmp_eq_u32_e32 vcc, v16, v4
	s_and_saveexec_b64 s[10:11], vcc
	s_cbranch_execz .LBB28_99
; %bb.98:
	v_mul_u32_u24_e32 v8, 34, v4
	v_lshlrev_b32_e32 v11, 4, v8
	v_mov_b32_e32 v8, 0
	v_mov_b32_e32 v9, v8
	ds_write_b64 v11, v[8:9] offset:8
.LBB28_99:
	s_or_b64 exec, exec, s[10:11]
	s_andn2_saveexec_b64 s[8:9], s[8:9]
	s_cbranch_execz .LBB28_82
.LBB28_100:
	ds_read_b128 v[20:23], v13 offset:528
	s_waitcnt lgkmcnt(0)
	v_xor_b32_e32 v23, 0x80000000, v23
	ds_write_b128 v5, v[20:23] offset:32
	s_or_b64 exec, exec, s[8:9]
	s_and_saveexec_b64 s[8:9], s[14:15]
	s_xor_b64 s[8:9], exec, s[8:9]
	s_cbranch_execz .LBB28_83
.LBB28_101:
	v_cmp_eq_u32_e32 vcc, v17, v4
	s_and_saveexec_b64 s[10:11], vcc
	s_cbranch_execz .LBB28_103
; %bb.102:
	v_mul_u32_u24_e32 v8, 34, v4
	v_lshlrev_b32_e32 v11, 4, v8
	v_mov_b32_e32 v8, 0
	v_mov_b32_e32 v9, v8
	ds_write_b64 v11, v[8:9] offset:8
.LBB28_103:
	s_or_b64 exec, exec, s[10:11]
	s_andn2_saveexec_b64 s[8:9], s[8:9]
	s_cbranch_execnz .LBB28_84
	s_branch .LBB28_85
.LBB28_104:
                                        ; implicit-def: $vgpr11
                                        ; implicit-def: $vgpr13
                                        ; implicit-def: $vgpr7
                                        ; implicit-def: $vgpr14
                                        ; implicit-def: $vgpr6
                                        ; implicit-def: $vgpr15
                                        ; implicit-def: $vgpr16
.LBB28_105:
	v_lshlrev_b32_e32 v6, 4, v4
	v_sub_co_u32_e32 v8, vcc, v40, v6
	s_ashr_i32 s23, s22, 31
	s_nop 0
	v_subbrev_co_u32_e32 v9, vcc, 0, v41, vcc
	s_movk_i32 s10, 0xfdf0
	v_or_b32_e32 v7, 32, v4
	v_lshl_add_u64 v[8:9], s[22:23], 4, v[8:9]
	s_mov_b32 s11, -1
	v_lshl_add_u64 v[8:9], v[8:9], 0, s[10:11]
	v_cmp_gt_i32_e32 vcc, s22, v7
	v_mad_u32_u24 v11, v12, 33, v4
	v_cmp_le_i32_e64 s[10:11], s22, v12
	v_cndmask_b32_e32 v9, v9, v41, vcc
	v_cndmask_b32_e32 v8, v8, v40, vcc
	v_lshlrev_b32_e32 v7, 4, v11
	s_and_saveexec_b64 s[12:13], s[10:11]
	s_xor_b64 s[10:11], exec, s[12:13]
	s_cbranch_execz .LBB28_107
; %bb.106:
	v_mov_b32_e32 v14, 0
	v_mov_b32_e32 v15, v14
	v_mov_b32_e32 v16, v14
	v_mov_b32_e32 v17, v14
	ds_write_b128 v7, v[14:17]
.LBB28_107:
	s_andn2_saveexec_b64 s[10:11], s[10:11]
	s_cbranch_execz .LBB28_109
; %bb.108:
	global_load_dwordx4 v[14:17], v[8:9], off
	s_waitcnt vmcnt(0)
	ds_write2_b64 v7, v[14:15], v[16:17] offset1:1
.LBB28_109:
	s_or_b64 exec, exec, s[10:11]
	v_add_u32_e32 v13, 8, v12
	v_cmp_le_i32_e64 s[10:11], s22, v13
	s_and_saveexec_b64 s[12:13], s[10:11]
	s_xor_b64 s[10:11], exec, s[12:13]
	s_cbranch_execz .LBB28_111
; %bb.110:
	v_mul_u32_u24_e32 v14, 33, v13
	v_add_lshl_u32 v18, v14, v4, 4
	v_mov_b32_e32 v14, 0
	v_mov_b32_e32 v15, v14
	v_mov_b32_e32 v16, v14
	v_mov_b32_e32 v17, v14
	ds_write_b128 v18, v[14:17]
.LBB28_111:
	s_andn2_saveexec_b64 s[10:11], s[10:11]
	s_cbranch_execz .LBB28_113
; %bb.112:
	s_lshl_b64 s[12:13], s[40:41], 7
	v_lshl_add_u64 v[14:15], v[8:9], 0, s[12:13]
	global_load_dwordx4 v[14:17], v[14:15], off
	v_add_u32_e32 v18, 0x1080, v7
	s_waitcnt vmcnt(0)
	ds_write2_b64 v18, v[14:15], v[16:17] offset1:1
.LBB28_113:
	s_or_b64 exec, exec, s[10:11]
	v_add_u32_e32 v14, 16, v12
	v_cmp_le_i32_e64 s[10:11], s22, v14
	s_and_saveexec_b64 s[12:13], s[10:11]
	s_xor_b64 s[10:11], exec, s[12:13]
	s_cbranch_execz .LBB28_115
; %bb.114:
	v_mul_u32_u24_e32 v15, 33, v14
	v_mov_b32_e32 v16, 0
	v_add_lshl_u32 v4, v15, v4, 4
	v_mov_b32_e32 v17, v16
	v_mov_b32_e32 v18, v16
	;; [unrolled: 1-line block ×3, first 2 shown]
	ds_write_b128 v4, v[16:19]
.LBB28_115:
	s_andn2_saveexec_b64 s[10:11], s[10:11]
	s_cbranch_execz .LBB28_117
; %bb.116:
	s_lshl_b64 s[12:13], s[40:41], 8
	v_lshl_add_u64 v[16:17], v[8:9], 0, s[12:13]
	global_load_dwordx4 v[16:19], v[16:17], off
	v_add_u32_e32 v4, 0x2100, v7
	s_waitcnt vmcnt(0)
	ds_write2_b64 v4, v[16:17], v[18:19] offset1:1
.LBB28_117:
	s_or_b64 exec, exec, s[10:11]
	v_add_u32_e32 v15, 24, v12
	v_cmp_le_i32_e64 s[10:11], s22, v15
                                        ; implicit-def: $vgpr16
	s_and_saveexec_b64 s[12:13], s[10:11]
	s_xor_b64 s[10:11], exec, s[12:13]
	s_cbranch_execz .LBB28_119
; %bb.118:
	v_mov_b32_e32 v18, 0
	v_add_u32_e32 v16, 0x318, v11
	v_mov_b32_e32 v19, v18
	v_mov_b32_e32 v20, v18
	;; [unrolled: 1-line block ×3, first 2 shown]
	ds_write_b128 v7, v[18:21] offset:12672
                                        ; implicit-def: $vgpr7
.LBB28_119:
	s_andn2_saveexec_b64 s[10:11], s[10:11]
	s_cbranch_execz .LBB28_121
; %bb.120:
	v_mov_b32_e32 v4, 0x180
	v_mad_u64_u32 v[16:17], s[12:13], s40, v4, v[8:9]
	s_mul_i32 s12, s41, 0x180
	s_nop 0
	v_add_u32_e32 v17, s12, v17
	global_load_dwordx4 v[18:21], v[16:17], off
	v_add_u32_e32 v16, 0x318, v11
	v_add_u32_e32 v4, 0x3180, v7
	s_waitcnt vmcnt(0)
	ds_write2_b64 v4, v[18:19], v[20:21] offset1:1
.LBB28_121:
	s_or_b64 exec, exec, s[10:11]
	v_mov_b32_e32 v7, 0
	v_lshl_add_u64 v[6:7], v[8:9], 0, v[6:7]
	s_lshl_b64 s[10:11], s[22:23], 4
	v_mov_b32_e32 v4, s11
	v_subrev_co_u32_e64 v6, s[10:11], s10, v6
	s_nop 1
	v_subb_co_u32_e64 v7, s[10:11], v7, v4, s[10:11]
	s_mov_b64 s[10:11], 0x210
	s_nop 0
	v_lshl_add_u64 v[6:7], v[6:7], 0, s[10:11]
	v_cndmask_b32_e32 v41, v7, v41, vcc
	v_cndmask_b32_e32 v40, v6, v40, vcc
	v_add_u32_e32 v7, 0x108, v11
	v_add_u32_e32 v6, 0x210, v11
.LBB28_122:
	v_lshlrev_b32_e32 v4, 4, v11
	v_lshlrev_b32_e32 v8, 4, v12
	s_waitcnt lgkmcnt(0)
	s_barrier
	ds_read_b128 v[46:49], v8 offset:18176
	ds_read_b128 v[50:53], v4
	v_lshlrev_b32_e32 v4, 4, v7
	v_lshlrev_b32_e32 v7, 4, v13
	ds_read_b128 v[54:57], v7 offset:18176
	ds_read_b128 v[58:61], v4
	v_lshlrev_b32_e32 v4, 4, v6
	v_lshlrev_b32_e32 v6, 4, v14
	ds_read_b128 v[62:65], v6 offset:18176
	ds_read_b128 v[66:69], v4
	v_lshlrev_b32_e32 v6, 4, v15
	s_waitcnt lgkmcnt(4)
	v_mul_f64 v[8:9], v[48:49], v[52:53]
	v_lshlrev_b32_e32 v4, 4, v16
	ds_read_b128 v[70:73], v6 offset:18176
	ds_read_b128 v[74:77], v4
	v_fma_f64 v[8:9], v[46:47], v[50:51], -v[8:9]
	s_waitcnt lgkmcnt(4)
	v_mul_f64 v[12:13], v[56:57], v[60:61]
	v_add_f64 v[8:9], v[8:9], 0
	v_fma_f64 v[12:13], v[54:55], v[58:59], -v[12:13]
	v_add_f64 v[6:7], v[8:9], v[12:13]
	s_waitcnt lgkmcnt(2)
	v_mul_f64 v[8:9], v[64:65], v[68:69]
	v_fma_f64 v[8:9], v[62:63], v[66:67], -v[8:9]
	v_add_f64 v[6:7], v[6:7], v[8:9]
	s_waitcnt lgkmcnt(0)
	v_mul_f64 v[8:9], v[72:73], v[76:77]
	v_fma_f64 v[8:9], v[70:71], v[74:75], -v[8:9]
	v_add_f64 v[78:79], v[6:7], v[8:9]
	ds_read_b128 v[28:31], v5
	ds_read_b128 v[20:23], v5 offset:16
	ds_read_b128 v[12:15], v5 offset:32
	ds_read_b128 v[4:7], v5 offset:48
	ds_read_b128 v[32:35], v10 offset:512
	ds_read_b128 v[24:27], v10 offset:528
	ds_read_b128 v[16:19], v10 offset:544
	ds_read_b128 v[8:11], v10 offset:560
	v_mul_f64 v[46:47], v[46:47], v[52:53]
	v_fmac_f64_e32 v[46:47], v[48:49], v[50:51]
	v_mul_f64 v[48:49], v[54:55], v[60:61]
	v_add_f64 v[46:47], v[46:47], 0
	v_fmac_f64_e32 v[48:49], v[56:57], v[58:59]
	v_add_f64 v[46:47], v[46:47], v[48:49]
	v_mul_f64 v[48:49], v[62:63], v[68:69]
	v_fmac_f64_e32 v[48:49], v[64:65], v[66:67]
	v_add_f64 v[46:47], v[46:47], v[48:49]
	v_mul_f64 v[48:49], v[70:71], v[76:77]
	v_fmac_f64_e32 v[48:49], v[72:73], v[74:75]
	v_add_f64 v[80:81], v[46:47], v[48:49]
	s_waitcnt lgkmcnt(0)
	s_barrier
	ds_write_b128 v45, v[78:81]
	s_waitcnt lgkmcnt(0)
	s_barrier
	s_and_saveexec_b64 s[10:11], s[8:9]
	s_cbranch_execz .LBB28_124
; %bb.123:
	v_lshlrev_b32_e32 v62, 4, v44
	ds_read_b128 v[46:49], v62
	ds_read_b128 v[50:53], v62 offset:16
	ds_read_b128 v[54:57], v62 offset:32
	;; [unrolled: 1-line block ×3, first 2 shown]
	s_waitcnt lgkmcnt(3)
	v_add_f64 v[0:1], v[0:1], v[46:47]
	v_add_f64 v[2:3], v[2:3], v[48:49]
	s_waitcnt lgkmcnt(2)
	v_add_f64 v[0:1], v[0:1], v[50:51]
	v_add_f64 v[46:47], v[2:3], v[52:53]
	s_waitcnt lgkmcnt(1)
	v_add_f64 v[48:49], v[0:1], v[54:55]
	ds_read_b128 v[0:3], v62 offset:64
	v_add_f64 v[46:47], v[46:47], v[56:57]
	s_waitcnt lgkmcnt(1)
	v_add_f64 v[50:51], v[48:49], v[58:59]
	v_add_f64 v[54:55], v[46:47], v[60:61]
	ds_read_b128 v[46:49], v62 offset:80
	s_waitcnt lgkmcnt(1)
	v_add_f64 v[56:57], v[50:51], v[0:1]
	ds_read_b128 v[50:53], v62 offset:96
	v_add_f64 v[54:55], v[54:55], v[2:3]
	ds_read_b128 v[0:3], v62 offset:112
	s_waitcnt lgkmcnt(2)
	v_add_f64 v[46:47], v[56:57], v[46:47]
	v_add_f64 v[48:49], v[54:55], v[48:49]
	s_waitcnt lgkmcnt(1)
	v_add_f64 v[46:47], v[46:47], v[50:51]
	v_add_f64 v[48:49], v[48:49], v[52:53]
	;; [unrolled: 3-line block ×3, first 2 shown]
.LBB28_124:
	s_or_b64 exec, exec, s[10:11]
	v_mul_f64 v[46:47], v[30:31], v[34:35]
	v_mul_f64 v[30:31], v[30:31], v[32:33]
	v_fmac_f64_e32 v[46:47], v[28:29], v[32:33]
	v_fma_f64 v[28:29], v[28:29], v[34:35], -v[30:31]
	v_mul_f64 v[32:33], v[22:23], v[26:27]
	v_mul_f64 v[22:23], v[22:23], v[24:25]
	v_add_f64 v[30:31], v[46:47], 0
	v_add_f64 v[28:29], v[28:29], 0
	v_fmac_f64_e32 v[32:33], v[20:21], v[24:25]
	v_fma_f64 v[20:21], v[20:21], v[26:27], -v[22:23]
	v_mul_f64 v[24:25], v[14:15], v[18:19]
	v_mul_f64 v[14:15], v[14:15], v[16:17]
	v_add_f64 v[22:23], v[30:31], v[32:33]
	v_add_f64 v[20:21], v[28:29], v[20:21]
	;; [unrolled: 6-line block ×3, first 2 shown]
	v_fmac_f64_e32 v[16:17], v[4:5], v[8:9]
	v_fma_f64 v[6:7], v[4:5], v[10:11], -v[6:7]
	v_add_f64 v[4:5], v[14:15], v[16:17]
	v_add_f64 v[6:7], v[12:13], v[6:7]
	s_barrier
	ds_write_b128 v45, v[4:7]
	s_waitcnt lgkmcnt(0)
	s_barrier
	s_and_saveexec_b64 s[8:9], s[6:7]
	s_cbranch_execz .LBB28_126
; %bb.125:
	v_lshlrev_b32_e32 v20, 4, v44
	ds_read_b128 v[4:7], v20
	ds_read_b128 v[8:11], v20 offset:16
	ds_read_b128 v[12:15], v20 offset:32
	;; [unrolled: 1-line block ×3, first 2 shown]
	s_waitcnt lgkmcnt(3)
	v_add_f64 v[0:1], v[0:1], v[4:5]
	v_add_f64 v[2:3], v[2:3], v[6:7]
	s_waitcnt lgkmcnt(2)
	v_add_f64 v[0:1], v[0:1], v[8:9]
	v_add_f64 v[4:5], v[2:3], v[10:11]
	s_waitcnt lgkmcnt(1)
	v_add_f64 v[6:7], v[0:1], v[12:13]
	ds_read_b128 v[0:3], v20 offset:64
	v_add_f64 v[4:5], v[4:5], v[14:15]
	s_waitcnt lgkmcnt(1)
	v_add_f64 v[8:9], v[6:7], v[16:17]
	v_add_f64 v[12:13], v[4:5], v[18:19]
	ds_read_b128 v[4:7], v20 offset:80
	s_waitcnt lgkmcnt(1)
	v_add_f64 v[14:15], v[8:9], v[0:1]
	ds_read_b128 v[8:11], v20 offset:96
	v_add_f64 v[12:13], v[12:13], v[2:3]
	ds_read_b128 v[0:3], v20 offset:112
	s_waitcnt lgkmcnt(2)
	v_add_f64 v[4:5], v[14:15], v[4:5]
	v_add_f64 v[6:7], v[12:13], v[6:7]
	s_waitcnt lgkmcnt(1)
	v_add_f64 v[4:5], v[4:5], v[8:9]
	v_add_f64 v[6:7], v[6:7], v[10:11]
	;; [unrolled: 3-line block ×3, first 2 shown]
.LBB28_126:
	s_or_b64 exec, exec, s[8:9]
	s_load_dwordx2 s[0:1], s[0:1], 0x78
	s_mul_hi_u32 s6, s33, s3
	s_mul_i32 s35, s35, s3
	s_add_i32 s6, s6, s35
	s_mul_i32 s3, s33, s3
	s_mul_i32 s6, s6, s34
	s_mul_hi_u32 s7, s3, s34
	s_add_i32 s7, s7, s6
	s_mul_i32 s6, s3, s34
	s_lshl_b64 s[6:7], s[6:7], 4
	s_waitcnt lgkmcnt(0)
	s_add_u32 s3, s0, s6
	s_mul_i32 s0, s2, s33
	s_addc_u32 s7, s1, s7
	s_ashr_i32 s1, s0, 31
	s_lshl_b64 s[0:1], s[0:1], 4
	s_add_u32 s6, s3, s0
	v_cmp_le_i32_e32 vcc, s22, v42
	s_addc_u32 s7, s7, s1
	s_and_b64 vcc, s[28:29], vcc
	s_cmp_lt_i32 s2, 1
	v_lshlrev_b32_e32 v134, 4, v42
	s_barrier
	s_cbranch_scc1 .LBB28_133
; %bb.127:
	s_mul_i32 s0, s24, s49
	s_mul_hi_u32 s1, s24, s48
	s_add_i32 s0, s1, s0
	s_mul_i32 s1, s25, s48
	s_add_i32 s1, s0, s1
	s_mul_i32 s0, s24, s48
	s_lshl_b64 s[0:1], s[0:1], 4
	v_mov_b32_e32 v4, s1
	v_subrev_co_u32_e64 v136, s[0:1], s0, v36
	v_lshlrev_b32_e32 v9, 2, v142
	s_nop 0
	v_subb_co_u32_e64 v137, s[0:1], v37, v4, s[0:1]
	v_mov_b32_e32 v4, s27
	v_subrev_co_u32_e64 v6, s[0:1], s26, v40
	s_ashr_i32 s23, s22, 31
	s_nop 0
	v_subb_co_u32_e64 v7, s[0:1], v41, v4, s[0:1]
	v_lshlrev_b64 v[4:5], 4, v[38:39]
	v_sub_co_u32_e64 v4, s[0:1], v6, v4
	v_mov_b32_e32 v139, 0
	s_nop 0
	v_subb_co_u32_e64 v5, s[0:1], v7, v5, s[0:1]
	v_mad_u64_u32 v[6:7], s[0:1], v9, s40, 0
	v_mov_b32_e32 v8, v7
	v_mad_u64_u32 v[8:9], s[0:1], v9, s41, v[8:9]
	v_mov_b32_e32 v7, v8
	v_lshl_add_u64 v[4:5], v[6:7], 4, v[4:5]
	s_movk_i32 s0, 0xfdf0
	v_lshl_add_u64 v[6:7], s[22:23], 4, v[4:5]
	s_mov_b32 s1, -1
	v_lshl_add_u64 v[6:7], v[6:7], 0, s[0:1]
	v_mov_b32_e32 v135, v139
	s_movk_i32 s0, 0xfe00
	v_lshl_add_u64 v[4:5], v[4:5], 0, v[134:135]
	s_mov_b32 s1, -1
	v_lshl_add_u64 v[4:5], v[4:5], 0, s[0:1]
	v_cndmask_b32_e32 v8, v4, v6, vcc
	v_and_b32_e32 v4, 48, v42
	v_and_b32_e32 v10, 15, v42
	v_cndmask_b32_e32 v9, v5, v7, vcc
	v_lshlrev_b32_e32 v5, 4, v4
	s_movk_i32 s3, 0x430
	v_mad_u32_u24 v144, v10, s3, v5
	v_or_b32_e32 v5, 0xf0, v134
	v_mad_u32_u24 v145, v10, s3, v5
	v_lshlrev_b32_e32 v5, 2, v43
	v_and_b32_e32 v5, 0x7ffc0, v5
	v_mad_u32_u24 v146, v10, s3, v5
	v_mov_b32_e32 v5, 0x4300
	v_lshl_add_u32 v147, v142, 6, v5
	v_and_b32_e32 v5, 0x1fff0, v43
	s_movk_i32 s8, 0x10c0
	v_mad_u32_u24 v149, v10, s3, v5
	s_mul_i32 s3, s41, 0xd0
	s_mul_hi_u32 s10, s40, 0xd0
	v_add_u32_e32 v135, 0x4300, v134
	v_add_u32_e32 v143, 0x4700, v134
	v_cmp_gt_u32_e64 s[0:1], 64, v43
	v_mad_u32_u24 v148, v142, s8, v134
	s_lshl_b64 s[8:9], s[40:41], 4
	s_add_i32 s11, s10, s3
	s_mul_i32 s10, s40, 0xd0
	v_or_b32_e32 v150, v4, v10
	s_mov_b32 s3, 0
	s_branch .LBB28_129
.LBB28_128:                             ;   in Loop: Header=BB28_129 Depth=1
	s_or_b64 exec, exec, s[12:13]
	v_mul_f64 v[152:153], v[6:7], v[22:23]
	v_fma_f64 v[152:153], v[4:5], v[20:21], -v[152:153]
	v_mul_f64 v[4:5], v[4:5], v[22:23]
	v_mul_f64 v[22:23], v[10:11], v[42:43]
	v_add_f64 v[0:1], v[0:1], v[152:153]
	v_fma_f64 v[22:23], v[8:9], v[40:41], -v[22:23]
	v_add_f64 v[0:1], v[0:1], v[22:23]
	v_mul_f64 v[22:23], v[14:15], v[46:47]
	v_fma_f64 v[22:23], v[12:13], v[44:45], -v[22:23]
	v_add_f64 v[0:1], v[0:1], v[22:23]
	v_mul_f64 v[22:23], v[18:19], v[50:51]
	v_fmac_f64_e32 v[4:5], v[6:7], v[20:21]
	v_fma_f64 v[22:23], v[16:17], v[48:49], -v[22:23]
	v_add_f64 v[2:3], v[2:3], v[4:5]
	v_mul_f64 v[4:5], v[26:27], v[70:71]
	v_add_f64 v[0:1], v[0:1], v[22:23]
	v_fma_f64 v[4:5], v[24:25], v[68:69], -v[4:5]
	v_add_f64 v[0:1], v[0:1], v[4:5]
	v_mul_f64 v[4:5], v[30:31], v[82:83]
	v_fma_f64 v[4:5], v[28:29], v[80:81], -v[4:5]
	v_add_f64 v[0:1], v[0:1], v[4:5]
	v_mul_f64 v[4:5], v[38:39], v[78:79]
	;; [unrolled: 3-line block ×3, first 2 shown]
	v_fma_f64 v[4:5], v[32:33], v[72:73], -v[4:5]
	v_mul_f64 v[8:9], v[8:9], v[42:43]
	v_add_f64 v[0:1], v[0:1], v[4:5]
	v_mul_f64 v[4:5], v[66:67], v[102:103]
	v_mul_f64 v[12:13], v[12:13], v[46:47]
	v_fmac_f64_e32 v[8:9], v[10:11], v[40:41]
	v_fma_f64 v[4:5], v[64:65], v[100:101], -v[4:5]
	v_mul_f64 v[16:17], v[16:17], v[50:51]
	v_add_f64 v[2:3], v[2:3], v[8:9]
	v_fmac_f64_e32 v[12:13], v[14:15], v[44:45]
	v_add_f64 v[0:1], v[0:1], v[4:5]
	v_mul_f64 v[4:5], v[62:63], v[118:119]
	v_add_f64 v[2:3], v[2:3], v[12:13]
	v_fmac_f64_e32 v[16:17], v[18:19], v[48:49]
	v_mul_f64 v[6:7], v[24:25], v[70:71]
	v_fma_f64 v[4:5], v[60:61], v[116:117], -v[4:5]
	v_add_f64 v[2:3], v[2:3], v[16:17]
	v_mul_f64 v[8:9], v[28:29], v[82:83]
	v_fmac_f64_e32 v[6:7], v[26:27], v[68:69]
	v_add_f64 v[0:1], v[0:1], v[4:5]
	v_mul_f64 v[4:5], v[58:59], v[114:115]
	v_mul_f64 v[10:11], v[36:37], v[78:79]
	v_add_f64 v[2:3], v[2:3], v[6:7]
	v_fmac_f64_e32 v[8:9], v[30:31], v[80:81]
	v_fma_f64 v[4:5], v[56:57], v[112:113], -v[4:5]
	v_mul_f64 v[12:13], v[32:33], v[74:75]
	v_add_f64 v[2:3], v[2:3], v[8:9]
	v_fmac_f64_e32 v[10:11], v[38:39], v[76:77]
	v_add_f64 v[0:1], v[0:1], v[4:5]
	v_mul_f64 v[4:5], v[54:55], v[110:111]
	v_add_f64 v[2:3], v[2:3], v[10:11]
	v_fmac_f64_e32 v[12:13], v[34:35], v[72:73]
	v_mul_f64 v[6:7], v[64:65], v[102:103]
	v_fma_f64 v[4:5], v[52:53], v[108:109], -v[4:5]
	v_add_f64 v[2:3], v[2:3], v[12:13]
	v_mul_f64 v[8:9], v[60:61], v[118:119]
	v_add_f64 v[0:1], v[0:1], v[4:5]
	v_fmac_f64_e32 v[6:7], v[66:67], v[100:101]
	v_mul_f64 v[4:5], v[86:87], v[106:107]
	v_mul_f64 v[10:11], v[56:57], v[114:115]
	v_add_f64 v[2:3], v[2:3], v[6:7]
	v_fmac_f64_e32 v[8:9], v[62:63], v[116:117]
	v_fma_f64 v[4:5], v[84:85], v[104:105], -v[4:5]
	v_mul_f64 v[12:13], v[52:53], v[110:111]
	v_add_f64 v[2:3], v[2:3], v[8:9]
	v_fmac_f64_e32 v[10:11], v[58:59], v[112:113]
	v_add_f64 v[0:1], v[0:1], v[4:5]
	v_mul_f64 v[4:5], v[90:91], v[122:123]
	v_add_f64 v[2:3], v[2:3], v[10:11]
	v_fmac_f64_e32 v[12:13], v[54:55], v[108:109]
	v_mul_f64 v[6:7], v[84:85], v[106:107]
	v_fma_f64 v[4:5], v[88:89], v[120:121], -v[4:5]
	v_add_f64 v[2:3], v[2:3], v[12:13]
	v_mul_f64 v[8:9], v[88:89], v[122:123]
	v_add_f64 v[0:1], v[0:1], v[4:5]
	v_mul_f64 v[4:5], v[94:95], v[126:127]
	v_fmac_f64_e32 v[6:7], v[86:87], v[104:105]
	v_fma_f64 v[4:5], v[92:93], v[124:125], -v[4:5]
	v_mul_f64 v[10:11], v[92:93], v[126:127]
	v_fmac_f64_e32 v[8:9], v[90:91], v[120:121]
	v_add_f64 v[2:3], v[2:3], v[6:7]
	v_add_f64 v[0:1], v[0:1], v[4:5]
	v_mul_f64 v[4:5], v[98:99], v[130:131]
	v_mul_f64 v[12:13], v[96:97], v[130:131]
	v_fmac_f64_e32 v[10:11], v[94:95], v[124:125]
	v_add_f64 v[2:3], v[2:3], v[8:9]
	v_fma_f64 v[4:5], v[96:97], v[128:129], -v[4:5]
	v_fmac_f64_e32 v[12:13], v[98:99], v[128:129]
	v_add_f64 v[2:3], v[2:3], v[10:11]
	s_add_i32 s3, s3, 64
	s_add_i32 s2, s2, -1
	v_add_f64 v[0:1], v[0:1], v[4:5]
	v_add_f64 v[2:3], v[2:3], v[12:13]
	s_cmp_eq_u32 s2, 0
	v_lshl_add_u64 v[8:9], v[140:141], 0, s[10:11]
	s_barrier
	s_cbranch_scc1 .LBB28_133
.LBB28_129:                             ; =>This Inner Loop Header: Depth=1
	s_and_saveexec_b64 s[12:13], s[18:19]
	s_cbranch_execz .LBB28_131
; %bb.130:                              ;   in Loop: Header=BB28_129 Depth=1
	s_mul_i32 s14, s3, s49
	s_mul_hi_u32 s15, s3, s48
	s_add_i32 s15, s15, s14
	s_mul_i32 s14, s3, s48
	v_lshl_add_u64 v[4:5], s[14:15], 4, v[136:137]
	global_load_dwordx4 v[4:7], v[4:5], off
	s_waitcnt vmcnt(0)
	ds_write2_b64 v135, v[4:5], v[6:7] offset1:1
.LBB28_131:                             ;   in Loop: Header=BB28_129 Depth=1
	s_or_b64 exec, exec, s[12:13]
	s_waitcnt lgkmcnt(0)
	s_barrier
	global_load_dwordx4 v[4:7], v[8:9], off
	v_lshl_add_u64 v[12:13], v[8:9], 0, s[8:9]
	global_load_dwordx4 v[8:11], v[12:13], off
	v_lshl_add_u64 v[16:17], v[12:13], 0, s[8:9]
	;; [unrolled: 2-line block ×3, first 2 shown]
	global_load_dwordx4 v[16:19], v[28:29], off
	ds_read_b128 v[24:27], v143
	ds_read_b128 v[20:23], v147
	v_lshl_add_u64 v[36:37], v[28:29], 0, s[10:11]
	s_waitcnt vmcnt(3) lgkmcnt(1)
	v_mul_f64 v[28:29], v[6:7], v[26:27]
	v_mul_f64 v[30:31], v[6:7], v[24:25]
	v_fmac_f64_e32 v[28:29], v[4:5], v[24:25]
	v_fma_f64 v[30:31], v[4:5], v[26:27], -v[30:31]
	s_waitcnt vmcnt(2)
	v_mul_f64 v[32:33], v[10:11], v[26:27]
	v_mul_f64 v[34:35], v[10:11], v[24:25]
	ds_write_b128 v148, v[28:31]
	v_fmac_f64_e32 v[32:33], v[8:9], v[24:25]
	v_fma_f64 v[34:35], v[8:9], v[26:27], -v[34:35]
	s_waitcnt vmcnt(1)
	v_mul_f64 v[28:29], v[14:15], v[26:27]
	v_mul_f64 v[30:31], v[14:15], v[24:25]
	ds_read_b128 v[40:43], v147 offset:16
	ds_write_b128 v148, v[32:35] offset:1072
	v_fmac_f64_e32 v[28:29], v[12:13], v[24:25]
	v_fma_f64 v[30:31], v[12:13], v[26:27], -v[30:31]
	s_waitcnt vmcnt(0)
	v_mul_f64 v[32:33], v[18:19], v[26:27]
	v_mul_f64 v[34:35], v[18:19], v[24:25]
	ds_read_b128 v[44:47], v147 offset:32
	ds_write_b128 v148, v[28:31] offset:2144
	v_fmac_f64_e32 v[32:33], v[16:17], v[24:25]
	v_fma_f64 v[34:35], v[16:17], v[26:27], -v[34:35]
	ds_read_b128 v[48:51], v147 offset:48
	ds_write_b128 v148, v[32:35] offset:3216
	s_waitcnt lgkmcnt(0)
	s_barrier
	ds_read_b128 v[128:131], v146
	ds_read_b128 v[124:127], v146 offset:16
	ds_read_b128 v[120:123], v146 offset:32
	;; [unrolled: 1-line block ×3, first 2 shown]
	s_waitcnt lgkmcnt(0)
	s_barrier
	global_load_dwordx4 v[24:27], v[36:37], off
	v_lshl_add_u64 v[32:33], v[36:37], 0, s[8:9]
	global_load_dwordx4 v[28:31], v[32:33], off
	v_lshl_add_u64 v[32:33], v[32:33], 0, s[8:9]
	;; [unrolled: 2-line block ×3, first 2 shown]
	global_load_dwordx4 v[32:35], v[56:57], off
	ds_read_b128 v[52:55], v143
	ds_read_b128 v[68:71], v147 offset:256
	v_lshl_add_u64 v[88:89], v[56:57], 0, s[10:11]
	v_add_f64 v[128:129], v[128:129], 0
	v_add_f64 v[130:131], v[130:131], 0
	;; [unrolled: 1-line block ×8, first 2 shown]
	s_waitcnt vmcnt(3) lgkmcnt(1)
	v_mul_f64 v[56:57], v[26:27], v[54:55]
	v_mul_f64 v[58:59], v[26:27], v[52:53]
	s_waitcnt vmcnt(2)
	v_mul_f64 v[60:61], v[30:31], v[54:55]
	v_mul_f64 v[62:63], v[30:31], v[52:53]
	v_fmac_f64_e32 v[56:57], v[24:25], v[52:53]
	v_fma_f64 v[58:59], v[24:25], v[54:55], -v[58:59]
	s_waitcnt vmcnt(1)
	v_mul_f64 v[64:65], v[38:39], v[54:55]
	v_mul_f64 v[66:67], v[38:39], v[52:53]
	v_fmac_f64_e32 v[60:61], v[28:29], v[52:53]
	v_fma_f64 v[62:63], v[28:29], v[54:55], -v[62:63]
	ds_write_b128 v148, v[56:59]
	s_waitcnt vmcnt(0)
	v_mul_f64 v[84:85], v[34:35], v[54:55]
	v_mul_f64 v[72:73], v[34:35], v[52:53]
	v_fmac_f64_e32 v[64:65], v[36:37], v[52:53]
	v_fma_f64 v[66:67], v[36:37], v[54:55], -v[66:67]
	ds_read_b128 v[80:83], v147 offset:272
	ds_write_b128 v148, v[60:63] offset:1072
	v_fmac_f64_e32 v[84:85], v[32:33], v[52:53]
	v_fma_f64 v[86:87], v[32:33], v[54:55], -v[72:73]
	ds_read_b128 v[76:79], v147 offset:288
	ds_write_b128 v148, v[64:67] offset:2144
	ds_read_b128 v[72:75], v147 offset:304
	ds_write_b128 v148, v[84:87] offset:3216
	s_waitcnt lgkmcnt(0)
	s_barrier
	ds_read_b128 v[152:155], v146
	ds_read_b128 v[156:159], v146 offset:16
	ds_read_b128 v[160:163], v146 offset:32
	;; [unrolled: 1-line block ×3, first 2 shown]
	s_waitcnt lgkmcnt(0)
	s_barrier
	global_load_dwordx4 v[64:67], v[88:89], off
	v_lshl_add_u64 v[52:53], v[88:89], 0, s[8:9]
	global_load_dwordx4 v[60:63], v[52:53], off
	v_lshl_add_u64 v[52:53], v[52:53], 0, s[8:9]
	;; [unrolled: 2-line block ×3, first 2 shown]
	global_load_dwordx4 v[52:55], v[88:89], off
	ds_read_b128 v[84:87], v143
	ds_read_b128 v[100:103], v147 offset:512
	v_lshl_add_u64 v[140:141], v[88:89], 0, s[10:11]
	v_add_f64 v[104:105], v[152:153], 0
	v_add_f64 v[106:107], v[154:155], 0
	;; [unrolled: 1-line block ×8, first 2 shown]
	s_waitcnt vmcnt(3) lgkmcnt(1)
	v_mul_f64 v[88:89], v[66:67], v[86:87]
	v_mul_f64 v[90:91], v[66:67], v[84:85]
	s_waitcnt vmcnt(2)
	v_mul_f64 v[92:93], v[62:63], v[86:87]
	v_mul_f64 v[94:95], v[62:63], v[84:85]
	v_fmac_f64_e32 v[88:89], v[64:65], v[84:85]
	v_fma_f64 v[90:91], v[64:65], v[86:87], -v[90:91]
	s_waitcnt vmcnt(1)
	v_mul_f64 v[96:97], v[58:59], v[86:87]
	v_mul_f64 v[98:99], v[58:59], v[84:85]
	v_fmac_f64_e32 v[92:93], v[60:61], v[84:85]
	v_fma_f64 v[94:95], v[60:61], v[86:87], -v[94:95]
	ds_write_b128 v148, v[88:91]
	s_waitcnt vmcnt(0)
	v_mul_f64 v[168:169], v[54:55], v[86:87]
	v_mul_f64 v[108:109], v[54:55], v[84:85]
	v_fmac_f64_e32 v[96:97], v[56:57], v[84:85]
	v_fma_f64 v[98:99], v[56:57], v[86:87], -v[98:99]
	ds_read_b128 v[116:119], v147 offset:528
	ds_write_b128 v148, v[92:95] offset:1072
	v_fmac_f64_e32 v[168:169], v[52:53], v[84:85]
	v_fma_f64 v[170:171], v[52:53], v[86:87], -v[108:109]
	ds_read_b128 v[112:115], v147 offset:544
	ds_write_b128 v148, v[96:99] offset:2144
	v_lshl_add_u64 v[92:93], v[140:141], 0, s[8:9]
	ds_read_b128 v[108:111], v147 offset:560
	ds_write_b128 v148, v[168:171] offset:3216
	s_waitcnt lgkmcnt(0)
	s_barrier
	ds_read_b128 v[168:171], v146
	ds_read_b128 v[172:175], v146 offset:16
	ds_read_b128 v[176:179], v146 offset:32
	;; [unrolled: 1-line block ×3, first 2 shown]
	s_waitcnt lgkmcnt(0)
	s_barrier
	global_load_dwordx4 v[84:87], v[140:141], off
	v_lshl_add_u64 v[96:97], v[92:93], 0, s[8:9]
	global_load_dwordx4 v[88:91], v[92:93], off
	v_lshl_add_u64 v[140:141], v[96:97], 0, s[8:9]
	global_load_dwordx4 v[92:95], v[96:97], off
	v_add_f64 v[124:125], v[168:169], 0
	global_load_dwordx4 v[96:99], v[140:141], off
	ds_read_b128 v[120:123], v143
	ds_read_b128 v[104:107], v147 offset:768
	v_add_f64 v[126:127], v[170:171], 0
	v_add_f64 v[124:125], v[124:125], v[172:173]
	;; [unrolled: 1-line block ×7, first 2 shown]
	s_waitcnt vmcnt(3) lgkmcnt(1)
	v_mul_f64 v[124:125], v[86:87], v[122:123]
	v_mul_f64 v[126:127], v[86:87], v[120:121]
	s_waitcnt vmcnt(2)
	v_mul_f64 v[128:129], v[90:91], v[122:123]
	v_mul_f64 v[130:131], v[90:91], v[120:121]
	v_fma_f64 v[126:127], v[84:85], v[122:123], -v[126:127]
	v_fmac_f64_e32 v[124:125], v[84:85], v[120:121]
	s_waitcnt vmcnt(1)
	v_mul_f64 v[160:161], v[94:95], v[122:123]
	v_mul_f64 v[162:163], v[94:95], v[120:121]
	s_waitcnt vmcnt(0)
	v_mul_f64 v[164:165], v[98:99], v[122:123]
	v_mul_f64 v[166:167], v[98:99], v[120:121]
	v_fma_f64 v[130:131], v[88:89], v[122:123], -v[130:131]
	v_fmac_f64_e32 v[128:129], v[88:89], v[120:121]
	ds_write_b128 v148, v[124:127]
	v_fma_f64 v[162:163], v[92:93], v[122:123], -v[162:163]
	v_fmac_f64_e32 v[160:161], v[92:93], v[120:121]
	v_fmac_f64_e32 v[164:165], v[96:97], v[120:121]
	v_fma_f64 v[166:167], v[96:97], v[122:123], -v[166:167]
	ds_read_b128 v[120:123], v147 offset:784
	ds_write_b128 v148, v[128:131] offset:1072
	ds_read_b128 v[124:127], v147 offset:800
	ds_write_b128 v148, v[160:163] offset:2144
	;; [unrolled: 2-line block ×3, first 2 shown]
	s_waitcnt lgkmcnt(0)
	s_barrier
	ds_read_b128 v[160:163], v146
	ds_read_b128 v[164:167], v146 offset:16
	ds_read_b128 v[168:171], v146 offset:32
	;; [unrolled: 1-line block ×3, first 2 shown]
	s_waitcnt lgkmcnt(0)
	s_barrier
	ds_write_b128 v149, v[184:187]
	ds_write_b128 v149, v[152:155] offset:256
	ds_write_b128 v149, v[156:159] offset:512
	v_add_f64 v[152:153], v[160:161], 0
	v_add_f64 v[154:155], v[162:163], 0
	;; [unrolled: 1-line block ×8, first 2 shown]
	ds_write_b128 v149, v[152:155] offset:768
	s_waitcnt lgkmcnt(0)
	s_barrier
	s_and_saveexec_b64 s[12:13], s[0:1]
	s_cbranch_execz .LBB28_128
; %bb.132:                              ;   in Loop: Header=BB28_129 Depth=1
	ds_read_b128 v[152:155], v144
	ds_read_b128 v[156:159], v144 offset:16
	ds_read_b128 v[160:163], v144 offset:32
	;; [unrolled: 1-line block ×3, first 2 shown]
	v_add_u32_e32 v138, s3, v150
	s_waitcnt lgkmcnt(2)
	v_add_f64 v[152:153], v[156:157], v[152:153]
	v_add_f64 v[156:157], v[158:159], v[154:155]
	s_waitcnt lgkmcnt(1)
	v_add_f64 v[158:159], v[152:153], v[160:161]
	ds_read_b128 v[152:155], v144 offset:64
	v_add_f64 v[160:161], v[156:157], v[162:163]
	s_waitcnt lgkmcnt(1)
	v_add_f64 v[162:163], v[158:159], v[164:165]
	ds_read_b128 v[156:159], v144 offset:80
	;; [unrolled: 4-line block ×9, first 2 shown]
	v_add_f64 v[154:155], v[164:165], v[154:155]
	s_waitcnt lgkmcnt(1)
	v_add_f64 v[156:157], v[152:153], v[156:157]
	v_add_f64 v[164:165], v[154:155], v[158:159]
	ds_read_b128 v[152:155], v144 offset:208
	s_waitcnt lgkmcnt(1)
	v_add_f64 v[166:167], v[156:157], v[160:161]
	ds_read_b128 v[156:159], v144 offset:224
	v_add_f64 v[164:165], v[164:165], v[162:163]
	ds_read_b128 v[160:163], v145
	s_waitcnt lgkmcnt(2)
	v_add_f64 v[152:153], v[166:167], v[152:153]
	v_add_f64 v[154:155], v[164:165], v[154:155]
	s_waitcnt lgkmcnt(1)
	v_add_f64 v[152:153], v[152:153], v[156:157]
	v_add_f64 v[154:155], v[154:155], v[158:159]
	;; [unrolled: 3-line block ×3, first 2 shown]
	v_lshl_add_u64 v[156:157], v[138:139], 4, s[6:7]
	global_store_dwordx4 v[156:157], v[152:155], off
	s_branch .LBB28_128
.LBB28_133:
	s_movk_i32 s0, 0x430
	v_mad_u32_u24 v4, v142, s0, v134
	s_or_b64 s[0:1], s[4:5], vcc
	s_xor_b64 s[0:1], s[0:1], -1
	ds_write_b128 v4, v[0:3]
	s_waitcnt lgkmcnt(0)
	s_barrier
	s_and_saveexec_b64 s[2:3], s[0:1]
	s_cbranch_execz .LBB28_135
; %bb.134:
	ds_read_b128 v[0:3], v134 offset:1072
	ds_read_b128 v[4:7], v134
	ds_read_b128 v[8:11], v134 offset:2144
	ds_read_b128 v[12:15], v134 offset:3216
	s_waitcnt lgkmcnt(2)
	v_add_f64 v[0:1], v[0:1], v[4:5]
	v_add_f64 v[2:3], v[2:3], v[6:7]
	s_waitcnt lgkmcnt(1)
	v_add_f64 v[0:1], v[0:1], v[8:9]
	v_add_f64 v[2:3], v[2:3], v[10:11]
	;; [unrolled: 3-line block ×3, first 2 shown]
	v_lshl_add_u64 v[4:5], v[132:133], 4, s[6:7]
	global_store_dwordx4 v[4:5], v[0:3], off
.LBB28_135:
	s_endpgm
	.section	.rodata,"a",@progbits
	.p2align	6, 0x0
	.amdhsa_kernel _ZL26rocblas_hemvn_kernel_lowerILb1ELi64ELi4ELi33ELi32ELi16El19rocblas_complex_numIdEPKS1_PS1_EviT6_lT7_lT5_lS6_lS7_lS5_lT8_i
		.amdhsa_group_segment_fixed_size 19200
		.amdhsa_private_segment_fixed_size 0
		.amdhsa_kernarg_size 392
		.amdhsa_user_sgpr_count 2
		.amdhsa_user_sgpr_dispatch_ptr 0
		.amdhsa_user_sgpr_queue_ptr 0
		.amdhsa_user_sgpr_kernarg_segment_ptr 1
		.amdhsa_user_sgpr_dispatch_id 0
		.amdhsa_user_sgpr_kernarg_preload_length 0
		.amdhsa_user_sgpr_kernarg_preload_offset 0
		.amdhsa_user_sgpr_private_segment_size 0
		.amdhsa_uses_dynamic_stack 0
		.amdhsa_enable_private_segment 0
		.amdhsa_system_sgpr_workgroup_id_x 1
		.amdhsa_system_sgpr_workgroup_id_y 0
		.amdhsa_system_sgpr_workgroup_id_z 1
		.amdhsa_system_sgpr_workgroup_info 0
		.amdhsa_system_vgpr_workitem_id 1
		.amdhsa_next_free_vgpr 188
		.amdhsa_next_free_sgpr 52
		.amdhsa_accum_offset 188
		.amdhsa_reserve_vcc 1
		.amdhsa_float_round_mode_32 0
		.amdhsa_float_round_mode_16_64 0
		.amdhsa_float_denorm_mode_32 3
		.amdhsa_float_denorm_mode_16_64 3
		.amdhsa_dx10_clamp 1
		.amdhsa_ieee_mode 1
		.amdhsa_fp16_overflow 0
		.amdhsa_tg_split 0
		.amdhsa_exception_fp_ieee_invalid_op 0
		.amdhsa_exception_fp_denorm_src 0
		.amdhsa_exception_fp_ieee_div_zero 0
		.amdhsa_exception_fp_ieee_overflow 0
		.amdhsa_exception_fp_ieee_underflow 0
		.amdhsa_exception_fp_ieee_inexact 0
		.amdhsa_exception_int_div_zero 0
	.end_amdhsa_kernel
	.section	.text._ZL26rocblas_hemvn_kernel_lowerILb1ELi64ELi4ELi33ELi32ELi16El19rocblas_complex_numIdEPKS1_PS1_EviT6_lT7_lT5_lS6_lS7_lS5_lT8_i,"axG",@progbits,_ZL26rocblas_hemvn_kernel_lowerILb1ELi64ELi4ELi33ELi32ELi16El19rocblas_complex_numIdEPKS1_PS1_EviT6_lT7_lT5_lS6_lS7_lS5_lT8_i,comdat
.Lfunc_end28:
	.size	_ZL26rocblas_hemvn_kernel_lowerILb1ELi64ELi4ELi33ELi32ELi16El19rocblas_complex_numIdEPKS1_PS1_EviT6_lT7_lT5_lS6_lS7_lS5_lT8_i, .Lfunc_end28-_ZL26rocblas_hemvn_kernel_lowerILb1ELi64ELi4ELi33ELi32ELi16El19rocblas_complex_numIdEPKS1_PS1_EviT6_lT7_lT5_lS6_lS7_lS5_lT8_i
                                        ; -- End function
	.section	.AMDGPU.csdata,"",@progbits
; Kernel info:
; codeLenInByte = 9448
; NumSgprs: 58
; NumVgprs: 188
; NumAgprs: 0
; TotalNumVgprs: 188
; ScratchSize: 0
; MemoryBound: 0
; FloatMode: 240
; IeeeMode: 1
; LDSByteSize: 19200 bytes/workgroup (compile time only)
; SGPRBlocks: 7
; VGPRBlocks: 23
; NumSGPRsForWavesPerEU: 58
; NumVGPRsForWavesPerEU: 188
; AccumOffset: 188
; Occupancy: 2
; WaveLimiterHint : 0
; COMPUTE_PGM_RSRC2:SCRATCH_EN: 0
; COMPUTE_PGM_RSRC2:USER_SGPR: 2
; COMPUTE_PGM_RSRC2:TRAP_HANDLER: 0
; COMPUTE_PGM_RSRC2:TGID_X_EN: 1
; COMPUTE_PGM_RSRC2:TGID_Y_EN: 0
; COMPUTE_PGM_RSRC2:TGID_Z_EN: 1
; COMPUTE_PGM_RSRC2:TIDIG_COMP_CNT: 1
; COMPUTE_PGM_RSRC3_GFX90A:ACCUM_OFFSET: 46
; COMPUTE_PGM_RSRC3_GFX90A:TG_SPLIT: 0
	.section	.text._ZL36rocblas_hemvn_kernel_lower_block_sumILi64El19rocblas_complex_numIdEPS1_S1_EviT1_lS3_lT2_lT0_lPT3_i,"axG",@progbits,_ZL36rocblas_hemvn_kernel_lower_block_sumILi64El19rocblas_complex_numIdEPS1_S1_EviT1_lS3_lT2_lT0_lPT3_i,comdat
	.globl	_ZL36rocblas_hemvn_kernel_lower_block_sumILi64El19rocblas_complex_numIdEPS1_S1_EviT1_lS3_lT2_lT0_lPT3_i ; -- Begin function _ZL36rocblas_hemvn_kernel_lower_block_sumILi64El19rocblas_complex_numIdEPS1_S1_EviT1_lS3_lT2_lT0_lPT3_i
	.p2align	8
	.type	_ZL36rocblas_hemvn_kernel_lower_block_sumILi64El19rocblas_complex_numIdEPS1_S1_EviT1_lS3_lT2_lT0_lPT3_i,@function
_ZL36rocblas_hemvn_kernel_lower_block_sumILi64El19rocblas_complex_numIdEPS1_S1_EviT1_lS3_lT2_lT0_lPT3_i: ; @_ZL36rocblas_hemvn_kernel_lower_block_sumILi64El19rocblas_complex_numIdEPS1_S1_EviT1_lS3_lT2_lT0_lPT3_i
; %bb.0:
	s_load_dwordx4 s[12:15], s[0:1], 0x8
	s_load_dwordx4 s[8:11], s[0:1], 0x20
	s_waitcnt lgkmcnt(0)
	v_cmp_neq_f64_e64 s[4:5], s[12:13], 0
	v_cmp_neq_f64_e64 s[6:7], s[14:15], 0
	s_or_b64 s[16:17], s[4:5], s[6:7]
	s_mov_b64 s[4:5], -1
	s_and_b64 vcc, exec, s[16:17]
	s_cbranch_vccnz .LBB29_2
; %bb.1:
	v_cmp_neq_f64_e64 s[4:5], s[8:9], 1.0
	v_cmp_neq_f64_e64 s[6:7], s[10:11], 0
	s_or_b64 s[4:5], s[4:5], s[6:7]
.LBB29_2:
	s_andn2_b64 vcc, exec, s[4:5]
	s_cbranch_vccnz .LBB29_22
; %bb.3:
	s_load_dwordx2 s[18:19], s[0:1], 0x50
	s_load_dwordx2 s[22:23], s[0:1], 0x38
	s_load_dword s20, s[0:1], 0x0
	s_load_dwordx4 s[4:7], s[0:1], 0x40
	s_xor_b64 s[24:25], s[16:17], -1
	s_waitcnt lgkmcnt(0)
	s_mul_i32 s19, s3, s19
	s_mul_hi_u32 s21, s3, s18
	s_add_i32 s19, s21, s19
	s_mul_i32 s18, s3, s18
	s_lshl_b64 s[18:19], s[18:19], 4
	s_add_u32 s16, s22, s18
	s_addc_u32 s17, s23, s19
	s_lshl_b64 s[4:5], s[4:5], 4
	s_add_u32 s16, s16, s4
	v_lshl_or_b32 v6, s2, 6, v0
	s_addc_u32 s17, s17, s5
	s_andn2_b64 vcc, exec, s[24:25]
	v_cmp_gt_i32_e64 s[4:5], s20, v6
	s_cbranch_vccnz .LBB29_8
; %bb.4:
	s_mov_b64 s[22:23], 0
	s_mov_b64 s[18:19], 0
                                        ; implicit-def: $vgpr2_vgpr3
                                        ; implicit-def: $vgpr4_vgpr5
	s_and_saveexec_b64 s[24:25], s[4:5]
	s_cbranch_execz .LBB29_9
; %bb.5:
	v_cmp_neq_f64_e64 s[4:5], s[8:9], 0
	v_cmp_neq_f64_e64 s[18:19], s[10:11], 0
	v_ashrrev_i32_e32 v0, 31, v6
	v_mov_b64_e32 v[2:3], 0
	v_mul_lo_u32 v1, v6, s7
	v_mul_lo_u32 v0, v0, s6
	v_mad_u64_u32 v[4:5], s[26:27], v6, s6, 0
	s_or_b64 s[4:5], s[4:5], s[18:19]
	v_add3_u32 v5, v5, v1, v0
	s_andn2_b64 vcc, exec, s[4:5]
	v_mov_b64_e32 v[0:1], v[2:3]
	s_cbranch_vccnz .LBB29_7
; %bb.6:
	v_lshl_add_u64 v[0:1], v[4:5], 4, s[16:17]
	global_load_dwordx4 v[8:11], v[0:1], off
	s_waitcnt vmcnt(0)
	v_mul_f64 v[0:1], s[10:11], v[10:11]
	v_mul_f64 v[2:3], s[8:9], v[10:11]
	v_fma_f64 v[0:1], s[8:9], v[8:9], -v[0:1]
	v_fmac_f64_e32 v[2:3], s[10:11], v[8:9]
.LBB29_7:
	s_mov_b64 s[18:19], exec
	s_or_b64 exec, exec, s[24:25]
	s_and_b64 vcc, exec, s[22:23]
	s_cbranch_vccnz .LBB29_10
	s_branch .LBB29_20
.LBB29_8:
	s_mov_b64 s[18:19], 0
                                        ; implicit-def: $vgpr2_vgpr3
                                        ; implicit-def: $vgpr4_vgpr5
	s_cbranch_execnz .LBB29_10
	s_branch .LBB29_20
.LBB29_9:
	s_or_b64 exec, exec, s[24:25]
	s_and_b64 vcc, exec, s[22:23]
	s_cbranch_vccz .LBB29_20
.LBB29_10:
	v_cmp_gt_i32_e32 vcc, s20, v6
                                        ; implicit-def: $vgpr2_vgpr3
                                        ; implicit-def: $vgpr4_vgpr5
	s_and_saveexec_b64 s[4:5], vcc
	s_cbranch_execz .LBB29_19
; %bb.11:
	s_load_dword s22, s[0:1], 0x68
	v_mov_b64_e32 v[0:1], 0
	v_mov_b64_e32 v[4:5], v[0:1]
	s_waitcnt lgkmcnt(0)
	s_cmp_ge_i32 s2, s22
	s_cbranch_scc1 .LBB29_14
; %bb.12:
	s_ashr_i32 s21, s20, 31
	s_mul_i32 s23, s2, s20
	s_load_dwordx2 s[0:1], s[0:1], 0x58
	v_add_u32_e32 v0, s23, v6
	s_mul_hi_u32 s23, s20, s3
	s_mul_i32 s24, s21, s3
	s_add_i32 s23, s23, s24
	s_mul_i32 s3, s20, s3
	s_mul_i32 s23, s23, s22
	s_mul_hi_u32 s24, s3, s22
	s_add_i32 s25, s24, s23
	s_mul_i32 s24, s3, s22
	s_lshl_b64 s[24:25], s[24:25], 4
	s_waitcnt lgkmcnt(0)
	s_add_u32 s0, s0, s24
	v_ashrrev_i32_e32 v1, 31, v0
	s_addc_u32 s1, s1, s25
	v_lshl_add_u64 v[0:1], v[0:1], 4, s[0:1]
	v_lshl_add_u64 v[2:3], v[0:1], 0, 8
	v_mov_b64_e32 v[0:1], 0
	s_lshl_b64 s[0:1], s[20:21], 4
	v_mov_b64_e32 v[4:5], v[0:1]
.LBB29_13:                              ; =>This Inner Loop Header: Depth=1
	global_load_dwordx4 v[8:11], v[2:3], off offset:-8
	s_add_i32 s2, s2, 1
	v_lshl_add_u64 v[2:3], v[2:3], 0, s[0:1]
	s_cmp_ge_i32 s2, s22
	s_waitcnt vmcnt(0)
	v_add_f64 v[4:5], v[4:5], v[8:9]
	v_add_f64 v[0:1], v[0:1], v[10:11]
	s_cbranch_scc0 .LBB29_13
.LBB29_14:
	v_cmp_neq_f64_e64 s[2:3], s[8:9], 0
	v_cmp_neq_f64_e64 s[20:21], s[10:11], 0
	s_or_b64 s[2:3], s[2:3], s[20:21]
	v_mul_f64 v[8:9], s[14:15], v[0:1]
	v_mul_f64 v[2:3], s[12:13], v[0:1]
	v_ashrrev_i32_e32 v10, 31, v6
	s_mov_b64 s[0:1], 0
	s_andn2_b64 vcc, exec, s[2:3]
	v_fma_f64 v[0:1], s[12:13], v[4:5], -v[8:9]
	v_fmac_f64_e32 v[2:3], s[14:15], v[4:5]
	v_mul_lo_u32 v7, v6, s7
	v_mul_lo_u32 v8, v10, s6
	s_cbranch_vccz .LBB29_16
; %bb.15:
	v_mad_u64_u32 v[4:5], s[2:3], v6, s6, 0
	v_add3_u32 v5, v5, v7, v8
	s_andn2_b64 vcc, exec, s[0:1]
	s_cbranch_vccz .LBB29_17
	s_branch .LBB29_18
.LBB29_16:
                                        ; implicit-def: $vgpr4_vgpr5
.LBB29_17:
	v_mad_u64_u32 v[4:5], s[0:1], v6, s6, 0
	v_add3_u32 v5, v5, v7, v8
	v_lshl_add_u64 v[6:7], v[4:5], 4, s[16:17]
	global_load_dwordx4 v[6:9], v[6:7], off
	s_waitcnt vmcnt(0)
	v_mul_f64 v[10:11], s[10:11], v[8:9]
	v_mul_f64 v[8:9], s[8:9], v[8:9]
	v_fma_f64 v[10:11], s[8:9], v[6:7], -v[10:11]
	v_fmac_f64_e32 v[8:9], s[10:11], v[6:7]
	v_add_f64 v[0:1], v[0:1], v[10:11]
	v_add_f64 v[2:3], v[2:3], v[8:9]
.LBB29_18:
	s_or_b64 s[18:19], s[18:19], exec
.LBB29_19:
	s_or_b64 exec, exec, s[4:5]
.LBB29_20:
	s_and_saveexec_b64 s[0:1], s[18:19]
	s_cbranch_execz .LBB29_22
; %bb.21:
	v_lshl_add_u64 v[4:5], v[4:5], 4, s[16:17]
	global_store_dwordx4 v[4:5], v[0:3], off
.LBB29_22:
	s_endpgm
	.section	.rodata,"a",@progbits
	.p2align	6, 0x0
	.amdhsa_kernel _ZL36rocblas_hemvn_kernel_lower_block_sumILi64El19rocblas_complex_numIdEPS1_S1_EviT1_lS3_lT2_lT0_lPT3_i
		.amdhsa_group_segment_fixed_size 0
		.amdhsa_private_segment_fixed_size 0
		.amdhsa_kernarg_size 360
		.amdhsa_user_sgpr_count 2
		.amdhsa_user_sgpr_dispatch_ptr 0
		.amdhsa_user_sgpr_queue_ptr 0
		.amdhsa_user_sgpr_kernarg_segment_ptr 1
		.amdhsa_user_sgpr_dispatch_id 0
		.amdhsa_user_sgpr_kernarg_preload_length 0
		.amdhsa_user_sgpr_kernarg_preload_offset 0
		.amdhsa_user_sgpr_private_segment_size 0
		.amdhsa_uses_dynamic_stack 0
		.amdhsa_enable_private_segment 0
		.amdhsa_system_sgpr_workgroup_id_x 1
		.amdhsa_system_sgpr_workgroup_id_y 0
		.amdhsa_system_sgpr_workgroup_id_z 1
		.amdhsa_system_sgpr_workgroup_info 0
		.amdhsa_system_vgpr_workitem_id 0
		.amdhsa_next_free_vgpr 12
		.amdhsa_next_free_sgpr 28
		.amdhsa_accum_offset 12
		.amdhsa_reserve_vcc 1
		.amdhsa_float_round_mode_32 0
		.amdhsa_float_round_mode_16_64 0
		.amdhsa_float_denorm_mode_32 3
		.amdhsa_float_denorm_mode_16_64 3
		.amdhsa_dx10_clamp 1
		.amdhsa_ieee_mode 1
		.amdhsa_fp16_overflow 0
		.amdhsa_tg_split 0
		.amdhsa_exception_fp_ieee_invalid_op 0
		.amdhsa_exception_fp_denorm_src 0
		.amdhsa_exception_fp_ieee_div_zero 0
		.amdhsa_exception_fp_ieee_overflow 0
		.amdhsa_exception_fp_ieee_underflow 0
		.amdhsa_exception_fp_ieee_inexact 0
		.amdhsa_exception_int_div_zero 0
	.end_amdhsa_kernel
	.section	.text._ZL36rocblas_hemvn_kernel_lower_block_sumILi64El19rocblas_complex_numIdEPS1_S1_EviT1_lS3_lT2_lT0_lPT3_i,"axG",@progbits,_ZL36rocblas_hemvn_kernel_lower_block_sumILi64El19rocblas_complex_numIdEPS1_S1_EviT1_lS3_lT2_lT0_lPT3_i,comdat
.Lfunc_end29:
	.size	_ZL36rocblas_hemvn_kernel_lower_block_sumILi64El19rocblas_complex_numIdEPS1_S1_EviT1_lS3_lT2_lT0_lPT3_i, .Lfunc_end29-_ZL36rocblas_hemvn_kernel_lower_block_sumILi64El19rocblas_complex_numIdEPS1_S1_EviT1_lS3_lT2_lT0_lPT3_i
                                        ; -- End function
	.section	.AMDGPU.csdata,"",@progbits
; Kernel info:
; codeLenInByte = 776
; NumSgprs: 34
; NumVgprs: 12
; NumAgprs: 0
; TotalNumVgprs: 12
; ScratchSize: 0
; MemoryBound: 0
; FloatMode: 240
; IeeeMode: 1
; LDSByteSize: 0 bytes/workgroup (compile time only)
; SGPRBlocks: 4
; VGPRBlocks: 1
; NumSGPRsForWavesPerEU: 34
; NumVGPRsForWavesPerEU: 12
; AccumOffset: 12
; Occupancy: 8
; WaveLimiterHint : 0
; COMPUTE_PGM_RSRC2:SCRATCH_EN: 0
; COMPUTE_PGM_RSRC2:USER_SGPR: 2
; COMPUTE_PGM_RSRC2:TRAP_HANDLER: 0
; COMPUTE_PGM_RSRC2:TGID_X_EN: 1
; COMPUTE_PGM_RSRC2:TGID_Y_EN: 0
; COMPUTE_PGM_RSRC2:TGID_Z_EN: 1
; COMPUTE_PGM_RSRC2:TIDIG_COMP_CNT: 0
; COMPUTE_PGM_RSRC3_GFX90A:ACCUM_OFFSET: 2
; COMPUTE_PGM_RSRC3_GFX90A:TG_SPLIT: 0
	.section	.text._ZL26rocblas_hemvn_kernel_lowerILb1ELi64ELi4ELi33ELi32ELi16Ei19rocblas_complex_numIdEPKS1_PS1_EviT6_lT7_lT5_lS6_lS7_lS5_lT8_i,"axG",@progbits,_ZL26rocblas_hemvn_kernel_lowerILb1ELi64ELi4ELi33ELi32ELi16Ei19rocblas_complex_numIdEPKS1_PS1_EviT6_lT7_lT5_lS6_lS7_lS5_lT8_i,comdat
	.globl	_ZL26rocblas_hemvn_kernel_lowerILb1ELi64ELi4ELi33ELi32ELi16Ei19rocblas_complex_numIdEPKS1_PS1_EviT6_lT7_lT5_lS6_lS7_lS5_lT8_i ; -- Begin function _ZL26rocblas_hemvn_kernel_lowerILb1ELi64ELi4ELi33ELi32ELi16Ei19rocblas_complex_numIdEPKS1_PS1_EviT6_lT7_lT5_lS6_lS7_lS5_lT8_i
	.p2align	8
	.type	_ZL26rocblas_hemvn_kernel_lowerILb1ELi64ELi4ELi33ELi32ELi16Ei19rocblas_complex_numIdEPKS1_PS1_EviT6_lT7_lT5_lS6_lS7_lS5_lT8_i,@function
_ZL26rocblas_hemvn_kernel_lowerILb1ELi64ELi4ELi33ELi32ELi16Ei19rocblas_complex_numIdEPKS1_PS1_EviT6_lT7_lT5_lS6_lS7_lS5_lT8_i: ; @_ZL26rocblas_hemvn_kernel_lowerILb1ELi64ELi4ELi33ELi32ELi16Ei19rocblas_complex_numIdEPKS1_PS1_EviT6_lT7_lT5_lS6_lS7_lS5_lT8_i
; %bb.0:
	s_load_dwordx2 s[4:5], s[0:1], 0x94
	s_add_u32 s12, s0, 0x88
	s_addc_u32 s13, s1, 0
	s_waitcnt lgkmcnt(0)
	s_lshr_b32 s6, s4, 16
	s_and_b32 s4, s4, 0xffff
	s_and_b32 s5, s5, 0xffff
	s_mul_i32 s4, s6, s4
	s_mul_i32 s4, s4, s5
	s_cmpk_lg_i32 s4, 0x100
	s_cbranch_scc1 .LBB30_135
; %bb.1:
	s_load_dwordx4 s[16:19], s[0:1], 0x8
	s_load_dwordx4 s[4:7], s[0:1], 0x58
	s_load_dwordx2 s[10:11], s[0:1], 0x68
	s_waitcnt lgkmcnt(0)
	v_cmp_neq_f64_e64 s[8:9], s[16:17], 0
	v_cmp_neq_f64_e64 s[14:15], s[18:19], 0
	s_or_b64 s[8:9], s[8:9], s[14:15]
	s_mov_b64 s[14:15], -1
	s_and_b64 vcc, exec, s[8:9]
	s_cbranch_vccnz .LBB30_3
; %bb.2:
	v_cmp_neq_f64_e64 s[6:7], s[6:7], 1.0
	v_cmp_neq_f64_e64 s[10:11], s[10:11], 0
	s_or_b64 s[14:15], s[6:7], s[10:11]
.LBB30_3:
	s_andn2_b64 vcc, exec, s[14:15]
	s_cbranch_vccnz .LBB30_135
; %bb.4:
	s_andn2_b64 vcc, exec, s[8:9]
	s_cbranch_vccnz .LBB30_135
; %bb.5:
	s_load_dword s37, s[12:13], 0x0
	s_load_dword s36, s[0:1], 0x0
	s_load_dwordx4 s[8:11], s[0:1], 0x38
	s_load_dwordx2 s[6:7], s[0:1], 0x48
	s_load_dword s33, s[0:1], 0x50
	s_mul_i32 s5, s3, s5
	s_mul_hi_u32 s12, s3, s4
	s_add_i32 s5, s12, s5
	s_mul_i32 s4, s3, s4
	s_lshl_b64 s[4:5], s[4:5], 4
	s_waitcnt lgkmcnt(0)
	s_add_u32 s10, s10, s4
	s_addc_u32 s11, s11, s5
	s_lshl_b64 s[4:5], s[6:7], 4
	s_add_u32 s4, s10, s4
	s_addc_u32 s5, s11, s5
	s_ashr_i32 s38, s36, 31
	s_lshr_b32 s7, s38, 26
	v_and_b32_e32 v42, 0x3ff, v0
	s_lshl_b32 s26, s2, 6
	s_add_i32 s7, s36, s7
	s_andn2_b32 s7, s7, 63
	v_add_u32_e32 v132, s26, v42
	v_bfe_u32 v133, v0, 10, 10
	s_add_i32 s6, s37, -1
	s_sub_i32 s7, s36, s7
	v_mul_lo_u32 v0, v132, s33
	s_cmp_eq_u32 s2, s6
	v_ashrrev_i32_e32 v1, 31, v0
	s_cselect_b32 s22, s7, 0
	v_lshl_add_u64 v[36:37], v[0:1], 4, s[4:5]
	v_cmp_ne_u32_e64 s[4:5], 0, v133
	v_cmp_eq_u32_e64 s[18:19], 0, v133
	s_and_saveexec_b64 s[6:7], s[18:19]
	s_cbranch_execz .LBB30_10
; %bb.6:
	s_cmp_lg_u32 s22, 0
	s_cselect_b64 s[10:11], -1, 0
	v_cmp_le_i32_e32 vcc, s22, v42
	v_mov_b32_e32 v0, 0x4700
	s_and_b64 s[10:11], s[10:11], vcc
	v_lshl_add_u32 v0, v42, 4, v0
	s_and_saveexec_b64 s[12:13], s[10:11]
	s_xor_b64 s[10:11], exec, s[12:13]
	s_cbranch_execz .LBB30_8
; %bb.7:
	v_mov_b32_e32 v2, 0
	v_mov_b32_e32 v3, v2
	;; [unrolled: 1-line block ×4, first 2 shown]
	ds_write_b128 v0, v[2:5]
                                        ; implicit-def: $vgpr0
.LBB30_8:
	s_andn2_saveexec_b64 s[10:11], s[10:11]
	s_cbranch_execz .LBB30_10
; %bb.9:
	global_load_dwordx4 v[2:5], v[36:37], off
	s_waitcnt vmcnt(0)
	ds_write2_b64 v0, v[2:3], v[4:5] offset1:1
.LBB30_10:
	s_or_b64 exec, exec, s[6:7]
	s_load_dwordx4 s[12:15], s[0:1], 0x20
	s_load_dword s24, s[0:1], 0x30
	s_mul_i32 s6, s3, s9
	s_mul_hi_u32 s7, s3, s8
	s_add_i32 s7, s7, s6
	s_mul_i32 s6, s3, s8
	s_lshl_b64 s[6:7], s[6:7], 4
	s_waitcnt lgkmcnt(0)
	s_add_u32 s8, s12, s6
	s_addc_u32 s9, s13, s7
	s_lshl_b64 s[6:7], s[14:15], 4
	s_add_u32 s8, s8, s6
	s_addc_u32 s9, s9, s7
	s_ashr_i32 s27, s26, 31
	v_lshl_add_u32 v43, v133, 6, v42
	s_lshl_b64 s[6:7], s[26:27], 4
	v_and_b32_e32 v4, 31, v42
	v_lshrrev_b32_e32 v5, 5, v43
	s_add_u32 s8, s8, s6
	s_addc_u32 s9, s9, s7
	v_mad_u64_u32 v[38:39], s[6:7], v5, s24, v[4:5]
	s_mul_i32 s6, s26, s24
	s_ashr_i32 s7, s6, 31
	s_lshl_b64 s[28:29], s[6:7], 4
	s_add_u32 s6, s28, s8
	s_addc_u32 s7, s29, s9
	s_cmp_lg_u32 s22, 0
	v_ashrrev_i32_e32 v39, 31, v38
	s_cselect_b64 s[30:31], -1, 0
	s_cmp_eq_u32 s22, 0
	v_lshl_add_u64 v[6:7], v[38:39], 4, s[6:7]
	s_cselect_b64 s[20:21], -1, 0
	s_and_b64 vcc, exec, s[30:31]
	s_cbranch_vccnz .LBB30_12
; %bb.11:
	s_lshl_b32 s6, s24, 3
	s_ashr_i32 s7, s6, 31
	s_ashr_i32 s25, s24, 31
	global_load_dwordx4 v[0:3], v[6:7], off
	v_lshl_add_u64 v[12:13], s[6:7], 4, v[6:7]
	global_load_dwordx4 v[8:11], v[12:13], off
	s_lshl_b64 s[6:7], s[24:25], 7
	v_lshl_add_u64 v[16:17], v[12:13], 0, s[6:7]
	global_load_dwordx4 v[12:15], v[16:17], off
	v_lshl_add_u64 v[16:17], v[16:17], 0, s[6:7]
	global_load_dwordx4 v[16:19], v[16:17], off
	v_mul_u32_u24_e32 v20, 33, v5
	v_add_lshl_u32 v20, v20, v4, 4
	v_add_u32_e32 v21, 0x1080, v20
	v_add_u32_e32 v22, 0x2100, v20
	;; [unrolled: 1-line block ×3, first 2 shown]
	s_waitcnt vmcnt(3)
	ds_write2_b64 v20, v[0:1], v[2:3] offset1:1
	s_waitcnt vmcnt(2)
	ds_write2_b64 v21, v[8:9], v[10:11] offset1:1
	;; [unrolled: 2-line block ×4, first 2 shown]
	s_cbranch_execz .LBB30_13
	s_branch .LBB30_30
.LBB30_12:
.LBB30_13:
	v_lshlrev_b32_e32 v0, 4, v4
	v_sub_co_u32_e32 v2, vcc, v6, v0
	s_ashr_i32 s23, s22, 31
	s_nop 0
	v_subbrev_co_u32_e32 v3, vcc, 0, v7, vcc
	v_lshl_add_u64 v[2:3], s[22:23], 4, v[2:3]
	v_lshl_add_u64 v[2:3], v[2:3], 0, -16
	v_cmp_gt_i32_e32 vcc, s22, v4
	v_mul_u32_u24_e32 v1, 33, v5
	v_cmp_le_i32_e64 s[6:7], s22, v5
	v_cndmask_b32_e32 v3, v3, v7, vcc
	v_cndmask_b32_e32 v2, v2, v6, vcc
	v_add_lshl_u32 v1, v1, v4, 4
	s_and_saveexec_b64 s[8:9], s[6:7]
	s_xor_b64 s[6:7], exec, s[8:9]
	s_cbranch_execz .LBB30_15
; %bb.14:
	v_mov_b32_e32 v8, 0
	v_mov_b32_e32 v9, v8
	;; [unrolled: 1-line block ×4, first 2 shown]
	ds_write_b128 v1, v[8:11]
.LBB30_15:
	s_andn2_saveexec_b64 s[6:7], s[6:7]
	s_cbranch_execz .LBB30_17
; %bb.16:
	global_load_dwordx4 v[8:11], v[2:3], off
	s_waitcnt vmcnt(0)
	ds_write2_b64 v1, v[8:9], v[10:11] offset1:1
.LBB30_17:
	s_or_b64 exec, exec, s[6:7]
	v_add_u32_e32 v8, 8, v5
	v_cmp_le_i32_e64 s[6:7], s22, v8
	s_and_saveexec_b64 s[8:9], s[6:7]
	s_xor_b64 s[6:7], exec, s[8:9]
	s_cbranch_execz .LBB30_19
; %bb.18:
	v_mul_u32_u24_e32 v8, 33, v8
	v_add_lshl_u32 v12, v8, v4, 4
	v_mov_b32_e32 v8, 0
	v_mov_b32_e32 v9, v8
	;; [unrolled: 1-line block ×4, first 2 shown]
	ds_write_b128 v12, v[8:11]
.LBB30_19:
	s_andn2_saveexec_b64 s[6:7], s[6:7]
	s_cbranch_execz .LBB30_21
; %bb.20:
	s_lshl_b32 s8, s24, 3
	s_ashr_i32 s9, s8, 31
	v_lshl_add_u64 v[8:9], s[8:9], 4, v[2:3]
	global_load_dwordx4 v[8:11], v[8:9], off
	v_add_u32_e32 v12, 0x1080, v1
	s_waitcnt vmcnt(0)
	ds_write2_b64 v12, v[8:9], v[10:11] offset1:1
.LBB30_21:
	s_or_b64 exec, exec, s[6:7]
	v_add_u32_e32 v8, 16, v5
	v_cmp_le_i32_e64 s[6:7], s22, v8
	s_and_saveexec_b64 s[8:9], s[6:7]
	s_xor_b64 s[6:7], exec, s[8:9]
	s_cbranch_execz .LBB30_23
; %bb.22:
	v_mul_u32_u24_e32 v8, 33, v8
	v_add_lshl_u32 v12, v8, v4, 4
	v_mov_b32_e32 v8, 0
	v_mov_b32_e32 v9, v8
	v_mov_b32_e32 v10, v8
	v_mov_b32_e32 v11, v8
	ds_write_b128 v12, v[8:11]
.LBB30_23:
	s_andn2_saveexec_b64 s[6:7], s[6:7]
	s_cbranch_execz .LBB30_25
; %bb.24:
	s_lshl_b32 s8, s24, 4
	s_ashr_i32 s9, s8, 31
	v_lshl_add_u64 v[8:9], s[8:9], 4, v[2:3]
	global_load_dwordx4 v[8:11], v[8:9], off
	v_add_u32_e32 v12, 0x2100, v1
	s_waitcnt vmcnt(0)
	ds_write2_b64 v12, v[8:9], v[10:11] offset1:1
.LBB30_25:
	s_or_b64 exec, exec, s[6:7]
	v_add_u32_e32 v8, 24, v5
	v_cmp_le_i32_e64 s[6:7], s22, v8
	s_and_saveexec_b64 s[8:9], s[6:7]
	s_xor_b64 s[6:7], exec, s[8:9]
	s_cbranch_execz .LBB30_27
; %bb.26:
	v_mov_b32_e32 v8, 0
	v_mov_b32_e32 v9, v8
	;; [unrolled: 1-line block ×4, first 2 shown]
	ds_write_b128 v1, v[8:11] offset:12672
                                        ; implicit-def: $vgpr1
.LBB30_27:
	s_andn2_saveexec_b64 s[6:7], s[6:7]
	s_cbranch_execz .LBB30_29
; %bb.28:
	s_mul_i32 s8, s24, 24
	s_ashr_i32 s9, s8, 31
	v_lshl_add_u64 v[8:9], s[8:9], 4, v[2:3]
	global_load_dwordx4 v[8:11], v[8:9], off
	v_add_u32_e32 v1, 0x3180, v1
	s_waitcnt vmcnt(0)
	ds_write2_b64 v1, v[8:9], v[10:11] offset1:1
.LBB30_29:
	s_or_b64 exec, exec, s[6:7]
	v_mov_b32_e32 v1, 0
	v_lshl_add_u64 v[0:1], v[2:3], 0, v[0:1]
	s_lshl_b64 s[6:7], s[22:23], 4
	v_mov_b32_e32 v2, s7
	v_subrev_co_u32_e64 v0, s[6:7], s6, v0
	s_nop 1
	v_subb_co_u32_e64 v1, s[6:7], v1, v2, s[6:7]
	v_lshl_add_u64 v[0:1], v[0:1], 0, 16
	v_cndmask_b32_e32 v7, v1, v7, vcc
	v_cndmask_b32_e32 v6, v0, v6, vcc
.LBB30_30:
	v_lshlrev_b32_e32 v13, 2, v5
	v_cmp_ge_u32_e64 s[8:9], v13, v4
	s_waitcnt lgkmcnt(0)
	s_barrier
	s_and_saveexec_b64 s[6:7], s[8:9]
	s_xor_b64 s[6:7], exec, s[6:7]
	s_cbranch_execz .LBB30_34
; %bb.31:
	v_cmp_eq_u32_e32 vcc, v13, v4
	s_and_saveexec_b64 s[10:11], vcc
	s_cbranch_execz .LBB30_33
; %bb.32:
	v_mul_u32_u24_e32 v0, 34, v4
	v_lshlrev_b32_e32 v2, 4, v0
	v_mov_b32_e32 v0, 0
	v_mov_b32_e32 v1, v0
	ds_write_b64 v2, v[0:1] offset:8
.LBB30_33:
	s_or_b64 exec, exec, s[10:11]
.LBB30_34:
	s_or_saveexec_b64 s[6:7], s[6:7]
	v_mul_u32_u24_e32 v44, 33, v4
	v_add_lshl_u32 v16, v13, v44, 4
	s_xor_b64 exec, exec, s[6:7]
	s_cbranch_execz .LBB30_36
; %bb.35:
	v_mul_u32_u24_e32 v0, 0x84, v5
	v_add_lshl_u32 v0, v0, v4, 4
	ds_read_b128 v[0:3], v0
	s_waitcnt lgkmcnt(0)
	v_xor_b32_e32 v3, 0x80000000, v3
	ds_write_b128 v16, v[0:3]
.LBB30_36:
	s_or_b64 exec, exec, s[6:7]
	v_or_b32_e32 v14, 1, v13
	v_cmp_ge_u32_e64 s[10:11], v14, v4
	s_and_saveexec_b64 s[6:7], s[10:11]
	s_xor_b64 s[6:7], exec, s[6:7]
	s_cbranch_execz .LBB30_40
; %bb.37:
	v_cmp_eq_u32_e32 vcc, v14, v4
	s_and_saveexec_b64 s[12:13], vcc
	s_cbranch_execz .LBB30_39
; %bb.38:
	v_mul_u32_u24_e32 v0, 34, v4
	v_lshlrev_b32_e32 v2, 4, v0
	v_mov_b32_e32 v0, 0
	v_mov_b32_e32 v1, v0
	ds_write_b64 v2, v[0:1] offset:8
.LBB30_39:
	s_or_b64 exec, exec, s[12:13]
.LBB30_40:
	s_or_saveexec_b64 s[6:7], s[6:7]
	v_mul_u32_u24_e32 v0, 33, v14
	s_xor_b64 exec, exec, s[6:7]
	s_cbranch_execz .LBB30_42
; %bb.41:
	v_add_lshl_u32 v1, v0, v4, 4
	ds_read_b128 v[8:11], v1
	s_waitcnt lgkmcnt(0)
	v_xor_b32_e32 v11, 0x80000000, v11
	ds_write_b128 v16, v[8:11] offset:16
.LBB30_42:
	s_or_b64 exec, exec, s[6:7]
	v_or_b32_e32 v15, 2, v13
	v_cmp_ge_u32_e64 s[12:13], v15, v4
	s_and_saveexec_b64 s[6:7], s[12:13]
	s_xor_b64 s[6:7], exec, s[6:7]
	s_cbranch_execz .LBB30_46
; %bb.43:
	v_cmp_eq_u32_e32 vcc, v15, v4
	s_and_saveexec_b64 s[14:15], vcc
	s_cbranch_execz .LBB30_45
; %bb.44:
	v_mul_u32_u24_e32 v1, 34, v4
	v_mov_b32_e32 v2, 0
	v_lshlrev_b32_e32 v1, 4, v1
	v_mov_b32_e32 v3, v2
	ds_write_b64 v1, v[2:3] offset:8
.LBB30_45:
	s_or_b64 exec, exec, s[14:15]
.LBB30_46:
	s_andn2_saveexec_b64 s[6:7], s[6:7]
	s_cbranch_execz .LBB30_48
; %bb.47:
	v_mul_u32_u24_e32 v1, 33, v15
	v_add_lshl_u32 v1, v1, v4, 4
	ds_read_b128 v[8:11], v1
	s_waitcnt lgkmcnt(0)
	v_xor_b32_e32 v11, 0x80000000, v11
	ds_write_b128 v16, v[8:11] offset:32
.LBB30_48:
	s_or_b64 exec, exec, s[6:7]
	v_or_b32_e32 v17, 3, v13
	v_cmp_ge_u32_e64 s[14:15], v17, v4
	s_and_saveexec_b64 s[6:7], s[14:15]
	s_xor_b64 s[6:7], exec, s[6:7]
	s_cbranch_execz .LBB30_52
; %bb.49:
	v_cmp_eq_u32_e32 vcc, v17, v4
	s_and_saveexec_b64 s[16:17], vcc
	s_cbranch_execz .LBB30_51
; %bb.50:
	v_mul_u32_u24_e32 v1, 34, v4
	v_mov_b32_e32 v2, 0
	v_lshlrev_b32_e32 v1, 4, v1
	v_mov_b32_e32 v3, v2
	ds_write_b64 v1, v[2:3] offset:8
.LBB30_51:
	s_or_b64 exec, exec, s[16:17]
.LBB30_52:
	s_andn2_saveexec_b64 s[6:7], s[6:7]
	s_cbranch_execz .LBB30_54
; %bb.53:
	v_mul_u32_u24_e32 v1, 33, v17
	v_add_lshl_u32 v1, v1, v4, 4
	ds_read_b128 v[8:11], v1
	s_waitcnt lgkmcnt(0)
	v_xor_b32_e32 v11, 0x80000000, v11
	ds_write_b128 v16, v[8:11] offset:48
.LBB30_54:
	s_or_b64 exec, exec, s[6:7]
	v_mul_u32_u24_e32 v1, 0x84, v5
	v_lshlrev_b32_e32 v19, 4, v13
	s_waitcnt lgkmcnt(0)
	s_barrier
	v_add_lshl_u32 v18, v1, v4, 4
	ds_read_b128 v[8:11], v19 offset:18176
	ds_read_b128 v[20:23], v19 offset:18192
	ds_read_b128 v[24:27], v18
	ds_read_b128 v[28:31], v19 offset:18208
	ds_read_b128 v[32:35], v19 offset:18224
	v_add_lshl_u32 v12, v0, v4, 4
	ds_read_b128 v[0:3], v12
	s_waitcnt lgkmcnt(3)
	v_mul_f64 v[40:41], v[10:11], v[26:27]
	v_fma_f64 v[40:41], v[8:9], v[24:25], -v[40:41]
	v_mul_f64 v[8:9], v[8:9], v[26:27]
	v_fmac_f64_e32 v[8:9], v[10:11], v[24:25]
	v_add_f64 v[26:27], v[8:9], 0
	s_waitcnt lgkmcnt(0)
	v_mul_f64 v[8:9], v[22:23], v[2:3]
	v_add_f64 v[24:25], v[40:41], 0
	v_fma_f64 v[40:41], v[20:21], v[0:1], -v[8:9]
	v_mul_f64 v[2:3], v[20:21], v[2:3]
	ds_read_b128 v[8:11], v12 offset:528
	v_fmac_f64_e32 v[2:3], v[22:23], v[0:1]
	v_add_f64 v[22:23], v[26:27], v[2:3]
	ds_read_b128 v[0:3], v12 offset:1056
	v_add_f64 v[20:21], v[24:25], v[40:41]
	s_waitcnt lgkmcnt(1)
	v_mul_f64 v[24:25], v[30:31], v[10:11]
	v_fma_f64 v[24:25], v[28:29], v[8:9], -v[24:25]
	v_mul_f64 v[10:11], v[28:29], v[10:11]
	v_fmac_f64_e32 v[10:11], v[30:31], v[8:9]
	v_add_f64 v[8:9], v[20:21], v[24:25]
	s_waitcnt lgkmcnt(0)
	v_mul_f64 v[20:21], v[34:35], v[2:3]
	v_mul_f64 v[2:3], v[32:33], v[2:3]
	v_add_f64 v[10:11], v[22:23], v[10:11]
	v_fma_f64 v[20:21], v[32:33], v[0:1], -v[20:21]
	v_fmac_f64_e32 v[2:3], v[34:35], v[0:1]
	v_add_f64 v[0:1], v[8:9], v[20:21]
	v_add_f64 v[2:3], v[10:11], v[2:3]
	v_add_lshl_u32 v45, v5, v44, 4
	s_barrier
	ds_write_b128 v45, v[0:3]
	v_mov_b64_e32 v[0:1], 0
	v_cmp_gt_u32_e64 s[6:7], 32, v43
	v_mov_b64_e32 v[2:3], v[0:1]
	s_waitcnt lgkmcnt(0)
	s_barrier
	s_and_saveexec_b64 s[16:17], s[6:7]
	s_cbranch_execz .LBB30_56
; %bb.55:
	v_lshlrev_b32_e32 v28, 4, v44
	ds_read_b128 v[0:3], v28
	ds_read_b128 v[8:11], v28 offset:16
	ds_read_b128 v[20:23], v28 offset:32
	;; [unrolled: 1-line block ×3, first 2 shown]
	s_waitcnt lgkmcnt(2)
	v_add_f64 v[0:1], v[8:9], v[0:1]
	v_add_f64 v[8:9], v[10:11], v[2:3]
	s_waitcnt lgkmcnt(1)
	v_add_f64 v[10:11], v[0:1], v[20:21]
	ds_read_b128 v[0:3], v28 offset:64
	v_add_f64 v[8:9], v[8:9], v[22:23]
	s_waitcnt lgkmcnt(1)
	v_add_f64 v[20:21], v[10:11], v[24:25]
	v_add_f64 v[24:25], v[8:9], v[26:27]
	ds_read_b128 v[8:11], v28 offset:80
	s_waitcnt lgkmcnt(1)
	v_add_f64 v[26:27], v[20:21], v[0:1]
	ds_read_b128 v[20:23], v28 offset:96
	v_add_f64 v[24:25], v[24:25], v[2:3]
	ds_read_b128 v[0:3], v28 offset:112
	s_waitcnt lgkmcnt(2)
	v_add_f64 v[8:9], v[26:27], v[8:9]
	v_add_f64 v[10:11], v[24:25], v[10:11]
	s_waitcnt lgkmcnt(1)
	v_add_f64 v[8:9], v[8:9], v[20:21]
	v_add_f64 v[10:11], v[10:11], v[22:23]
	;; [unrolled: 3-line block ×3, first 2 shown]
.LBB30_56:
	s_or_b64 exec, exec, s[16:17]
	s_lshl_b32 s34, s24, 5
	s_ashr_i32 s35, s34, 31
	v_lshl_add_u64 v[8:9], s[34:35], 4, v[6:7]
	s_mov_b64 s[40:41], 0x200
	v_cndmask_b32_e64 v6, 0, 1, s[20:21]
	v_cmp_ne_u32_e64 s[16:17], 1, v6
	s_andn2_b64 vcc, exec, s[20:21]
	v_lshl_add_u64 v[6:7], v[8:9], 0, s[40:41]
	s_barrier
	s_cbranch_vccnz .LBB30_58
; %bb.57:
	s_lshl_b32 s20, s24, 3
	s_ashr_i32 s21, s20, 31
	s_ashr_i32 s25, s24, 31
	v_lshl_add_u64 v[28:29], s[20:21], 4, v[8:9]
	s_lshl_b64 s[20:21], s[24:25], 7
	global_load_dwordx4 v[20:23], v[6:7], off
	v_lshl_add_u64 v[30:31], v[28:29], 0, s[20:21]
	global_load_dwordx4 v[8:11], v[28:29], off offset:512
	global_load_dwordx4 v[24:27], v[30:31], off offset:512
	v_lshl_add_u64 v[28:29], v[30:31], 0, s[20:21]
	global_load_dwordx4 v[28:31], v[28:29], off offset:512
	v_mul_u32_u24_e32 v32, 33, v5
	v_add_lshl_u32 v32, v32, v4, 4
	v_add_u32_e32 v33, 0x1080, v32
	v_add_u32_e32 v34, 0x2100, v32
	;; [unrolled: 1-line block ×3, first 2 shown]
	s_waitcnt vmcnt(3)
	ds_write2_b64 v32, v[20:21], v[22:23] offset1:1
	s_waitcnt vmcnt(2)
	ds_write2_b64 v33, v[8:9], v[10:11] offset1:1
	;; [unrolled: 2-line block ×4, first 2 shown]
	s_cbranch_execz .LBB30_59
	s_branch .LBB30_76
.LBB30_58:
.LBB30_59:
	v_lshlrev_b32_e32 v8, 4, v4
	v_sub_co_u32_e32 v10, vcc, v6, v8
	s_ashr_i32 s23, s22, 31
	s_nop 0
	v_subbrev_co_u32_e32 v11, vcc, 0, v7, vcc
	s_movk_i32 s20, 0xfdf0
	v_or_b32_e32 v9, 32, v4
	v_lshl_add_u64 v[10:11], s[22:23], 4, v[10:11]
	s_mov_b32 s21, -1
	v_lshl_add_u64 v[10:11], v[10:11], 0, s[20:21]
	v_cmp_gt_i32_e32 vcc, s22, v9
	s_sub_i32 s25, s22, 32
	v_mul_u32_u24_e32 v9, 33, v5
	v_cndmask_b32_e32 v11, v11, v7, vcc
	v_cndmask_b32_e32 v10, v10, v6, vcc
	v_cmp_le_i32_e64 s[20:21], s25, v5
	v_add_lshl_u32 v9, v9, v4, 4
	s_and_saveexec_b64 s[40:41], s[20:21]
	s_xor_b64 s[20:21], exec, s[40:41]
	s_cbranch_execz .LBB30_61
; %bb.60:
	v_mov_b32_e32 v20, 0
	v_mov_b32_e32 v21, v20
	;; [unrolled: 1-line block ×4, first 2 shown]
	ds_write_b128 v9, v[20:23]
.LBB30_61:
	s_andn2_saveexec_b64 s[20:21], s[20:21]
	s_cbranch_execz .LBB30_63
; %bb.62:
	global_load_dwordx4 v[20:23], v[10:11], off
	s_waitcnt vmcnt(0)
	ds_write2_b64 v9, v[20:21], v[22:23] offset1:1
.LBB30_63:
	s_or_b64 exec, exec, s[20:21]
	v_add_u32_e32 v20, 8, v5
	v_cmp_le_i32_e64 s[20:21], s25, v20
	s_and_saveexec_b64 s[40:41], s[20:21]
	s_xor_b64 s[20:21], exec, s[40:41]
	s_cbranch_execz .LBB30_65
; %bb.64:
	v_mul_u32_u24_e32 v20, 33, v20
	v_add_lshl_u32 v24, v20, v4, 4
	v_mov_b32_e32 v20, 0
	v_mov_b32_e32 v21, v20
	;; [unrolled: 1-line block ×4, first 2 shown]
	ds_write_b128 v24, v[20:23]
.LBB30_65:
	s_andn2_saveexec_b64 s[20:21], s[20:21]
	s_cbranch_execz .LBB30_67
; %bb.66:
	s_lshl_b32 s40, s24, 3
	s_ashr_i32 s41, s40, 31
	v_lshl_add_u64 v[20:21], s[40:41], 4, v[10:11]
	global_load_dwordx4 v[20:23], v[20:21], off
	v_add_u32_e32 v24, 0x1080, v9
	s_waitcnt vmcnt(0)
	ds_write2_b64 v24, v[20:21], v[22:23] offset1:1
.LBB30_67:
	s_or_b64 exec, exec, s[20:21]
	v_add_u32_e32 v20, 16, v5
	v_cmp_le_i32_e64 s[20:21], s25, v20
	s_and_saveexec_b64 s[40:41], s[20:21]
	s_xor_b64 s[20:21], exec, s[40:41]
	s_cbranch_execz .LBB30_69
; %bb.68:
	v_mul_u32_u24_e32 v20, 33, v20
	v_add_lshl_u32 v24, v20, v4, 4
	v_mov_b32_e32 v20, 0
	v_mov_b32_e32 v21, v20
	;; [unrolled: 1-line block ×4, first 2 shown]
	ds_write_b128 v24, v[20:23]
.LBB30_69:
	s_andn2_saveexec_b64 s[20:21], s[20:21]
	s_cbranch_execz .LBB30_71
; %bb.70:
	s_lshl_b32 s40, s24, 4
	s_ashr_i32 s41, s40, 31
	v_lshl_add_u64 v[20:21], s[40:41], 4, v[10:11]
	global_load_dwordx4 v[20:23], v[20:21], off
	v_add_u32_e32 v24, 0x2100, v9
	s_waitcnt vmcnt(0)
	ds_write2_b64 v24, v[20:21], v[22:23] offset1:1
.LBB30_71:
	s_or_b64 exec, exec, s[20:21]
	v_add_u32_e32 v20, 24, v5
	v_cmp_le_i32_e64 s[20:21], s25, v20
	s_and_saveexec_b64 s[40:41], s[20:21]
	s_xor_b64 s[20:21], exec, s[40:41]
	s_cbranch_execz .LBB30_73
; %bb.72:
	v_mov_b32_e32 v20, 0
	v_mov_b32_e32 v21, v20
	;; [unrolled: 1-line block ×4, first 2 shown]
	ds_write_b128 v9, v[20:23] offset:12672
                                        ; implicit-def: $vgpr9
.LBB30_73:
	s_andn2_saveexec_b64 s[20:21], s[20:21]
	s_cbranch_execz .LBB30_75
; %bb.74:
	s_mul_i32 s40, s24, 24
	s_ashr_i32 s41, s40, 31
	v_lshl_add_u64 v[20:21], s[40:41], 4, v[10:11]
	global_load_dwordx4 v[20:23], v[20:21], off
	v_add_u32_e32 v9, 0x3180, v9
	s_waitcnt vmcnt(0)
	ds_write2_b64 v9, v[20:21], v[22:23] offset1:1
.LBB30_75:
	s_or_b64 exec, exec, s[20:21]
	v_mov_b32_e32 v9, 0
	v_lshl_add_u64 v[8:9], v[10:11], 0, v[8:9]
	s_lshl_b64 s[20:21], s[22:23], 4
	v_mov_b32_e32 v10, s21
	v_subrev_co_u32_e64 v8, s[20:21], s20, v8
	s_nop 1
	v_subb_co_u32_e64 v9, s[20:21], v9, v10, s[20:21]
	s_mov_b64 s[20:21], 0x210
	s_nop 0
	v_lshl_add_u64 v[8:9], v[8:9], 0, s[20:21]
	v_cndmask_b32_e32 v7, v9, v7, vcc
	v_cndmask_b32_e32 v6, v8, v6, vcc
.LBB30_76:
	v_add_u32_e32 v10, 0x4700, v19
	s_waitcnt lgkmcnt(0)
	s_barrier
	s_and_saveexec_b64 s[20:21], s[8:9]
	s_xor_b64 s[8:9], exec, s[20:21]
	s_cbranch_execnz .LBB30_89
; %bb.77:
	s_andn2_saveexec_b64 s[8:9], s[8:9]
	s_cbranch_execnz .LBB30_92
.LBB30_78:
	s_or_b64 exec, exec, s[8:9]
	s_and_saveexec_b64 s[8:9], s[10:11]
	s_xor_b64 s[8:9], exec, s[8:9]
	s_cbranch_execnz .LBB30_93
.LBB30_79:
	s_andn2_saveexec_b64 s[8:9], s[8:9]
	s_cbranch_execnz .LBB30_96
.LBB30_80:
	s_or_b64 exec, exec, s[8:9]
	s_and_saveexec_b64 s[8:9], s[12:13]
	s_xor_b64 s[8:9], exec, s[8:9]
	s_cbranch_execnz .LBB30_97
.LBB30_81:
	s_andn2_saveexec_b64 s[8:9], s[8:9]
	s_cbranch_execnz .LBB30_100
.LBB30_82:
	s_or_b64 exec, exec, s[8:9]
	s_and_saveexec_b64 s[8:9], s[14:15]
	s_xor_b64 s[8:9], exec, s[8:9]
	s_cbranch_execnz .LBB30_101
.LBB30_83:
	s_andn2_saveexec_b64 s[8:9], s[8:9]
	s_cbranch_execz .LBB30_85
.LBB30_84:
	ds_read_b128 v[20:23], v12 offset:1056
	s_waitcnt lgkmcnt(0)
	v_xor_b32_e32 v23, 0x80000000, v23
	ds_write_b128 v16, v[20:23] offset:48
.LBB30_85:
	s_or_b64 exec, exec, s[8:9]
	s_waitcnt lgkmcnt(0)
	s_barrier
	ds_read_b128 v[20:23], v10 offset:512
	ds_read_b128 v[24:27], v18
	ds_read_b128 v[28:31], v10 offset:528
	ds_read_b128 v[32:35], v10 offset:544
	;; [unrolled: 1-line block ×3, first 2 shown]
	ds_read_b128 v[50:53], v12
	v_cmp_eq_u32_e64 s[8:9], 1, v5
	s_waitcnt lgkmcnt(4)
	v_mul_f64 v[8:9], v[22:23], v[26:27]
	v_mul_f64 v[14:15], v[20:21], v[26:27]
	v_fma_f64 v[8:9], v[20:21], v[24:25], -v[8:9]
	s_waitcnt lgkmcnt(0)
	v_mul_f64 v[18:19], v[30:31], v[52:53]
	v_fmac_f64_e32 v[14:15], v[22:23], v[24:25]
	v_fma_f64 v[22:23], v[28:29], v[50:51], -v[18:19]
	v_mul_f64 v[24:25], v[28:29], v[52:53]
	ds_read_b128 v[18:21], v12 offset:528
	v_add_f64 v[8:9], v[8:9], 0
	v_add_f64 v[14:15], v[14:15], 0
	v_fmac_f64_e32 v[24:25], v[30:31], v[50:51]
	v_add_f64 v[8:9], v[8:9], v[22:23]
	v_add_f64 v[22:23], v[14:15], v[24:25]
	ds_read_b128 v[12:15], v12 offset:1056
	s_waitcnt lgkmcnt(1)
	v_mul_f64 v[24:25], v[34:35], v[20:21]
	v_mul_f64 v[20:21], v[32:33], v[20:21]
	v_fmac_f64_e32 v[20:21], v[34:35], v[18:19]
	v_fma_f64 v[24:25], v[32:33], v[18:19], -v[24:25]
	v_add_f64 v[18:19], v[22:23], v[20:21]
	s_waitcnt lgkmcnt(0)
	v_mul_f64 v[20:21], v[48:49], v[14:15]
	v_mul_f64 v[14:15], v[46:47], v[14:15]
	v_add_f64 v[8:9], v[8:9], v[24:25]
	v_fma_f64 v[20:21], v[46:47], v[12:13], -v[20:21]
	v_fmac_f64_e32 v[14:15], v[48:49], v[12:13]
	v_add_f64 v[12:13], v[8:9], v[20:21]
	v_add_f64 v[14:15], v[18:19], v[14:15]
	s_barrier
	ds_write_b128 v45, v[12:15]
	s_waitcnt lgkmcnt(0)
	s_barrier
	s_and_saveexec_b64 s[10:11], s[8:9]
	s_cbranch_execz .LBB30_87
; %bb.86:
	v_lshlrev_b32_e32 v11, 4, v44
	ds_read_b128 v[0:3], v11
	ds_read_b128 v[12:15], v11 offset:16
	ds_read_b128 v[18:21], v11 offset:32
	;; [unrolled: 1-line block ×3, first 2 shown]
	s_waitcnt lgkmcnt(2)
	v_add_f64 v[0:1], v[12:13], v[0:1]
	v_add_f64 v[8:9], v[14:15], v[2:3]
	s_waitcnt lgkmcnt(1)
	v_add_f64 v[12:13], v[0:1], v[18:19]
	ds_read_b128 v[0:3], v11 offset:64
	v_add_f64 v[8:9], v[8:9], v[20:21]
	s_waitcnt lgkmcnt(1)
	v_add_f64 v[18:19], v[12:13], v[22:23]
	ds_read_b128 v[12:15], v11 offset:80
	;; [unrolled: 4-line block ×3, first 2 shown]
	v_add_f64 v[8:9], v[8:9], v[2:3]
	ds_read_b128 v[0:3], v11 offset:112
	s_waitcnt lgkmcnt(2)
	v_add_f64 v[12:13], v[22:23], v[12:13]
	v_add_f64 v[8:9], v[8:9], v[14:15]
	s_waitcnt lgkmcnt(1)
	v_add_f64 v[12:13], v[12:13], v[18:19]
	v_add_f64 v[8:9], v[8:9], v[20:21]
	s_waitcnt lgkmcnt(0)
	v_add_f64 v[0:1], v[12:13], v[0:1]
	v_add_f64 v[2:3], v[8:9], v[2:3]
.LBB30_87:
	s_or_b64 exec, exec, s[10:11]
	s_lshl_b64 s[10:11], s[34:35], 4
	v_mov_b32_e32 v8, s11
	v_subrev_co_u32_e64 v40, s[10:11], s10, v6
	s_and_b64 vcc, exec, s[16:17]
	s_nop 0
	v_subb_co_u32_e64 v41, s[10:11], v7, v8, s[10:11]
	s_barrier
	s_cbranch_vccnz .LBB30_104
; %bb.88:
	s_lshl_b32 s10, s24, 3
	s_ashr_i32 s11, s10, 31
	s_ashr_i32 s25, s24, 31
	v_lshl_add_u64 v[6:7], s[10:11], 4, v[40:41]
	s_lshl_b64 s[10:11], s[24:25], 7
	global_load_dwordx4 v[18:21], v[40:41], off
	global_load_dwordx4 v[22:25], v[6:7], off
	v_lshl_add_u64 v[6:7], v[6:7], 0, s[10:11]
	v_lshl_add_u64 v[8:9], v[6:7], 0, s[10:11]
	global_load_dwordx4 v[26:29], v[6:7], off
	global_load_dwordx4 v[30:33], v[8:9], off
	v_mad_u32_u24 v11, v5, 33, v4
	v_add_u32_e32 v12, 8, v5
	v_add_u32_e32 v13, 16, v5
	;; [unrolled: 1-line block ×3, first 2 shown]
	v_lshlrev_b32_e32 v8, 4, v11
	v_add_u32_e32 v7, 0x108, v11
	v_add_u32_e32 v6, 0x210, v11
	;; [unrolled: 1-line block ×6, first 2 shown]
	s_waitcnt vmcnt(3)
	ds_write2_b64 v8, v[18:19], v[20:21] offset1:1
	s_waitcnt vmcnt(2)
	ds_write2_b64 v9, v[22:23], v[24:25] offset1:1
	s_waitcnt vmcnt(1)
	ds_write2_b64 v17, v[26:27], v[28:29] offset1:1
	s_waitcnt vmcnt(0)
	ds_write2_b64 v34, v[30:31], v[32:33] offset1:1
	s_cbranch_execz .LBB30_105
	s_branch .LBB30_122
.LBB30_89:
	v_cmp_eq_u32_e32 vcc, v13, v4
	s_and_saveexec_b64 s[20:21], vcc
	s_cbranch_execz .LBB30_91
; %bb.90:
	v_mul_u32_u24_e32 v8, 34, v4
	v_lshlrev_b32_e32 v11, 4, v8
	v_mov_b32_e32 v8, 0
	v_mov_b32_e32 v9, v8
	ds_write_b64 v11, v[8:9] offset:8
.LBB30_91:
	s_or_b64 exec, exec, s[20:21]
	s_andn2_saveexec_b64 s[8:9], s[8:9]
	s_cbranch_execz .LBB30_78
.LBB30_92:
	ds_read_b128 v[20:23], v18
	s_waitcnt lgkmcnt(0)
	v_xor_b32_e32 v23, 0x80000000, v23
	ds_write_b128 v16, v[20:23]
	s_or_b64 exec, exec, s[8:9]
	s_and_saveexec_b64 s[8:9], s[10:11]
	s_xor_b64 s[8:9], exec, s[8:9]
	s_cbranch_execz .LBB30_79
.LBB30_93:
	v_cmp_eq_u32_e32 vcc, v14, v4
	s_and_saveexec_b64 s[10:11], vcc
	s_cbranch_execz .LBB30_95
; %bb.94:
	v_mul_u32_u24_e32 v8, 34, v4
	v_lshlrev_b32_e32 v11, 4, v8
	v_mov_b32_e32 v8, 0
	v_mov_b32_e32 v9, v8
	ds_write_b64 v11, v[8:9] offset:8
.LBB30_95:
	s_or_b64 exec, exec, s[10:11]
	s_andn2_saveexec_b64 s[8:9], s[8:9]
	s_cbranch_execz .LBB30_80
.LBB30_96:
	ds_read_b128 v[20:23], v12
	s_waitcnt lgkmcnt(0)
	v_xor_b32_e32 v23, 0x80000000, v23
	ds_write_b128 v16, v[20:23] offset:16
	s_or_b64 exec, exec, s[8:9]
	s_and_saveexec_b64 s[8:9], s[12:13]
	s_xor_b64 s[8:9], exec, s[8:9]
	s_cbranch_execz .LBB30_81
.LBB30_97:
	v_cmp_eq_u32_e32 vcc, v15, v4
	s_and_saveexec_b64 s[10:11], vcc
	s_cbranch_execz .LBB30_99
; %bb.98:
	v_mul_u32_u24_e32 v8, 34, v4
	v_lshlrev_b32_e32 v11, 4, v8
	v_mov_b32_e32 v8, 0
	v_mov_b32_e32 v9, v8
	ds_write_b64 v11, v[8:9] offset:8
.LBB30_99:
	s_or_b64 exec, exec, s[10:11]
	s_andn2_saveexec_b64 s[8:9], s[8:9]
	s_cbranch_execz .LBB30_82
.LBB30_100:
	ds_read_b128 v[20:23], v12 offset:528
	s_waitcnt lgkmcnt(0)
	v_xor_b32_e32 v23, 0x80000000, v23
	ds_write_b128 v16, v[20:23] offset:32
	s_or_b64 exec, exec, s[8:9]
	s_and_saveexec_b64 s[8:9], s[14:15]
	s_xor_b64 s[8:9], exec, s[8:9]
	s_cbranch_execz .LBB30_83
.LBB30_101:
	v_cmp_eq_u32_e32 vcc, v17, v4
	s_and_saveexec_b64 s[10:11], vcc
	s_cbranch_execz .LBB30_103
; %bb.102:
	v_mul_u32_u24_e32 v8, 34, v4
	v_lshlrev_b32_e32 v11, 4, v8
	v_mov_b32_e32 v8, 0
	v_mov_b32_e32 v9, v8
	ds_write_b64 v11, v[8:9] offset:8
.LBB30_103:
	s_or_b64 exec, exec, s[10:11]
	s_andn2_saveexec_b64 s[8:9], s[8:9]
	s_cbranch_execnz .LBB30_84
	s_branch .LBB30_85
.LBB30_104:
                                        ; implicit-def: $vgpr11
                                        ; implicit-def: $vgpr12
                                        ; implicit-def: $vgpr7
                                        ; implicit-def: $vgpr13
                                        ; implicit-def: $vgpr6
                                        ; implicit-def: $vgpr14
                                        ; implicit-def: $vgpr15
.LBB30_105:
	v_lshlrev_b32_e32 v6, 4, v4
	v_sub_co_u32_e32 v8, vcc, v40, v6
	s_ashr_i32 s23, s22, 31
	s_nop 0
	v_subbrev_co_u32_e32 v9, vcc, 0, v41, vcc
	s_movk_i32 s10, 0xfdf0
	v_or_b32_e32 v7, 32, v4
	v_lshl_add_u64 v[8:9], s[22:23], 4, v[8:9]
	s_mov_b32 s11, -1
	v_lshl_add_u64 v[8:9], v[8:9], 0, s[10:11]
	v_cmp_gt_i32_e32 vcc, s22, v7
	v_mad_u32_u24 v11, v5, 33, v4
	v_cmp_le_i32_e64 s[10:11], s22, v5
	v_cndmask_b32_e32 v9, v9, v41, vcc
	v_cndmask_b32_e32 v8, v8, v40, vcc
	v_lshlrev_b32_e32 v7, 4, v11
	s_and_saveexec_b64 s[12:13], s[10:11]
	s_xor_b64 s[10:11], exec, s[12:13]
	s_cbranch_execz .LBB30_107
; %bb.106:
	v_mov_b32_e32 v12, 0
	v_mov_b32_e32 v13, v12
	;; [unrolled: 1-line block ×4, first 2 shown]
	ds_write_b128 v7, v[12:15]
.LBB30_107:
	s_andn2_saveexec_b64 s[10:11], s[10:11]
	s_cbranch_execz .LBB30_109
; %bb.108:
	global_load_dwordx4 v[12:15], v[8:9], off
	s_waitcnt vmcnt(0)
	ds_write2_b64 v7, v[12:13], v[14:15] offset1:1
.LBB30_109:
	s_or_b64 exec, exec, s[10:11]
	v_add_u32_e32 v12, 8, v5
	v_cmp_le_i32_e64 s[10:11], s22, v12
	s_and_saveexec_b64 s[12:13], s[10:11]
	s_xor_b64 s[10:11], exec, s[12:13]
	s_cbranch_execz .LBB30_111
; %bb.110:
	v_mul_u32_u24_e32 v13, 33, v12
	v_mov_b32_e32 v18, 0
	v_add_lshl_u32 v13, v13, v4, 4
	v_mov_b32_e32 v19, v18
	v_mov_b32_e32 v20, v18
	;; [unrolled: 1-line block ×3, first 2 shown]
	ds_write_b128 v13, v[18:21]
.LBB30_111:
	s_andn2_saveexec_b64 s[10:11], s[10:11]
	s_cbranch_execz .LBB30_113
; %bb.112:
	s_lshl_b32 s12, s24, 3
	s_ashr_i32 s13, s12, 31
	v_lshl_add_u64 v[14:15], s[12:13], 4, v[8:9]
	global_load_dwordx4 v[18:21], v[14:15], off
	v_add_u32_e32 v13, 0x1080, v7
	s_waitcnt vmcnt(0)
	ds_write2_b64 v13, v[18:19], v[20:21] offset1:1
.LBB30_113:
	s_or_b64 exec, exec, s[10:11]
	v_add_u32_e32 v13, 16, v5
	v_cmp_le_i32_e64 s[10:11], s22, v13
	s_and_saveexec_b64 s[12:13], s[10:11]
	s_xor_b64 s[10:11], exec, s[12:13]
	s_cbranch_execz .LBB30_115
; %bb.114:
	v_mul_u32_u24_e32 v14, 33, v13
	v_mov_b32_e32 v18, 0
	v_add_lshl_u32 v14, v14, v4, 4
	v_mov_b32_e32 v19, v18
	v_mov_b32_e32 v20, v18
	;; [unrolled: 1-line block ×3, first 2 shown]
	ds_write_b128 v14, v[18:21]
.LBB30_115:
	s_andn2_saveexec_b64 s[10:11], s[10:11]
	s_cbranch_execz .LBB30_117
; %bb.116:
	s_lshl_b32 s12, s24, 4
	s_ashr_i32 s13, s12, 31
	v_lshl_add_u64 v[14:15], s[12:13], 4, v[8:9]
	global_load_dwordx4 v[18:21], v[14:15], off
	v_add_u32_e32 v14, 0x2100, v7
	s_waitcnt vmcnt(0)
	ds_write2_b64 v14, v[18:19], v[20:21] offset1:1
.LBB30_117:
	s_or_b64 exec, exec, s[10:11]
	v_add_u32_e32 v14, 24, v5
	v_cmp_le_i32_e64 s[10:11], s22, v14
                                        ; implicit-def: $vgpr15
	s_and_saveexec_b64 s[12:13], s[10:11]
	s_xor_b64 s[10:11], exec, s[12:13]
	s_cbranch_execz .LBB30_119
; %bb.118:
	v_mad_u32_u24 v15, v14, 33, v4
	v_mov_b32_e32 v18, 0
	v_lshlrev_b32_e32 v4, 4, v15
	v_mov_b32_e32 v19, v18
	v_mov_b32_e32 v20, v18
	;; [unrolled: 1-line block ×3, first 2 shown]
	ds_write_b128 v4, v[18:21]
                                        ; implicit-def: $vgpr7
.LBB30_119:
	s_andn2_saveexec_b64 s[10:11], s[10:11]
	s_cbranch_execz .LBB30_121
; %bb.120:
	s_mul_i32 s12, s24, 24
	s_ashr_i32 s13, s12, 31
	v_lshl_add_u64 v[18:19], s[12:13], 4, v[8:9]
	global_load_dwordx4 v[18:21], v[18:19], off
	v_add_u32_e32 v15, 0x318, v11
	v_add_u32_e32 v4, 0x3180, v7
	s_waitcnt vmcnt(0)
	ds_write2_b64 v4, v[18:19], v[20:21] offset1:1
.LBB30_121:
	s_or_b64 exec, exec, s[10:11]
	v_mov_b32_e32 v7, 0
	v_lshl_add_u64 v[6:7], v[8:9], 0, v[6:7]
	s_lshl_b64 s[10:11], s[22:23], 4
	v_mov_b32_e32 v4, s11
	v_subrev_co_u32_e64 v6, s[10:11], s10, v6
	s_nop 1
	v_subb_co_u32_e64 v7, s[10:11], v7, v4, s[10:11]
	s_mov_b64 s[10:11], 0x210
	s_nop 0
	v_lshl_add_u64 v[6:7], v[6:7], 0, s[10:11]
	v_cndmask_b32_e32 v41, v7, v41, vcc
	v_cndmask_b32_e32 v40, v6, v40, vcc
	v_add_u32_e32 v7, 0x108, v11
	v_add_u32_e32 v6, 0x210, v11
.LBB30_122:
	v_lshlrev_b32_e32 v5, 4, v5
	s_waitcnt lgkmcnt(0)
	s_barrier
	v_lshlrev_b32_e32 v4, 4, v11
	ds_read_b128 v[46:49], v5 offset:18176
	ds_read_b128 v[50:53], v4
	v_lshlrev_b32_e32 v5, 4, v12
	v_lshlrev_b32_e32 v4, 4, v7
	ds_read_b128 v[54:57], v5 offset:18176
	ds_read_b128 v[58:61], v4
	v_lshlrev_b32_e32 v7, 4, v13
	;; [unrolled: 4-line block ×3, first 2 shown]
	v_lshlrev_b32_e32 v6, 4, v15
	ds_read_b128 v[70:73], v7 offset:18176
	ds_read_b128 v[74:77], v6
	s_waitcnt lgkmcnt(6)
	v_mul_f64 v[4:5], v[48:49], v[52:53]
	v_fma_f64 v[4:5], v[46:47], v[50:51], -v[4:5]
	s_waitcnt lgkmcnt(4)
	v_mul_f64 v[8:9], v[56:57], v[60:61]
	v_add_f64 v[4:5], v[4:5], 0
	v_fma_f64 v[8:9], v[54:55], v[58:59], -v[8:9]
	s_waitcnt lgkmcnt(2)
	v_mul_f64 v[6:7], v[64:65], v[68:69]
	v_add_f64 v[4:5], v[4:5], v[8:9]
	v_fma_f64 v[6:7], v[62:63], v[66:67], -v[6:7]
	v_add_f64 v[4:5], v[4:5], v[6:7]
	s_waitcnt lgkmcnt(0)
	v_mul_f64 v[6:7], v[72:73], v[76:77]
	v_fma_f64 v[6:7], v[70:71], v[74:75], -v[6:7]
	v_add_f64 v[78:79], v[4:5], v[6:7]
	ds_read_b128 v[28:31], v16
	ds_read_b128 v[20:23], v16 offset:16
	ds_read_b128 v[12:15], v16 offset:32
	;; [unrolled: 1-line block ×7, first 2 shown]
	v_mul_f64 v[46:47], v[46:47], v[52:53]
	v_fmac_f64_e32 v[46:47], v[48:49], v[50:51]
	v_mul_f64 v[48:49], v[54:55], v[60:61]
	v_add_f64 v[46:47], v[46:47], 0
	v_fmac_f64_e32 v[48:49], v[56:57], v[58:59]
	v_add_f64 v[46:47], v[46:47], v[48:49]
	v_mul_f64 v[48:49], v[62:63], v[68:69]
	v_fmac_f64_e32 v[48:49], v[64:65], v[66:67]
	v_add_f64 v[46:47], v[46:47], v[48:49]
	v_mul_f64 v[48:49], v[70:71], v[76:77]
	v_fmac_f64_e32 v[48:49], v[72:73], v[74:75]
	v_add_f64 v[80:81], v[46:47], v[48:49]
	s_waitcnt lgkmcnt(0)
	s_barrier
	ds_write_b128 v45, v[78:81]
	s_waitcnt lgkmcnt(0)
	s_barrier
	s_and_saveexec_b64 s[10:11], s[8:9]
	s_cbranch_execz .LBB30_124
; %bb.123:
	v_lshlrev_b32_e32 v62, 4, v44
	ds_read_b128 v[46:49], v62
	ds_read_b128 v[50:53], v62 offset:16
	ds_read_b128 v[54:57], v62 offset:32
	;; [unrolled: 1-line block ×3, first 2 shown]
	s_waitcnt lgkmcnt(3)
	v_add_f64 v[0:1], v[0:1], v[46:47]
	v_add_f64 v[2:3], v[2:3], v[48:49]
	s_waitcnt lgkmcnt(2)
	v_add_f64 v[0:1], v[0:1], v[50:51]
	v_add_f64 v[46:47], v[2:3], v[52:53]
	s_waitcnt lgkmcnt(1)
	v_add_f64 v[48:49], v[0:1], v[54:55]
	ds_read_b128 v[0:3], v62 offset:64
	v_add_f64 v[46:47], v[46:47], v[56:57]
	s_waitcnt lgkmcnt(1)
	v_add_f64 v[50:51], v[48:49], v[58:59]
	v_add_f64 v[54:55], v[46:47], v[60:61]
	ds_read_b128 v[46:49], v62 offset:80
	s_waitcnt lgkmcnt(1)
	v_add_f64 v[56:57], v[50:51], v[0:1]
	ds_read_b128 v[50:53], v62 offset:96
	v_add_f64 v[54:55], v[54:55], v[2:3]
	ds_read_b128 v[0:3], v62 offset:112
	s_waitcnt lgkmcnt(2)
	v_add_f64 v[46:47], v[56:57], v[46:47]
	v_add_f64 v[48:49], v[54:55], v[48:49]
	s_waitcnt lgkmcnt(1)
	v_add_f64 v[46:47], v[46:47], v[50:51]
	v_add_f64 v[48:49], v[48:49], v[52:53]
	;; [unrolled: 3-line block ×3, first 2 shown]
.LBB30_124:
	s_or_b64 exec, exec, s[10:11]
	v_mul_f64 v[46:47], v[30:31], v[34:35]
	v_mul_f64 v[30:31], v[30:31], v[32:33]
	v_fmac_f64_e32 v[46:47], v[28:29], v[32:33]
	v_fma_f64 v[28:29], v[28:29], v[34:35], -v[30:31]
	v_mul_f64 v[32:33], v[22:23], v[26:27]
	v_mul_f64 v[22:23], v[22:23], v[24:25]
	v_add_f64 v[30:31], v[46:47], 0
	v_add_f64 v[28:29], v[28:29], 0
	v_fmac_f64_e32 v[32:33], v[20:21], v[24:25]
	v_fma_f64 v[20:21], v[20:21], v[26:27], -v[22:23]
	v_mul_f64 v[24:25], v[14:15], v[18:19]
	v_mul_f64 v[14:15], v[14:15], v[16:17]
	v_add_f64 v[22:23], v[30:31], v[32:33]
	v_add_f64 v[20:21], v[28:29], v[20:21]
	;; [unrolled: 6-line block ×3, first 2 shown]
	v_fmac_f64_e32 v[16:17], v[4:5], v[8:9]
	v_fma_f64 v[6:7], v[4:5], v[10:11], -v[6:7]
	v_add_f64 v[4:5], v[14:15], v[16:17]
	v_add_f64 v[6:7], v[12:13], v[6:7]
	s_barrier
	ds_write_b128 v45, v[4:7]
	s_waitcnt lgkmcnt(0)
	s_barrier
	s_and_saveexec_b64 s[8:9], s[6:7]
	s_cbranch_execz .LBB30_126
; %bb.125:
	v_lshlrev_b32_e32 v20, 4, v44
	ds_read_b128 v[4:7], v20
	ds_read_b128 v[8:11], v20 offset:16
	ds_read_b128 v[12:15], v20 offset:32
	;; [unrolled: 1-line block ×3, first 2 shown]
	s_waitcnt lgkmcnt(3)
	v_add_f64 v[0:1], v[0:1], v[4:5]
	v_add_f64 v[2:3], v[2:3], v[6:7]
	s_waitcnt lgkmcnt(2)
	v_add_f64 v[0:1], v[0:1], v[8:9]
	v_add_f64 v[4:5], v[2:3], v[10:11]
	s_waitcnt lgkmcnt(1)
	v_add_f64 v[6:7], v[0:1], v[12:13]
	ds_read_b128 v[0:3], v20 offset:64
	v_add_f64 v[4:5], v[4:5], v[14:15]
	s_waitcnt lgkmcnt(1)
	v_add_f64 v[8:9], v[6:7], v[16:17]
	v_add_f64 v[12:13], v[4:5], v[18:19]
	ds_read_b128 v[4:7], v20 offset:80
	s_waitcnt lgkmcnt(1)
	v_add_f64 v[14:15], v[8:9], v[0:1]
	ds_read_b128 v[8:11], v20 offset:96
	v_add_f64 v[12:13], v[12:13], v[2:3]
	ds_read_b128 v[0:3], v20 offset:112
	s_waitcnt lgkmcnt(2)
	v_add_f64 v[4:5], v[14:15], v[4:5]
	v_add_f64 v[6:7], v[12:13], v[6:7]
	s_waitcnt lgkmcnt(1)
	v_add_f64 v[4:5], v[4:5], v[8:9]
	v_add_f64 v[6:7], v[6:7], v[10:11]
	;; [unrolled: 3-line block ×3, first 2 shown]
.LBB30_126:
	s_or_b64 exec, exec, s[8:9]
	s_load_dwordx2 s[0:1], s[0:1], 0x78
	s_mul_hi_u32 s6, s36, s3
	s_mul_i32 s38, s38, s3
	s_add_i32 s6, s6, s38
	s_mul_i32 s3, s36, s3
	s_mul_i32 s6, s6, s37
	s_mul_hi_u32 s7, s3, s37
	s_add_i32 s7, s7, s6
	s_mul_i32 s6, s3, s37
	s_lshl_b64 s[6:7], s[6:7], 4
	s_waitcnt lgkmcnt(0)
	s_add_u32 s3, s0, s6
	s_mul_i32 s0, s2, s36
	s_addc_u32 s7, s1, s7
	s_ashr_i32 s1, s0, 31
	s_lshl_b64 s[0:1], s[0:1], 4
	s_add_u32 s6, s3, s0
	v_cmp_le_i32_e32 vcc, s22, v42
	s_addc_u32 s7, s7, s1
	s_and_b64 vcc, s[30:31], vcc
	s_cmp_lt_i32 s2, 1
	v_lshlrev_b32_e32 v140, 4, v42
	s_barrier
	s_cbranch_scc1 .LBB30_133
; %bb.127:
	s_mul_i32 s0, s26, s33
	s_ashr_i32 s1, s0, 31
	s_lshl_b64 s[0:1], s[0:1], 4
	v_mov_b32_e32 v4, s1
	v_subrev_co_u32_e64 v134, s[0:1], s0, v36
	s_ashr_i32 s23, s22, 31
	s_nop 0
	v_subb_co_u32_e64 v135, s[0:1], v37, v4, s[0:1]
	v_mov_b32_e32 v4, s29
	v_subrev_co_u32_e64 v6, s[0:1], s28, v40
	v_and_b32_e32 v10, 15, v42
	s_nop 0
	v_subb_co_u32_e64 v7, s[0:1], v41, v4, s[0:1]
	v_lshlrev_b64 v[4:5], 4, v[38:39]
	v_sub_co_u32_e64 v4, s[0:1], v6, v4
	v_mul_lo_u32 v6, v133, s24
	s_nop 0
	v_subb_co_u32_e64 v5, s[0:1], v7, v5, s[0:1]
	v_lshl_add_u32 v6, v6, 2, v42
	v_ashrrev_i32_e32 v7, 31, v6
	s_movk_i32 s0, 0xfe00
	v_lshl_add_u64 v[4:5], v[6:7], 4, v[4:5]
	s_mov_b32 s1, -1
	v_lshl_add_u64 v[6:7], v[4:5], 0, s[0:1]
	v_sub_co_u32_e64 v4, s[0:1], v4, v140
	s_movk_i32 s8, 0x430
	s_nop 0
	v_subbrev_co_u32_e64 v5, s[0:1], 0, v5, s[0:1]
	s_movk_i32 s0, 0xfdf0
	v_lshl_add_u64 v[4:5], s[22:23], 4, v[4:5]
	s_mov_b32 s1, -1
	v_lshl_add_u64 v[4:5], v[4:5], 0, s[0:1]
	v_cndmask_b32_e32 v8, v6, v4, vcc
	v_and_b32_e32 v4, 48, v42
	v_cndmask_b32_e32 v9, v7, v5, vcc
	v_lshlrev_b32_e32 v5, 4, v4
	v_mad_u32_u24 v143, v10, s8, v5
	v_or_b32_e32 v5, 0xf0, v140
	v_mad_u32_u24 v144, v10, s8, v5
	v_lshlrev_b32_e32 v5, 2, v43
	v_and_b32_e32 v5, 0x7ffc0, v5
	v_mad_u32_u24 v145, v10, s8, v5
	v_mov_b32_e32 v5, 0x4300
	s_ashr_i32 s25, s24, 31
	v_lshl_add_u32 v146, v133, 6, v5
	s_movk_i32 s9, 0x10c0
	v_and_b32_e32 v5, 0x1fff0, v43
	v_mov_b32_e32 v137, 0
	s_lshl_b32 s3, s33, 6
	v_add_u32_e32 v141, 0x4300, v140
	v_add_u32_e32 v142, 0x4700, v140
	v_cmp_gt_u32_e64 s[0:1], 64, v43
	v_mad_u32_u24 v147, v133, s9, v140
	v_mad_u32_u24 v148, v10, s8, v5
	s_lshl_b64 s[8:9], s[24:25], 4
	s_mul_hi_i32 s11, s24, 0xd0
	s_mul_i32 s10, s24, 0xd0
	v_or_b32_e32 v136, v4, v10
	s_mov_b32 s12, 0
	s_branch .LBB30_129
.LBB30_128:                             ;   in Loop: Header=BB30_129 Depth=1
	s_or_b64 exec, exec, s[14:15]
	v_mul_f64 v[150:151], v[6:7], v[22:23]
	v_fma_f64 v[150:151], v[4:5], v[20:21], -v[150:151]
	v_mul_f64 v[4:5], v[4:5], v[22:23]
	v_mul_f64 v[22:23], v[10:11], v[42:43]
	v_add_f64 v[0:1], v[0:1], v[150:151]
	v_fma_f64 v[22:23], v[8:9], v[40:41], -v[22:23]
	v_add_f64 v[0:1], v[0:1], v[22:23]
	v_mul_f64 v[22:23], v[14:15], v[46:47]
	v_fma_f64 v[22:23], v[12:13], v[44:45], -v[22:23]
	v_add_f64 v[0:1], v[0:1], v[22:23]
	v_mul_f64 v[22:23], v[18:19], v[50:51]
	v_fmac_f64_e32 v[4:5], v[6:7], v[20:21]
	v_fma_f64 v[22:23], v[16:17], v[48:49], -v[22:23]
	v_add_f64 v[2:3], v[2:3], v[4:5]
	v_mul_f64 v[4:5], v[26:27], v[70:71]
	v_add_f64 v[0:1], v[0:1], v[22:23]
	v_fma_f64 v[4:5], v[24:25], v[68:69], -v[4:5]
	v_add_f64 v[0:1], v[0:1], v[4:5]
	v_mul_f64 v[4:5], v[30:31], v[82:83]
	v_fma_f64 v[4:5], v[28:29], v[80:81], -v[4:5]
	v_add_f64 v[0:1], v[0:1], v[4:5]
	v_mul_f64 v[4:5], v[38:39], v[78:79]
	;; [unrolled: 3-line block ×3, first 2 shown]
	v_fma_f64 v[4:5], v[32:33], v[72:73], -v[4:5]
	v_mul_f64 v[8:9], v[8:9], v[42:43]
	v_add_f64 v[0:1], v[0:1], v[4:5]
	v_mul_f64 v[4:5], v[66:67], v[102:103]
	v_mul_f64 v[12:13], v[12:13], v[46:47]
	v_fmac_f64_e32 v[8:9], v[10:11], v[40:41]
	v_fma_f64 v[4:5], v[64:65], v[100:101], -v[4:5]
	v_mul_f64 v[16:17], v[16:17], v[50:51]
	v_add_f64 v[2:3], v[2:3], v[8:9]
	v_fmac_f64_e32 v[12:13], v[14:15], v[44:45]
	v_add_f64 v[0:1], v[0:1], v[4:5]
	v_mul_f64 v[4:5], v[62:63], v[118:119]
	v_add_f64 v[2:3], v[2:3], v[12:13]
	v_fmac_f64_e32 v[16:17], v[18:19], v[48:49]
	v_mul_f64 v[6:7], v[24:25], v[70:71]
	v_fma_f64 v[4:5], v[60:61], v[116:117], -v[4:5]
	v_add_f64 v[2:3], v[2:3], v[16:17]
	v_mul_f64 v[8:9], v[28:29], v[82:83]
	v_fmac_f64_e32 v[6:7], v[26:27], v[68:69]
	v_add_f64 v[0:1], v[0:1], v[4:5]
	v_mul_f64 v[4:5], v[58:59], v[114:115]
	v_mul_f64 v[10:11], v[36:37], v[78:79]
	v_add_f64 v[2:3], v[2:3], v[6:7]
	v_fmac_f64_e32 v[8:9], v[30:31], v[80:81]
	v_fma_f64 v[4:5], v[56:57], v[112:113], -v[4:5]
	v_mul_f64 v[12:13], v[32:33], v[74:75]
	v_add_f64 v[2:3], v[2:3], v[8:9]
	v_fmac_f64_e32 v[10:11], v[38:39], v[76:77]
	v_add_f64 v[0:1], v[0:1], v[4:5]
	v_mul_f64 v[4:5], v[54:55], v[110:111]
	v_add_f64 v[2:3], v[2:3], v[10:11]
	v_fmac_f64_e32 v[12:13], v[34:35], v[72:73]
	v_mul_f64 v[6:7], v[64:65], v[102:103]
	v_fma_f64 v[4:5], v[52:53], v[108:109], -v[4:5]
	v_add_f64 v[2:3], v[2:3], v[12:13]
	v_mul_f64 v[8:9], v[60:61], v[118:119]
	v_add_f64 v[0:1], v[0:1], v[4:5]
	v_fmac_f64_e32 v[6:7], v[66:67], v[100:101]
	v_mul_f64 v[4:5], v[86:87], v[106:107]
	v_mul_f64 v[10:11], v[56:57], v[114:115]
	v_add_f64 v[2:3], v[2:3], v[6:7]
	v_fmac_f64_e32 v[8:9], v[62:63], v[116:117]
	v_fma_f64 v[4:5], v[84:85], v[104:105], -v[4:5]
	v_mul_f64 v[12:13], v[52:53], v[110:111]
	v_add_f64 v[2:3], v[2:3], v[8:9]
	v_fmac_f64_e32 v[10:11], v[58:59], v[112:113]
	v_add_f64 v[0:1], v[0:1], v[4:5]
	v_mul_f64 v[4:5], v[90:91], v[122:123]
	v_add_f64 v[2:3], v[2:3], v[10:11]
	v_fmac_f64_e32 v[12:13], v[54:55], v[108:109]
	v_mul_f64 v[6:7], v[84:85], v[106:107]
	v_fma_f64 v[4:5], v[88:89], v[120:121], -v[4:5]
	v_add_f64 v[2:3], v[2:3], v[12:13]
	v_mul_f64 v[8:9], v[88:89], v[122:123]
	v_add_f64 v[0:1], v[0:1], v[4:5]
	v_mul_f64 v[4:5], v[94:95], v[126:127]
	v_fmac_f64_e32 v[6:7], v[86:87], v[104:105]
	v_fma_f64 v[4:5], v[92:93], v[124:125], -v[4:5]
	v_mul_f64 v[10:11], v[92:93], v[126:127]
	v_fmac_f64_e32 v[8:9], v[90:91], v[120:121]
	v_add_f64 v[2:3], v[2:3], v[6:7]
	v_add_f64 v[0:1], v[0:1], v[4:5]
	v_mul_f64 v[4:5], v[98:99], v[130:131]
	v_mul_f64 v[12:13], v[96:97], v[130:131]
	v_fmac_f64_e32 v[10:11], v[94:95], v[124:125]
	v_add_f64 v[2:3], v[2:3], v[8:9]
	v_fma_f64 v[4:5], v[96:97], v[128:129], -v[4:5]
	v_fmac_f64_e32 v[12:13], v[98:99], v[128:129]
	v_add_f64 v[2:3], v[2:3], v[10:11]
	s_add_i32 s2, s2, -1
	s_add_i32 s12, s12, s3
	v_add_f64 v[0:1], v[0:1], v[4:5]
	v_add_f64 v[2:3], v[2:3], v[12:13]
	v_add_u32_e32 v136, 64, v136
	s_cmp_eq_u32 s2, 0
	v_lshl_add_u64 v[8:9], v[138:139], 0, s[10:11]
	s_barrier
	s_cbranch_scc1 .LBB30_133
.LBB30_129:                             ; =>This Inner Loop Header: Depth=1
	s_and_saveexec_b64 s[14:15], s[18:19]
	s_cbranch_execz .LBB30_131
; %bb.130:                              ;   in Loop: Header=BB30_129 Depth=1
	s_ashr_i32 s13, s12, 31
	v_lshl_add_u64 v[4:5], s[12:13], 4, v[134:135]
	global_load_dwordx4 v[4:7], v[4:5], off
	s_waitcnt vmcnt(0)
	ds_write2_b64 v141, v[4:5], v[6:7] offset1:1
.LBB30_131:                             ;   in Loop: Header=BB30_129 Depth=1
	s_or_b64 exec, exec, s[14:15]
	s_waitcnt lgkmcnt(0)
	s_barrier
	global_load_dwordx4 v[4:7], v[8:9], off
	v_lshl_add_u64 v[12:13], v[8:9], 0, s[8:9]
	global_load_dwordx4 v[8:11], v[12:13], off
	v_lshl_add_u64 v[16:17], v[12:13], 0, s[8:9]
	;; [unrolled: 2-line block ×3, first 2 shown]
	global_load_dwordx4 v[16:19], v[28:29], off
	ds_read_b128 v[24:27], v142
	ds_read_b128 v[20:23], v146
	v_lshl_add_u64 v[36:37], v[28:29], 0, s[10:11]
	s_waitcnt vmcnt(3) lgkmcnt(1)
	v_mul_f64 v[28:29], v[6:7], v[26:27]
	v_mul_f64 v[30:31], v[6:7], v[24:25]
	v_fmac_f64_e32 v[28:29], v[4:5], v[24:25]
	v_fma_f64 v[30:31], v[4:5], v[26:27], -v[30:31]
	s_waitcnt vmcnt(2)
	v_mul_f64 v[32:33], v[10:11], v[26:27]
	v_mul_f64 v[34:35], v[10:11], v[24:25]
	ds_write_b128 v147, v[28:31]
	v_fmac_f64_e32 v[32:33], v[8:9], v[24:25]
	v_fma_f64 v[34:35], v[8:9], v[26:27], -v[34:35]
	s_waitcnt vmcnt(1)
	v_mul_f64 v[28:29], v[14:15], v[26:27]
	v_mul_f64 v[30:31], v[14:15], v[24:25]
	ds_read_b128 v[40:43], v146 offset:16
	ds_write_b128 v147, v[32:35] offset:1072
	v_fmac_f64_e32 v[28:29], v[12:13], v[24:25]
	v_fma_f64 v[30:31], v[12:13], v[26:27], -v[30:31]
	s_waitcnt vmcnt(0)
	v_mul_f64 v[32:33], v[18:19], v[26:27]
	v_mul_f64 v[34:35], v[18:19], v[24:25]
	ds_read_b128 v[44:47], v146 offset:32
	ds_write_b128 v147, v[28:31] offset:2144
	v_fmac_f64_e32 v[32:33], v[16:17], v[24:25]
	v_fma_f64 v[34:35], v[16:17], v[26:27], -v[34:35]
	ds_read_b128 v[48:51], v146 offset:48
	ds_write_b128 v147, v[32:35] offset:3216
	s_waitcnt lgkmcnt(0)
	s_barrier
	ds_read_b128 v[128:131], v145
	ds_read_b128 v[124:127], v145 offset:16
	ds_read_b128 v[120:123], v145 offset:32
	;; [unrolled: 1-line block ×3, first 2 shown]
	s_waitcnt lgkmcnt(0)
	s_barrier
	global_load_dwordx4 v[24:27], v[36:37], off
	v_lshl_add_u64 v[32:33], v[36:37], 0, s[8:9]
	global_load_dwordx4 v[28:31], v[32:33], off
	v_lshl_add_u64 v[32:33], v[32:33], 0, s[8:9]
	;; [unrolled: 2-line block ×3, first 2 shown]
	global_load_dwordx4 v[32:35], v[56:57], off
	ds_read_b128 v[52:55], v142
	ds_read_b128 v[68:71], v146 offset:256
	v_lshl_add_u64 v[88:89], v[56:57], 0, s[10:11]
	v_add_f64 v[128:129], v[128:129], 0
	v_add_f64 v[130:131], v[130:131], 0
	;; [unrolled: 1-line block ×8, first 2 shown]
	s_waitcnt vmcnt(3) lgkmcnt(1)
	v_mul_f64 v[56:57], v[26:27], v[54:55]
	v_mul_f64 v[58:59], v[26:27], v[52:53]
	s_waitcnt vmcnt(2)
	v_mul_f64 v[60:61], v[30:31], v[54:55]
	v_mul_f64 v[62:63], v[30:31], v[52:53]
	v_fmac_f64_e32 v[56:57], v[24:25], v[52:53]
	v_fma_f64 v[58:59], v[24:25], v[54:55], -v[58:59]
	s_waitcnt vmcnt(1)
	v_mul_f64 v[64:65], v[38:39], v[54:55]
	v_mul_f64 v[66:67], v[38:39], v[52:53]
	v_fmac_f64_e32 v[60:61], v[28:29], v[52:53]
	v_fma_f64 v[62:63], v[28:29], v[54:55], -v[62:63]
	ds_write_b128 v147, v[56:59]
	s_waitcnt vmcnt(0)
	v_mul_f64 v[84:85], v[34:35], v[54:55]
	v_mul_f64 v[72:73], v[34:35], v[52:53]
	v_fmac_f64_e32 v[64:65], v[36:37], v[52:53]
	v_fma_f64 v[66:67], v[36:37], v[54:55], -v[66:67]
	ds_read_b128 v[80:83], v146 offset:272
	ds_write_b128 v147, v[60:63] offset:1072
	v_fmac_f64_e32 v[84:85], v[32:33], v[52:53]
	v_fma_f64 v[86:87], v[32:33], v[54:55], -v[72:73]
	ds_read_b128 v[76:79], v146 offset:288
	ds_write_b128 v147, v[64:67] offset:2144
	ds_read_b128 v[72:75], v146 offset:304
	ds_write_b128 v147, v[84:87] offset:3216
	s_waitcnt lgkmcnt(0)
	s_barrier
	ds_read_b128 v[150:153], v145
	ds_read_b128 v[154:157], v145 offset:16
	ds_read_b128 v[158:161], v145 offset:32
	;; [unrolled: 1-line block ×3, first 2 shown]
	s_waitcnt lgkmcnt(0)
	s_barrier
	global_load_dwordx4 v[64:67], v[88:89], off
	v_lshl_add_u64 v[52:53], v[88:89], 0, s[8:9]
	global_load_dwordx4 v[60:63], v[52:53], off
	v_lshl_add_u64 v[52:53], v[52:53], 0, s[8:9]
	;; [unrolled: 2-line block ×3, first 2 shown]
	global_load_dwordx4 v[52:55], v[88:89], off
	ds_read_b128 v[84:87], v142
	ds_read_b128 v[100:103], v146 offset:512
	v_lshl_add_u64 v[138:139], v[88:89], 0, s[10:11]
	v_add_f64 v[104:105], v[150:151], 0
	v_add_f64 v[106:107], v[152:153], 0
	;; [unrolled: 1-line block ×8, first 2 shown]
	s_waitcnt vmcnt(3) lgkmcnt(1)
	v_mul_f64 v[88:89], v[66:67], v[86:87]
	v_mul_f64 v[90:91], v[66:67], v[84:85]
	s_waitcnt vmcnt(2)
	v_mul_f64 v[92:93], v[62:63], v[86:87]
	v_mul_f64 v[94:95], v[62:63], v[84:85]
	v_fmac_f64_e32 v[88:89], v[64:65], v[84:85]
	v_fma_f64 v[90:91], v[64:65], v[86:87], -v[90:91]
	s_waitcnt vmcnt(1)
	v_mul_f64 v[96:97], v[58:59], v[86:87]
	v_mul_f64 v[98:99], v[58:59], v[84:85]
	v_fmac_f64_e32 v[92:93], v[60:61], v[84:85]
	v_fma_f64 v[94:95], v[60:61], v[86:87], -v[94:95]
	ds_write_b128 v147, v[88:91]
	s_waitcnt vmcnt(0)
	v_mul_f64 v[166:167], v[54:55], v[86:87]
	v_mul_f64 v[108:109], v[54:55], v[84:85]
	v_fmac_f64_e32 v[96:97], v[56:57], v[84:85]
	v_fma_f64 v[98:99], v[56:57], v[86:87], -v[98:99]
	ds_read_b128 v[116:119], v146 offset:528
	ds_write_b128 v147, v[92:95] offset:1072
	v_fmac_f64_e32 v[166:167], v[52:53], v[84:85]
	v_fma_f64 v[168:169], v[52:53], v[86:87], -v[108:109]
	ds_read_b128 v[112:115], v146 offset:544
	ds_write_b128 v147, v[96:99] offset:2144
	v_lshl_add_u64 v[92:93], v[138:139], 0, s[8:9]
	ds_read_b128 v[108:111], v146 offset:560
	ds_write_b128 v147, v[166:169] offset:3216
	s_waitcnt lgkmcnt(0)
	s_barrier
	ds_read_b128 v[166:169], v145
	ds_read_b128 v[170:173], v145 offset:16
	ds_read_b128 v[174:177], v145 offset:32
	;; [unrolled: 1-line block ×3, first 2 shown]
	s_waitcnt lgkmcnt(0)
	s_barrier
	global_load_dwordx4 v[84:87], v[138:139], off
	v_lshl_add_u64 v[96:97], v[92:93], 0, s[8:9]
	global_load_dwordx4 v[88:91], v[92:93], off
	v_lshl_add_u64 v[138:139], v[96:97], 0, s[8:9]
	global_load_dwordx4 v[92:95], v[96:97], off
	v_add_f64 v[124:125], v[166:167], 0
	global_load_dwordx4 v[96:99], v[138:139], off
	ds_read_b128 v[120:123], v142
	ds_read_b128 v[104:107], v146 offset:768
	v_add_f64 v[126:127], v[168:169], 0
	v_add_f64 v[124:125], v[124:125], v[170:171]
	;; [unrolled: 1-line block ×7, first 2 shown]
	s_waitcnt vmcnt(3) lgkmcnt(1)
	v_mul_f64 v[124:125], v[86:87], v[122:123]
	v_mul_f64 v[126:127], v[86:87], v[120:121]
	s_waitcnt vmcnt(2)
	v_mul_f64 v[128:129], v[90:91], v[122:123]
	v_mul_f64 v[130:131], v[90:91], v[120:121]
	v_fma_f64 v[126:127], v[84:85], v[122:123], -v[126:127]
	v_fmac_f64_e32 v[124:125], v[84:85], v[120:121]
	s_waitcnt vmcnt(1)
	v_mul_f64 v[158:159], v[94:95], v[122:123]
	v_mul_f64 v[160:161], v[94:95], v[120:121]
	s_waitcnt vmcnt(0)
	v_mul_f64 v[162:163], v[98:99], v[122:123]
	v_mul_f64 v[164:165], v[98:99], v[120:121]
	v_fma_f64 v[130:131], v[88:89], v[122:123], -v[130:131]
	v_fmac_f64_e32 v[128:129], v[88:89], v[120:121]
	ds_write_b128 v147, v[124:127]
	v_fma_f64 v[160:161], v[92:93], v[122:123], -v[160:161]
	v_fmac_f64_e32 v[158:159], v[92:93], v[120:121]
	v_fmac_f64_e32 v[162:163], v[96:97], v[120:121]
	v_fma_f64 v[164:165], v[96:97], v[122:123], -v[164:165]
	ds_read_b128 v[120:123], v146 offset:784
	ds_write_b128 v147, v[128:131] offset:1072
	ds_read_b128 v[124:127], v146 offset:800
	ds_write_b128 v147, v[158:161] offset:2144
	;; [unrolled: 2-line block ×3, first 2 shown]
	s_waitcnt lgkmcnt(0)
	s_barrier
	ds_read_b128 v[158:161], v145
	ds_read_b128 v[162:165], v145 offset:16
	ds_read_b128 v[166:169], v145 offset:32
	;; [unrolled: 1-line block ×3, first 2 shown]
	s_waitcnt lgkmcnt(0)
	s_barrier
	ds_write_b128 v148, v[182:185]
	ds_write_b128 v148, v[150:153] offset:256
	ds_write_b128 v148, v[154:157] offset:512
	v_add_f64 v[150:151], v[158:159], 0
	v_add_f64 v[152:153], v[160:161], 0
	;; [unrolled: 1-line block ×8, first 2 shown]
	ds_write_b128 v148, v[150:153] offset:768
	s_waitcnt lgkmcnt(0)
	s_barrier
	s_and_saveexec_b64 s[14:15], s[0:1]
	s_cbranch_execz .LBB30_128
; %bb.132:                              ;   in Loop: Header=BB30_129 Depth=1
	ds_read_b128 v[150:153], v143
	ds_read_b128 v[154:157], v143 offset:16
	ds_read_b128 v[158:161], v143 offset:32
	ds_read_b128 v[162:165], v143 offset:48
	s_waitcnt lgkmcnt(2)
	v_add_f64 v[150:151], v[154:155], v[150:151]
	v_add_f64 v[154:155], v[156:157], v[152:153]
	s_waitcnt lgkmcnt(1)
	v_add_f64 v[156:157], v[150:151], v[158:159]
	ds_read_b128 v[150:153], v143 offset:64
	v_add_f64 v[158:159], v[154:155], v[160:161]
	s_waitcnt lgkmcnt(1)
	v_add_f64 v[160:161], v[156:157], v[162:163]
	ds_read_b128 v[154:157], v143 offset:80
	;; [unrolled: 4-line block ×9, first 2 shown]
	v_add_f64 v[152:153], v[162:163], v[152:153]
	s_waitcnt lgkmcnt(1)
	v_add_f64 v[154:155], v[150:151], v[154:155]
	v_add_f64 v[162:163], v[152:153], v[156:157]
	ds_read_b128 v[150:153], v143 offset:208
	s_waitcnt lgkmcnt(1)
	v_add_f64 v[164:165], v[154:155], v[158:159]
	ds_read_b128 v[154:157], v143 offset:224
	v_add_f64 v[162:163], v[162:163], v[160:161]
	ds_read_b128 v[158:161], v144
	s_waitcnt lgkmcnt(2)
	v_add_f64 v[150:151], v[164:165], v[150:151]
	v_add_f64 v[152:153], v[162:163], v[152:153]
	s_waitcnt lgkmcnt(1)
	v_add_f64 v[150:151], v[150:151], v[154:155]
	v_add_f64 v[152:153], v[152:153], v[156:157]
	;; [unrolled: 3-line block ×3, first 2 shown]
	v_lshl_add_u64 v[154:155], v[136:137], 4, s[6:7]
	global_store_dwordx4 v[154:155], v[150:153], off
	s_branch .LBB30_128
.LBB30_133:
	s_movk_i32 s0, 0x430
	v_mad_u32_u24 v4, v133, s0, v140
	s_or_b64 s[0:1], s[4:5], vcc
	s_xor_b64 s[0:1], s[0:1], -1
	ds_write_b128 v4, v[0:3]
	s_waitcnt lgkmcnt(0)
	s_barrier
	s_and_saveexec_b64 s[2:3], s[0:1]
	s_cbranch_execz .LBB30_135
; %bb.134:
	ds_read_b128 v[0:3], v140 offset:1072
	ds_read_b128 v[4:7], v140
	ds_read_b128 v[8:11], v140 offset:2144
	ds_read_b128 v[12:15], v140 offset:3216
	v_ashrrev_i32_e32 v133, 31, v132
	s_waitcnt lgkmcnt(2)
	v_add_f64 v[0:1], v[0:1], v[4:5]
	v_add_f64 v[2:3], v[2:3], v[6:7]
	s_waitcnt lgkmcnt(1)
	v_add_f64 v[0:1], v[0:1], v[8:9]
	v_add_f64 v[2:3], v[2:3], v[10:11]
	s_waitcnt lgkmcnt(0)
	v_add_f64 v[0:1], v[0:1], v[12:13]
	v_add_f64 v[2:3], v[2:3], v[14:15]
	v_lshl_add_u64 v[4:5], v[132:133], 4, s[6:7]
	global_store_dwordx4 v[4:5], v[0:3], off
.LBB30_135:
	s_endpgm
	.section	.rodata,"a",@progbits
	.p2align	6, 0x0
	.amdhsa_kernel _ZL26rocblas_hemvn_kernel_lowerILb1ELi64ELi4ELi33ELi32ELi16Ei19rocblas_complex_numIdEPKS1_PS1_EviT6_lT7_lT5_lS6_lS7_lS5_lT8_i
		.amdhsa_group_segment_fixed_size 19200
		.amdhsa_private_segment_fixed_size 0
		.amdhsa_kernarg_size 392
		.amdhsa_user_sgpr_count 2
		.amdhsa_user_sgpr_dispatch_ptr 0
		.amdhsa_user_sgpr_queue_ptr 0
		.amdhsa_user_sgpr_kernarg_segment_ptr 1
		.amdhsa_user_sgpr_dispatch_id 0
		.amdhsa_user_sgpr_kernarg_preload_length 0
		.amdhsa_user_sgpr_kernarg_preload_offset 0
		.amdhsa_user_sgpr_private_segment_size 0
		.amdhsa_uses_dynamic_stack 0
		.amdhsa_enable_private_segment 0
		.amdhsa_system_sgpr_workgroup_id_x 1
		.amdhsa_system_sgpr_workgroup_id_y 0
		.amdhsa_system_sgpr_workgroup_id_z 1
		.amdhsa_system_sgpr_workgroup_info 0
		.amdhsa_system_vgpr_workitem_id 1
		.amdhsa_next_free_vgpr 186
		.amdhsa_next_free_sgpr 42
		.amdhsa_accum_offset 188
		.amdhsa_reserve_vcc 1
		.amdhsa_float_round_mode_32 0
		.amdhsa_float_round_mode_16_64 0
		.amdhsa_float_denorm_mode_32 3
		.amdhsa_float_denorm_mode_16_64 3
		.amdhsa_dx10_clamp 1
		.amdhsa_ieee_mode 1
		.amdhsa_fp16_overflow 0
		.amdhsa_tg_split 0
		.amdhsa_exception_fp_ieee_invalid_op 0
		.amdhsa_exception_fp_denorm_src 0
		.amdhsa_exception_fp_ieee_div_zero 0
		.amdhsa_exception_fp_ieee_overflow 0
		.amdhsa_exception_fp_ieee_underflow 0
		.amdhsa_exception_fp_ieee_inexact 0
		.amdhsa_exception_int_div_zero 0
	.end_amdhsa_kernel
	.section	.text._ZL26rocblas_hemvn_kernel_lowerILb1ELi64ELi4ELi33ELi32ELi16Ei19rocblas_complex_numIdEPKS1_PS1_EviT6_lT7_lT5_lS6_lS7_lS5_lT8_i,"axG",@progbits,_ZL26rocblas_hemvn_kernel_lowerILb1ELi64ELi4ELi33ELi32ELi16Ei19rocblas_complex_numIdEPKS1_PS1_EviT6_lT7_lT5_lS6_lS7_lS5_lT8_i,comdat
.Lfunc_end30:
	.size	_ZL26rocblas_hemvn_kernel_lowerILb1ELi64ELi4ELi33ELi32ELi16Ei19rocblas_complex_numIdEPKS1_PS1_EviT6_lT7_lT5_lS6_lS7_lS5_lT8_i, .Lfunc_end30-_ZL26rocblas_hemvn_kernel_lowerILb1ELi64ELi4ELi33ELi32ELi16Ei19rocblas_complex_numIdEPKS1_PS1_EviT6_lT7_lT5_lS6_lS7_lS5_lT8_i
                                        ; -- End function
	.section	.AMDGPU.csdata,"",@progbits
; Kernel info:
; codeLenInByte = 9392
; NumSgprs: 48
; NumVgprs: 186
; NumAgprs: 0
; TotalNumVgprs: 186
; ScratchSize: 0
; MemoryBound: 0
; FloatMode: 240
; IeeeMode: 1
; LDSByteSize: 19200 bytes/workgroup (compile time only)
; SGPRBlocks: 5
; VGPRBlocks: 23
; NumSGPRsForWavesPerEU: 48
; NumVGPRsForWavesPerEU: 186
; AccumOffset: 188
; Occupancy: 2
; WaveLimiterHint : 1
; COMPUTE_PGM_RSRC2:SCRATCH_EN: 0
; COMPUTE_PGM_RSRC2:USER_SGPR: 2
; COMPUTE_PGM_RSRC2:TRAP_HANDLER: 0
; COMPUTE_PGM_RSRC2:TGID_X_EN: 1
; COMPUTE_PGM_RSRC2:TGID_Y_EN: 0
; COMPUTE_PGM_RSRC2:TGID_Z_EN: 1
; COMPUTE_PGM_RSRC2:TIDIG_COMP_CNT: 1
; COMPUTE_PGM_RSRC3_GFX90A:ACCUM_OFFSET: 46
; COMPUTE_PGM_RSRC3_GFX90A:TG_SPLIT: 0
	.section	.text._ZL36rocblas_hemvn_kernel_lower_block_sumILi64Ei19rocblas_complex_numIdEPS1_S1_EviT1_lS3_lT2_lT0_lPT3_i,"axG",@progbits,_ZL36rocblas_hemvn_kernel_lower_block_sumILi64Ei19rocblas_complex_numIdEPS1_S1_EviT1_lS3_lT2_lT0_lPT3_i,comdat
	.globl	_ZL36rocblas_hemvn_kernel_lower_block_sumILi64Ei19rocblas_complex_numIdEPS1_S1_EviT1_lS3_lT2_lT0_lPT3_i ; -- Begin function _ZL36rocblas_hemvn_kernel_lower_block_sumILi64Ei19rocblas_complex_numIdEPS1_S1_EviT1_lS3_lT2_lT0_lPT3_i
	.p2align	8
	.type	_ZL36rocblas_hemvn_kernel_lower_block_sumILi64Ei19rocblas_complex_numIdEPS1_S1_EviT1_lS3_lT2_lT0_lPT3_i,@function
_ZL36rocblas_hemvn_kernel_lower_block_sumILi64Ei19rocblas_complex_numIdEPS1_S1_EviT1_lS3_lT2_lT0_lPT3_i: ; @_ZL36rocblas_hemvn_kernel_lower_block_sumILi64Ei19rocblas_complex_numIdEPS1_S1_EviT1_lS3_lT2_lT0_lPT3_i
; %bb.0:
	s_load_dwordx4 s[12:15], s[0:1], 0x8
	s_load_dwordx4 s[8:11], s[0:1], 0x20
	s_waitcnt lgkmcnt(0)
	v_cmp_neq_f64_e64 s[4:5], s[12:13], 0
	v_cmp_neq_f64_e64 s[6:7], s[14:15], 0
	s_or_b64 s[4:5], s[4:5], s[6:7]
	s_mov_b64 s[6:7], -1
	s_and_b64 vcc, exec, s[4:5]
	s_cbranch_vccnz .LBB31_2
; %bb.1:
	v_cmp_neq_f64_e64 s[6:7], s[8:9], 1.0
	v_cmp_neq_f64_e64 s[16:17], s[10:11], 0
	s_or_b64 s[6:7], s[6:7], s[16:17]
.LBB31_2:
	s_andn2_b64 vcc, exec, s[6:7]
	s_cbranch_vccnz .LBB31_22
; %bb.3:
	s_load_dwordx2 s[6:7], s[0:1], 0x50
	s_load_dword s24, s[0:1], 0x48
	s_load_dwordx4 s[20:23], s[0:1], 0x38
	s_load_dword s18, s[0:1], 0x0
	s_xor_b64 s[4:5], s[4:5], -1
	s_waitcnt lgkmcnt(0)
	s_mul_i32 s7, s3, s7
	s_mul_hi_u32 s16, s3, s6
	s_add_i32 s7, s16, s7
	s_mul_i32 s6, s3, s6
	s_lshl_b64 s[6:7], s[6:7], 4
	s_add_u32 s16, s20, s6
	s_addc_u32 s17, s21, s7
	s_lshl_b64 s[6:7], s[22:23], 4
	s_add_u32 s6, s16, s6
	v_lshl_or_b32 v8, s2, 6, v0
	s_addc_u32 s7, s17, s7
	s_andn2_b64 vcc, exec, s[4:5]
	v_cmp_gt_i32_e64 s[4:5], s18, v8
	s_cbranch_vccnz .LBB31_8
; %bb.4:
	s_mov_b64 s[20:21], 0
	s_mov_b64 s[16:17], 0
                                        ; implicit-def: $vgpr2_vgpr3
                                        ; implicit-def: $vgpr4_vgpr5
	s_and_saveexec_b64 s[22:23], s[4:5]
	s_cbranch_execz .LBB31_9
; %bb.5:
	v_cmp_neq_f64_e64 s[4:5], s[8:9], 0
	v_cmp_neq_f64_e64 s[16:17], s[10:11], 0
	v_mov_b64_e32 v[2:3], 0
	v_mul_lo_u32 v4, v8, s24
	s_or_b64 s[4:5], s[4:5], s[16:17]
	v_ashrrev_i32_e32 v5, 31, v4
	s_andn2_b64 vcc, exec, s[4:5]
	v_mov_b64_e32 v[0:1], v[2:3]
	s_cbranch_vccnz .LBB31_7
; %bb.6:
	v_lshl_add_u64 v[0:1], v[4:5], 4, s[6:7]
	global_load_dwordx4 v[10:13], v[0:1], off
	s_waitcnt vmcnt(0)
	v_mul_f64 v[0:1], s[10:11], v[12:13]
	v_mul_f64 v[2:3], s[8:9], v[12:13]
	v_fma_f64 v[0:1], s[8:9], v[10:11], -v[0:1]
	v_fmac_f64_e32 v[2:3], s[10:11], v[10:11]
.LBB31_7:
	s_mov_b64 s[16:17], exec
	s_or_b64 exec, exec, s[22:23]
	s_and_b64 vcc, exec, s[20:21]
	s_cbranch_vccnz .LBB31_10
	s_branch .LBB31_20
.LBB31_8:
	s_mov_b64 s[16:17], 0
                                        ; implicit-def: $vgpr2_vgpr3
                                        ; implicit-def: $vgpr4_vgpr5
	s_cbranch_execnz .LBB31_10
	s_branch .LBB31_20
.LBB31_9:
	s_or_b64 exec, exec, s[22:23]
	s_and_b64 vcc, exec, s[20:21]
	s_cbranch_vccz .LBB31_20
.LBB31_10:
	v_cmp_gt_i32_e32 vcc, s18, v8
                                        ; implicit-def: $vgpr2_vgpr3
                                        ; implicit-def: $vgpr4_vgpr5
	s_and_saveexec_b64 s[4:5], vcc
	s_cbranch_execz .LBB31_19
; %bb.11:
	s_load_dword s20, s[0:1], 0x68
	v_mov_b64_e32 v[0:1], 0
	v_mov_b64_e32 v[6:7], v[0:1]
	s_waitcnt lgkmcnt(0)
	s_cmp_ge_i32 s2, s20
	s_cbranch_scc1 .LBB31_14
; %bb.12:
	s_ashr_i32 s19, s18, 31
	s_mul_i32 s21, s2, s18
	s_load_dwordx2 s[0:1], s[0:1], 0x58
	v_add_u32_e32 v0, s21, v8
	s_mul_hi_u32 s21, s18, s3
	s_mul_i32 s22, s19, s3
	s_add_i32 s21, s21, s22
	s_mul_i32 s3, s18, s3
	s_mul_i32 s21, s21, s20
	s_mul_hi_u32 s22, s3, s20
	s_add_i32 s23, s22, s21
	s_mul_i32 s22, s3, s20
	s_lshl_b64 s[22:23], s[22:23], 4
	s_waitcnt lgkmcnt(0)
	s_add_u32 s0, s0, s22
	v_ashrrev_i32_e32 v1, 31, v0
	s_addc_u32 s1, s1, s23
	v_lshl_add_u64 v[0:1], v[0:1], 4, s[0:1]
	v_lshl_add_u64 v[2:3], v[0:1], 0, 8
	v_mov_b64_e32 v[0:1], 0
	s_lshl_b64 s[0:1], s[18:19], 4
	v_mov_b64_e32 v[6:7], v[0:1]
.LBB31_13:                              ; =>This Inner Loop Header: Depth=1
	global_load_dwordx4 v[10:13], v[2:3], off offset:-8
	s_add_i32 s2, s2, 1
	v_lshl_add_u64 v[2:3], v[2:3], 0, s[0:1]
	s_cmp_ge_i32 s2, s20
	s_waitcnt vmcnt(0)
	v_add_f64 v[6:7], v[6:7], v[10:11]
	v_add_f64 v[0:1], v[0:1], v[12:13]
	s_cbranch_scc0 .LBB31_13
.LBB31_14:
	v_cmp_neq_f64_e64 s[2:3], s[8:9], 0
	v_cmp_neq_f64_e64 s[18:19], s[10:11], 0
	s_or_b64 s[2:3], s[2:3], s[18:19]
	v_mul_f64 v[10:11], s[14:15], v[0:1]
	v_mul_f64 v[2:3], s[12:13], v[0:1]
	v_mul_lo_u32 v4, v8, s24
	s_mov_b64 s[0:1], 0
	s_andn2_b64 vcc, exec, s[2:3]
	v_fma_f64 v[0:1], s[12:13], v[6:7], -v[10:11]
	v_fmac_f64_e32 v[2:3], s[14:15], v[6:7]
	v_ashrrev_i32_e32 v5, 31, v4
	s_cbranch_vccnz .LBB31_16
; %bb.15:
	s_mov_b64 s[0:1], -1
.LBB31_16:
	s_andn2_b64 vcc, exec, s[0:1]
	s_cbranch_vccnz .LBB31_18
; %bb.17:
	v_lshl_add_u64 v[6:7], v[4:5], 4, s[6:7]
	global_load_dwordx4 v[6:9], v[6:7], off
	s_waitcnt vmcnt(0)
	v_mul_f64 v[10:11], s[10:11], v[8:9]
	v_mul_f64 v[8:9], s[8:9], v[8:9]
	v_fma_f64 v[10:11], s[8:9], v[6:7], -v[10:11]
	v_fmac_f64_e32 v[8:9], s[10:11], v[6:7]
	v_add_f64 v[0:1], v[0:1], v[10:11]
	v_add_f64 v[2:3], v[2:3], v[8:9]
.LBB31_18:
	s_or_b64 s[16:17], s[16:17], exec
.LBB31_19:
	s_or_b64 exec, exec, s[4:5]
.LBB31_20:
	s_and_saveexec_b64 s[0:1], s[16:17]
	s_cbranch_execz .LBB31_22
; %bb.21:
	v_lshl_add_u64 v[4:5], v[4:5], 4, s[6:7]
	global_store_dwordx4 v[4:5], v[0:3], off
.LBB31_22:
	s_endpgm
	.section	.rodata,"a",@progbits
	.p2align	6, 0x0
	.amdhsa_kernel _ZL36rocblas_hemvn_kernel_lower_block_sumILi64Ei19rocblas_complex_numIdEPS1_S1_EviT1_lS3_lT2_lT0_lPT3_i
		.amdhsa_group_segment_fixed_size 0
		.amdhsa_private_segment_fixed_size 0
		.amdhsa_kernarg_size 360
		.amdhsa_user_sgpr_count 2
		.amdhsa_user_sgpr_dispatch_ptr 0
		.amdhsa_user_sgpr_queue_ptr 0
		.amdhsa_user_sgpr_kernarg_segment_ptr 1
		.amdhsa_user_sgpr_dispatch_id 0
		.amdhsa_user_sgpr_kernarg_preload_length 0
		.amdhsa_user_sgpr_kernarg_preload_offset 0
		.amdhsa_user_sgpr_private_segment_size 0
		.amdhsa_uses_dynamic_stack 0
		.amdhsa_enable_private_segment 0
		.amdhsa_system_sgpr_workgroup_id_x 1
		.amdhsa_system_sgpr_workgroup_id_y 0
		.amdhsa_system_sgpr_workgroup_id_z 1
		.amdhsa_system_sgpr_workgroup_info 0
		.amdhsa_system_vgpr_workitem_id 0
		.amdhsa_next_free_vgpr 14
		.amdhsa_next_free_sgpr 25
		.amdhsa_accum_offset 16
		.amdhsa_reserve_vcc 1
		.amdhsa_float_round_mode_32 0
		.amdhsa_float_round_mode_16_64 0
		.amdhsa_float_denorm_mode_32 3
		.amdhsa_float_denorm_mode_16_64 3
		.amdhsa_dx10_clamp 1
		.amdhsa_ieee_mode 1
		.amdhsa_fp16_overflow 0
		.amdhsa_tg_split 0
		.amdhsa_exception_fp_ieee_invalid_op 0
		.amdhsa_exception_fp_denorm_src 0
		.amdhsa_exception_fp_ieee_div_zero 0
		.amdhsa_exception_fp_ieee_overflow 0
		.amdhsa_exception_fp_ieee_underflow 0
		.amdhsa_exception_fp_ieee_inexact 0
		.amdhsa_exception_int_div_zero 0
	.end_amdhsa_kernel
	.section	.text._ZL36rocblas_hemvn_kernel_lower_block_sumILi64Ei19rocblas_complex_numIdEPS1_S1_EviT1_lS3_lT2_lT0_lPT3_i,"axG",@progbits,_ZL36rocblas_hemvn_kernel_lower_block_sumILi64Ei19rocblas_complex_numIdEPS1_S1_EviT1_lS3_lT2_lT0_lPT3_i,comdat
.Lfunc_end31:
	.size	_ZL36rocblas_hemvn_kernel_lower_block_sumILi64Ei19rocblas_complex_numIdEPS1_S1_EviT1_lS3_lT2_lT0_lPT3_i, .Lfunc_end31-_ZL36rocblas_hemvn_kernel_lower_block_sumILi64Ei19rocblas_complex_numIdEPS1_S1_EviT1_lS3_lT2_lT0_lPT3_i
                                        ; -- End function
	.section	.AMDGPU.csdata,"",@progbits
; Kernel info:
; codeLenInByte = 712
; NumSgprs: 31
; NumVgprs: 14
; NumAgprs: 0
; TotalNumVgprs: 14
; ScratchSize: 0
; MemoryBound: 0
; FloatMode: 240
; IeeeMode: 1
; LDSByteSize: 0 bytes/workgroup (compile time only)
; SGPRBlocks: 3
; VGPRBlocks: 1
; NumSGPRsForWavesPerEU: 31
; NumVGPRsForWavesPerEU: 14
; AccumOffset: 16
; Occupancy: 8
; WaveLimiterHint : 0
; COMPUTE_PGM_RSRC2:SCRATCH_EN: 0
; COMPUTE_PGM_RSRC2:USER_SGPR: 2
; COMPUTE_PGM_RSRC2:TRAP_HANDLER: 0
; COMPUTE_PGM_RSRC2:TGID_X_EN: 1
; COMPUTE_PGM_RSRC2:TGID_Y_EN: 0
; COMPUTE_PGM_RSRC2:TGID_Z_EN: 1
; COMPUTE_PGM_RSRC2:TIDIG_COMP_CNT: 0
; COMPUTE_PGM_RSRC3_GFX90A:ACCUM_OFFSET: 3
; COMPUTE_PGM_RSRC3_GFX90A:TG_SPLIT: 0
	.section	.text._ZL26rocblas_hemvn_kernel_upperILb1ELi64ELi4ELi33ELi32ELi16ElPK19rocblas_complex_numIfEPKS3_PS1_EviT6_lT7_lT5_lS8_lS9_lS7_lT8_i,"axG",@progbits,_ZL26rocblas_hemvn_kernel_upperILb1ELi64ELi4ELi33ELi32ELi16ElPK19rocblas_complex_numIfEPKS3_PS1_EviT6_lT7_lT5_lS8_lS9_lS7_lT8_i,comdat
	.globl	_ZL26rocblas_hemvn_kernel_upperILb1ELi64ELi4ELi33ELi32ELi16ElPK19rocblas_complex_numIfEPKS3_PS1_EviT6_lT7_lT5_lS8_lS9_lS7_lT8_i ; -- Begin function _ZL26rocblas_hemvn_kernel_upperILb1ELi64ELi4ELi33ELi32ELi16ElPK19rocblas_complex_numIfEPKS3_PS1_EviT6_lT7_lT5_lS8_lS9_lS7_lT8_i
	.p2align	8
	.type	_ZL26rocblas_hemvn_kernel_upperILb1ELi64ELi4ELi33ELi32ELi16ElPK19rocblas_complex_numIfEPKS3_PS1_EviT6_lT7_lT5_lS8_lS9_lS7_lT8_i,@function
_ZL26rocblas_hemvn_kernel_upperILb1ELi64ELi4ELi33ELi32ELi16ElPK19rocblas_complex_numIfEPKS3_PS1_EviT6_lT7_lT5_lS8_lS9_lS7_lT8_i: ; @_ZL26rocblas_hemvn_kernel_upperILb1ELi64ELi4ELi33ELi32ELi16ElPK19rocblas_complex_numIfEPKS3_PS1_EviT6_lT7_lT5_lS8_lS9_lS7_lT8_i
; %bb.0:
	s_load_dwordx2 s[4:5], s[0:1], 0x84
	s_add_u32 s12, s0, 0x78
	s_mov_b32 s24, s3
	s_addc_u32 s13, s1, 0
	s_waitcnt lgkmcnt(0)
	s_and_b32 s3, s5, 0xffff
	s_lshr_b32 s5, s4, 16
	s_and_b32 s4, s4, 0xffff
	s_mul_i32 s4, s5, s4
	s_mul_i32 s4, s4, s3
	s_cmpk_lg_i32 s4, 0x100
	s_cbranch_scc1 .LBB32_186
; %bb.1:
	s_load_dwordx8 s[4:11], s[0:1], 0x8
	s_mov_b32 s25, 0
	s_waitcnt lgkmcnt(0)
	s_mul_i32 s3, s24, s7
	s_mul_hi_u32 s7, s24, s6
	s_add_i32 s7, s7, s3
	s_mul_i32 s6, s24, s6
	s_lshl_b64 s[6:7], s[6:7], 3
	s_add_u32 s14, s4, s6
	s_addc_u32 s15, s5, s7
	s_load_dwordx2 s[16:17], s[14:15], 0x0
	s_load_dwordx2 s[26:27], s[0:1], 0x68
	;; [unrolled: 1-line block ×3, first 2 shown]
	s_load_dwordx4 s[4:7], s[0:1], 0x58
	s_waitcnt lgkmcnt(0)
	s_or_b32 s3, s16, s17
	s_bitset0_b32 s3, 31
	s_cmp_lg_u32 s3, 0
	s_cselect_b64 s[14:15], -1, 0
	s_and_b64 vcc, exec, s[14:15]
	s_cbranch_vccnz .LBB32_4
; %bb.2:
	s_mul_i32 s3, s24, s7
	s_mul_hi_u32 s7, s24, s6
	s_add_i32 s7, s7, s3
	s_mul_i32 s6, s24, s6
	s_lshl_b64 s[6:7], s[6:7], 3
	s_add_u32 s4, s4, s6
	s_addc_u32 s5, s5, s7
	s_load_dwordx2 s[4:5], s[4:5], 0x0
	s_mov_b64 s[16:17], 0
	s_waitcnt lgkmcnt(0)
	v_cmp_eq_f32_e64 s[6:7], s4, 1.0
	v_cmp_eq_f32_e64 s[4:5], s5, 0
	s_and_b64 s[4:5], s[6:7], s[4:5]
	s_andn2_b64 vcc, exec, s[4:5]
	s_mov_b64 s[4:5], 0
                                        ; implicit-def: $sgpr6_sgpr7
	s_cbranch_vccz .LBB32_5
; %bb.3:
	s_mov_b64 s[4:5], -1
	s_mov_b64 s[6:7], 0
	s_branch .LBB32_5
.LBB32_4:
	s_mov_b64 s[16:17], -1
	s_mov_b64 s[4:5], 0
                                        ; implicit-def: $sgpr6_sgpr7
.LBB32_5:
	s_and_b64 vcc, exec, s[16:17]
	s_cbranch_vccz .LBB32_7
; %bb.6:
	s_lshl_b64 s[4:5], s[24:25], 3
	s_add_u32 s4, s8, s4
	s_addc_u32 s5, s9, s5
	s_load_dwordx2 s[4:5], s[4:5], 0x0
	s_lshl_b64 s[6:7], s[10:11], 3
	s_waitcnt lgkmcnt(0)
	s_add_u32 s6, s4, s6
	s_addc_u32 s7, s5, s7
	s_mov_b64 s[4:5], -1
.LBB32_7:
	s_andn2_b64 vcc, exec, s[4:5]
	s_cbranch_vccnz .LBB32_186
; %bb.8:
	s_load_dwordx4 s[8:11], s[0:1], 0x38
	s_load_dwordx2 s[16:17], s[0:1], 0x48
	v_cndmask_b32_e64 v1, 0, 1, s[14:15]
	v_cmp_ne_u32_e64 s[4:5], 1, v1
	s_andn2_b64 vcc, exec, s[14:15]
	s_mov_b64 s[14:15], 0
	s_cbranch_vccnz .LBB32_10
; %bb.9:
	s_lshl_b64 s[14:15], s[24:25], 3
	s_waitcnt lgkmcnt(0)
	s_add_u32 s8, s8, s14
	s_addc_u32 s9, s9, s15
	s_load_dwordx2 s[8:9], s[8:9], 0x0
	s_lshl_b64 s[10:11], s[10:11], 3
	s_waitcnt lgkmcnt(0)
	s_add_u32 s14, s8, s10
	s_addc_u32 s15, s9, s11
.LBB32_10:
	s_and_b64 vcc, exec, s[4:5]
	s_cbranch_vccnz .LBB32_186
; %bb.11:
	s_load_dword s3, s[12:13], 0x0
	s_load_dword s25, s[0:1], 0x0
	v_and_b32_e32 v111, 0x3ff, v0
	s_lshl_b32 s28, s2, 6
	v_add_u32_e32 v28, s28, v111
	s_waitcnt lgkmcnt(0)
	s_add_i32 s0, s3, -1
	s_ashr_i32 s36, s25, 31
	s_lshr_b32 s1, s36, 26
	s_add_i32 s1, s25, s1
	s_andn2_b32 s1, s1, 63
	s_sub_i32 s33, s25, s1
	v_ashrrev_i32_e32 v29, 31, v28
	v_bfe_u32 v125, v0, 10, 10
	s_cmp_eq_u32 s2, s0
	v_mul_lo_u32 v2, v29, s16
	v_mul_lo_u32 v3, v28, s17
	v_mad_u64_u32 v[0:1], s[0:1], v28, s16, 0
	v_add3_u32 v1, v1, v3, v2
	s_cselect_b32 s18, s33, 0
	v_lshl_add_u64 v[12:13], v[0:1], 3, s[14:15]
	v_cmp_eq_u32_e64 s[0:1], 0, v125
	s_and_saveexec_b64 s[4:5], s[0:1]
	s_cbranch_execz .LBB32_16
; %bb.12:
	s_cmp_lg_u32 s18, 0
	s_cselect_b64 s[8:9], -1, 0
	v_cmp_le_i32_e32 vcc, s18, v111
	v_mov_b32_e32 v0, 0x2380
	s_and_b64 s[8:9], s[8:9], vcc
	v_lshl_add_u32 v0, v111, 3, v0
	s_and_saveexec_b64 s[10:11], s[8:9]
	s_xor_b64 s[8:9], exec, s[10:11]
	s_cbranch_execz .LBB32_14
; %bb.13:
	v_mov_b32_e32 v2, 0
	v_mov_b32_e32 v3, v2
	ds_write_b64 v0, v[2:3]
                                        ; implicit-def: $vgpr0
.LBB32_14:
	s_andn2_saveexec_b64 s[8:9], s[8:9]
	s_cbranch_execz .LBB32_16
; %bb.15:
	flat_load_dwordx2 v[2:3], v[12:13]
	s_waitcnt vmcnt(0) lgkmcnt(0)
	ds_write_b64 v0, v[2:3]
.LBB32_16:
	s_or_b64 exec, exec, s[4:5]
	s_ashr_i32 s29, s28, 31
	v_lshl_add_u32 v22, v125, 6, v111
	s_lshl_b64 s[4:5], s[28:29], 3
	v_and_b32_e32 v0, 31, v111
	v_lshrrev_b32_e32 v18, 5, v22
	s_add_u32 s6, s6, s4
	v_mov_b32_e32 v1, 0
	s_addc_u32 s7, s7, s5
	v_mad_u64_u32 v[14:15], s[4:5], v18, s22, v[0:1]
	v_mov_b32_e32 v2, v15
	v_mad_u64_u32 v[2:3], s[4:5], v18, s23, v[2:3]
	s_mul_i32 s4, s28, s23
	s_mul_hi_u32 s5, s28, s22
	s_add_i32 s4, s5, s4
	s_mul_i32 s5, s29, s22
	s_add_i32 s5, s4, s5
	s_mul_i32 s4, s28, s22
	s_lshl_b64 s[4:5], s[4:5], 3
	s_add_u32 s4, s4, s6
	s_addc_u32 s5, s5, s7
	s_cmp_eq_u32 s18, 0
	s_cselect_b64 s[20:21], -1, 0
	s_cmp_lg_u32 s18, 0
	v_mov_b32_e32 v15, v2
	s_cselect_b64 s[30:31], -1, 0
	v_lshl_add_u64 v[6:7], v[14:15], 3, s[4:5]
	s_and_b64 vcc, exec, s[30:31]
	v_cmp_gt_i32_e64 s[4:5], s18, v0
	v_lshlrev_b32_e32 v2, 3, v0
	s_mul_i32 s37, s23, 0xc0
	s_cbranch_vccz .LBB32_32
; %bb.17:
	v_sub_co_u32_e32 v4, vcc, v6, v2
	s_ashr_i32 s19, s18, 31
	s_nop 0
	v_subbrev_co_u32_e32 v5, vcc, 0, v7, vcc
	v_lshl_add_u64 v[4:5], s[18:19], 3, v[4:5]
	v_lshl_add_u64 v[4:5], v[4:5], 0, -8
	v_cndmask_b32_e64 v5, v5, v7, s[4:5]
	v_cndmask_b32_e64 v4, v4, v6, s[4:5]
	v_cmp_gt_i32_e32 vcc, s18, v18
	v_mov_b32_e32 v9, 0
	s_and_saveexec_b64 s[6:7], vcc
	s_cbranch_execz .LBB32_19
; %bb.18:
	flat_load_dwordx2 v[8:9], v[4:5]
	s_waitcnt vmcnt(0) lgkmcnt(0)
	v_mov_b32_e32 v1, v8
.LBB32_19:
	s_or_b64 exec, exec, s[6:7]
	v_mul_u32_u24_e32 v3, 33, v18
	v_mov_b32_e32 v8, v1
	v_add_u32_e32 v1, 8, v18
	v_add_lshl_u32 v3, v3, v0, 3
	v_cmp_le_i32_e32 vcc, s18, v1
	ds_write_b64 v3, v[8:9]
	s_and_saveexec_b64 s[6:7], vcc
	s_xor_b64 s[6:7], exec, s[6:7]
	s_cbranch_execz .LBB32_21
; %bb.20:
	v_mul_u32_u24_e32 v1, 33, v1
	v_mov_b32_e32 v8, 0
	v_add_lshl_u32 v1, v1, v0, 3
	v_mov_b32_e32 v9, v8
	ds_write_b64 v1, v[8:9]
.LBB32_21:
	s_andn2_saveexec_b64 s[6:7], s[6:7]
	s_cbranch_execz .LBB32_23
; %bb.22:
	s_lshl_b64 s[8:9], s[22:23], 6
	v_lshl_add_u64 v[8:9], v[4:5], 0, s[8:9]
	flat_load_dwordx2 v[8:9], v[8:9]
	s_waitcnt vmcnt(0) lgkmcnt(0)
	ds_write_b64 v3, v[8:9] offset:2112
.LBB32_23:
	s_or_b64 exec, exec, s[6:7]
	v_add_u32_e32 v1, 16, v18
	v_cmp_le_i32_e32 vcc, s18, v1
	s_and_saveexec_b64 s[6:7], vcc
	s_xor_b64 s[6:7], exec, s[6:7]
	s_cbranch_execz .LBB32_25
; %bb.24:
	v_mov_b32_e32 v8, 0
	v_mov_b32_e32 v9, v8
	ds_write_b64 v3, v[8:9] offset:4224
.LBB32_25:
	s_andn2_saveexec_b64 s[6:7], s[6:7]
	s_cbranch_execz .LBB32_27
; %bb.26:
	s_lshl_b64 s[8:9], s[22:23], 7
	v_lshl_add_u64 v[8:9], v[4:5], 0, s[8:9]
	flat_load_dwordx2 v[8:9], v[8:9]
	s_waitcnt vmcnt(0) lgkmcnt(0)
	ds_write_b64 v3, v[8:9] offset:4224
.LBB32_27:
	s_or_b64 exec, exec, s[6:7]
	v_add_u32_e32 v1, 24, v18
	v_cmp_le_i32_e32 vcc, s18, v1
	s_and_saveexec_b64 s[6:7], vcc
	s_xor_b64 s[6:7], exec, s[6:7]
	s_cbranch_execz .LBB32_29
; %bb.28:
	v_mov_b32_e32 v8, 0
	v_mov_b32_e32 v9, v8
	ds_write_b64 v3, v[8:9] offset:6336
                                        ; implicit-def: $vgpr3
.LBB32_29:
	s_andn2_saveexec_b64 s[6:7], s[6:7]
	s_cbranch_execz .LBB32_31
; %bb.30:
	v_mov_b32_e32 v1, 0xc0
	v_mad_u64_u32 v[8:9], s[8:9], s22, v1, v[4:5]
	v_add_u32_e32 v9, s37, v9
	flat_load_dwordx2 v[8:9], v[8:9]
	s_waitcnt vmcnt(0) lgkmcnt(0)
	ds_write_b64 v3, v[8:9] offset:6336
.LBB32_31:
	s_or_b64 exec, exec, s[6:7]
	v_mov_b32_e32 v3, 0
	v_lshl_add_u64 v[4:5], v[4:5], 0, v[2:3]
	s_lshl_b64 s[6:7], s[18:19], 3
	v_mov_b32_e32 v1, s7
	v_subrev_co_u32_e32 v4, vcc, s6, v4
	s_nop 1
	v_subb_co_u32_e32 v5, vcc, v5, v1, vcc
	v_lshl_add_u64 v[4:5], v[4:5], 0, 8
	v_cndmask_b32_e64 v5, v5, v7, s[4:5]
	v_cndmask_b32_e64 v4, v4, v6, s[4:5]
	v_mul_u32_u24_e32 v1, 33, v18
	s_branch .LBB32_34
.LBB32_32:
                                        ; implicit-def: $vgpr4_vgpr5
	v_mul_u32_u24_e32 v1, 33, v18
	s_cbranch_execz .LBB32_34
; %bb.33:
	flat_load_dwordx2 v[4:5], v[6:7]
	v_add_lshl_u32 v3, v1, v0, 3
	s_lshl_b64 s[4:5], s[22:23], 6
	v_lshl_add_u64 v[8:9], v[6:7], 0, s[4:5]
	s_waitcnt vmcnt(0) lgkmcnt(0)
	ds_write_b64 v3, v[4:5]
	flat_load_dwordx2 v[4:5], v[8:9]
	v_lshl_add_u64 v[8:9], v[8:9], 0, s[4:5]
	s_waitcnt vmcnt(0) lgkmcnt(0)
	ds_write_b64 v3, v[4:5] offset:2112
	flat_load_dwordx2 v[4:5], v[8:9]
	v_mov_b32_e32 v8, 0xc0
	v_mad_u64_u32 v[8:9], s[4:5], s22, v8, v[6:7]
	v_add_u32_e32 v9, s37, v9
	s_waitcnt vmcnt(0) lgkmcnt(0)
	ds_write_b64 v3, v[4:5] offset:4224
	flat_load_dwordx2 v[4:5], v[8:9]
	s_waitcnt vmcnt(0) lgkmcnt(0)
	ds_write_b64 v3, v[4:5] offset:6336
	v_mov_b64_e32 v[4:5], v[6:7]
.LBB32_34:
	v_lshlrev_b32_e32 v21, 2, v18
	v_cmp_le_u32_e64 s[4:5], v21, v0
	s_waitcnt lgkmcnt(0)
	s_barrier
	s_and_saveexec_b64 s[6:7], s[4:5]
	s_xor_b64 s[6:7], exec, s[6:7]
	s_cbranch_execz .LBB32_38
; %bb.35:
	v_cmp_eq_u32_e32 vcc, v21, v0
	s_and_saveexec_b64 s[8:9], vcc
	s_cbranch_execz .LBB32_37
; %bb.36:
	v_mul_u32_u24_e32 v3, 34, v0
	v_lshlrev_b32_e32 v3, 3, v3
	v_mov_b32_e32 v6, 0
	ds_write_b32 v3, v6 offset:4
.LBB32_37:
	s_or_b64 exec, exec, s[8:9]
.LBB32_38:
	s_or_saveexec_b64 s[6:7], s[6:7]
	v_mul_u32_u24_e32 v19, 33, v0
	v_add_lshl_u32 v16, v21, v19, 3
	s_xor_b64 exec, exec, s[6:7]
	s_cbranch_execz .LBB32_40
; %bb.39:
	v_mul_u32_u24_e32 v3, 0x84, v18
	v_add_lshl_u32 v3, v3, v0, 3
	ds_read_b64 v[6:7], v3
	s_waitcnt lgkmcnt(0)
	v_xor_b32_e32 v7, 0x80000000, v7
	ds_write_b64 v16, v[6:7]
.LBB32_40:
	s_or_b64 exec, exec, s[6:7]
	v_or_b32_e32 v17, 1, v21
	v_cmp_ge_u32_e64 s[6:7], v21, v0
	v_mul_u32_u24_e32 v3, 33, v17
	s_and_saveexec_b64 s[8:9], s[6:7]
	s_xor_b64 s[8:9], exec, s[8:9]
	s_cbranch_execz .LBB32_42
; %bb.41:
	v_add_lshl_u32 v6, v3, v0, 3
	ds_read_b64 v[6:7], v6
	s_waitcnt lgkmcnt(0)
	v_xor_b32_e32 v7, 0x80000000, v7
	ds_write_b64 v16, v[6:7] offset:8
.LBB32_42:
	s_andn2_saveexec_b64 s[8:9], s[8:9]
	s_cbranch_execz .LBB32_46
; %bb.43:
	v_cmp_eq_u32_e32 vcc, v17, v0
	s_and_saveexec_b64 s[10:11], vcc
	s_cbranch_execz .LBB32_45
; %bb.44:
	v_mul_u32_u24_e32 v6, 34, v0
	v_lshlrev_b32_e32 v6, 3, v6
	v_mov_b32_e32 v7, 0
	ds_write_b32 v6, v7 offset:4
.LBB32_45:
	s_or_b64 exec, exec, s[10:11]
.LBB32_46:
	s_or_b64 exec, exec, s[8:9]
	v_or_b32_e32 v26, 2, v21
	v_cmp_le_u32_e64 s[8:9], v26, v0
	s_and_saveexec_b64 s[10:11], s[8:9]
	s_xor_b64 s[10:11], exec, s[10:11]
	s_cbranch_execz .LBB32_50
; %bb.47:
	v_cmp_eq_u32_e32 vcc, v26, v0
	s_and_saveexec_b64 s[12:13], vcc
	s_cbranch_execz .LBB32_49
; %bb.48:
	v_mul_u32_u24_e32 v6, 34, v0
	v_lshlrev_b32_e32 v6, 3, v6
	v_mov_b32_e32 v7, 0
	ds_write_b32 v6, v7 offset:4
.LBB32_49:
	s_or_b64 exec, exec, s[12:13]
.LBB32_50:
	s_andn2_saveexec_b64 s[10:11], s[10:11]
	s_cbranch_execz .LBB32_52
; %bb.51:
	v_mul_u32_u24_e32 v6, 33, v26
	v_add_lshl_u32 v6, v6, v0, 3
	ds_read_b64 v[6:7], v6
	s_waitcnt lgkmcnt(0)
	v_xor_b32_e32 v7, 0x80000000, v7
	ds_write_b64 v16, v[6:7] offset:16
.LBB32_52:
	s_or_b64 exec, exec, s[10:11]
	v_or_b32_e32 v27, 3, v21
	v_cmp_le_u32_e64 s[10:11], v27, v0
	s_and_saveexec_b64 s[12:13], s[10:11]
	s_xor_b64 s[12:13], exec, s[12:13]
	s_cbranch_execz .LBB32_56
; %bb.53:
	v_cmp_eq_u32_e32 vcc, v27, v0
	s_and_saveexec_b64 s[14:15], vcc
	s_cbranch_execz .LBB32_55
; %bb.54:
	v_mul_u32_u24_e32 v6, 34, v0
	v_lshlrev_b32_e32 v6, 3, v6
	v_mov_b32_e32 v7, 0
	ds_write_b32 v6, v7 offset:4
.LBB32_55:
	s_or_b64 exec, exec, s[14:15]
.LBB32_56:
	s_andn2_saveexec_b64 s[12:13], s[12:13]
	s_cbranch_execz .LBB32_58
; %bb.57:
	v_mul_u32_u24_e32 v6, 33, v27
	v_add_lshl_u32 v6, v6, v0, 3
	ds_read_b64 v[6:7], v6
	s_waitcnt lgkmcnt(0)
	v_xor_b32_e32 v7, 0x80000000, v7
	ds_write_b64 v16, v[6:7] offset:24
.LBB32_58:
	s_or_b64 exec, exec, s[12:13]
	v_mul_u32_u24_e32 v6, 0x84, v18
	v_lshlrev_b32_e32 v32, 3, v21
	s_waitcnt lgkmcnt(0)
	s_barrier
	v_add_lshl_u32 v20, v6, v0, 3
	v_add_lshl_u32 v25, v3, v0, 3
	ds_read_b128 v[6:9], v32 offset:9088
	ds_read_b64 v[10:11], v20
	ds_read2_b64 v[34:37], v25 offset1:33
	ds_read_b64 v[30:31], v25 offset:528
	ds_read_b128 v[38:41], v32 offset:9104
	s_mov_b32 s14, 0
	s_waitcnt lgkmcnt(3)
	v_pk_mul_f32 v[42:43], v[6:7], v[10:11] op_sel:[0,1]
	s_mov_b32 s15, s14
	v_pk_fma_f32 v[44:45], v[6:7], v[10:11], v[42:43] op_sel:[0,0,1] op_sel_hi:[1,1,0] neg_lo:[0,0,1] neg_hi:[0,0,1]
	v_pk_fma_f32 v[6:7], v[6:7], v[10:11], v[42:43] op_sel:[0,0,1] op_sel_hi:[1,0,0]
	s_waitcnt lgkmcnt(2)
	v_pk_mul_f32 v[10:11], v[8:9], v[34:35] op_sel:[0,1]
	v_mov_b32_e32 v45, v7
	v_pk_fma_f32 v[42:43], v[8:9], v[34:35], v[10:11] op_sel:[0,0,1] op_sel_hi:[1,1,0] neg_lo:[0,0,1] neg_hi:[0,0,1]
	v_pk_fma_f32 v[8:9], v[8:9], v[34:35], v[10:11] op_sel:[0,0,1] op_sel_hi:[1,0,0]
	v_pk_add_f32 v[6:7], v[44:45], 0 op_sel_hi:[1,0]
	v_mov_b32_e32 v43, v9
	s_waitcnt lgkmcnt(0)
	v_pk_mul_f32 v[8:9], v[38:39], v[36:37] op_sel:[0,1]
	v_pk_add_f32 v[6:7], v[6:7], v[42:43]
	v_pk_fma_f32 v[10:11], v[38:39], v[36:37], v[8:9] op_sel:[0,0,1] op_sel_hi:[1,1,0] neg_lo:[0,0,1] neg_hi:[0,0,1]
	v_pk_fma_f32 v[8:9], v[38:39], v[36:37], v[8:9] op_sel:[0,0,1] op_sel_hi:[1,0,0]
	v_add_lshl_u32 v23, v18, v19, 3
	v_mov_b32_e32 v11, v9
	v_pk_mul_f32 v[8:9], v[40:41], v[30:31] op_sel:[0,1]
	v_pk_add_f32 v[6:7], v[6:7], v[10:11]
	v_pk_fma_f32 v[10:11], v[40:41], v[30:31], v[8:9] op_sel:[0,0,1] op_sel_hi:[1,1,0] neg_lo:[0,0,1] neg_hi:[0,0,1]
	v_pk_fma_f32 v[8:9], v[40:41], v[30:31], v[8:9] op_sel:[0,0,1] op_sel_hi:[1,0,0]
	v_cmp_gt_u32_e64 s[12:13], 32, v22
	v_mov_b32_e32 v11, v9
	v_pk_add_f32 v[6:7], v[6:7], v[10:11]
	v_mov_b64_e32 v[30:31], s[14:15]
	v_lshlrev_b32_e32 v24, 3, v19
	s_barrier
	ds_write_b64 v23, v[6:7]
	s_waitcnt lgkmcnt(0)
	s_barrier
	s_and_saveexec_b64 s[14:15], s[12:13]
	s_cbranch_execz .LBB32_60
; %bb.59:
	ds_read2_b64 v[6:9], v24 offset1:7
	ds_read2_b64 v[34:37], v24 offset0:1 offset1:2
	ds_read2_b64 v[38:41], v24 offset0:3 offset1:4
	s_waitcnt lgkmcnt(1)
	v_add_f32_e32 v3, v34, v6
	v_add_f32_e32 v6, v35, v7
	;; [unrolled: 1-line block ×4, first 2 shown]
	ds_read2_b64 v[34:37], v24 offset0:5 offset1:6
	s_waitcnt lgkmcnt(1)
	v_add_f32_e32 v3, v3, v38
	v_add_f32_e32 v6, v6, v39
	;; [unrolled: 1-line block ×4, first 2 shown]
	s_waitcnt lgkmcnt(0)
	v_add_f32_e32 v3, v3, v34
	v_add_f32_e32 v7, v6, v35
	;; [unrolled: 1-line block ×4, first 2 shown]
	v_pk_add_f32 v[30:31], v[6:7], v[8:9]
.LBB32_60:
	s_or_b64 exec, exec, s[14:15]
	s_lshl_b64 s[14:15], s[22:23], 8
	v_lshl_add_u64 v[8:9], v[4:5], 0, s[14:15]
	s_mov_b64 s[14:15], 0x100
	v_lshl_add_u64 v[6:7], v[8:9], 0, s[14:15]
	s_and_b64 vcc, exec, s[30:31]
	s_barrier
	s_cbranch_vccz .LBB32_76
; %bb.61:
	v_or_b32_e32 v3, 32, v0
	v_lshlrev_b32_e32 v4, 3, v3
	v_sub_co_u32_e32 v4, vcc, v6, v4
	s_ashr_i32 s19, s18, 31
	s_nop 0
	v_subbrev_co_u32_e32 v5, vcc, 0, v7, vcc
	v_lshl_add_u64 v[4:5], s[18:19], 3, v[4:5]
	v_lshl_add_u64 v[4:5], v[4:5], 0, -8
	v_cmp_gt_i32_e32 vcc, s18, v3
	s_sub_i32 s38, s18, 32
	v_mov_b32_e32 v10, 0
	v_cndmask_b32_e32 v5, v5, v7, vcc
	v_cndmask_b32_e32 v4, v4, v6, vcc
	v_cmp_gt_i32_e64 s[14:15], s38, v18
	v_mov_b32_e32 v11, v10
	s_and_saveexec_b64 s[34:35], s[14:15]
	s_cbranch_execz .LBB32_63
; %bb.62:
	flat_load_dwordx2 v[10:11], v[4:5]
.LBB32_63:
	s_or_b64 exec, exec, s[34:35]
	v_add_lshl_u32 v3, v1, v0, 3
	s_waitcnt vmcnt(0) lgkmcnt(0)
	ds_write_b64 v3, v[10:11]
	v_add_u32_e32 v10, 8, v18
	v_cmp_le_i32_e64 s[14:15], s38, v10
	s_and_saveexec_b64 s[34:35], s[14:15]
	s_xor_b64 s[14:15], exec, s[34:35]
	s_cbranch_execz .LBB32_65
; %bb.64:
	v_mul_u32_u24_e32 v10, 33, v10
	v_add_lshl_u32 v33, v10, v0, 3
	v_mov_b32_e32 v10, 0
	v_mov_b32_e32 v11, v10
	ds_write_b64 v33, v[10:11]
.LBB32_65:
	s_andn2_saveexec_b64 s[14:15], s[14:15]
	s_cbranch_execz .LBB32_67
; %bb.66:
	s_lshl_b64 s[34:35], s[22:23], 6
	v_lshl_add_u64 v[10:11], v[4:5], 0, s[34:35]
	flat_load_dwordx2 v[10:11], v[10:11]
	s_waitcnt vmcnt(0) lgkmcnt(0)
	ds_write_b64 v3, v[10:11] offset:2112
.LBB32_67:
	s_or_b64 exec, exec, s[14:15]
	v_add_u32_e32 v10, 16, v18
	v_cmp_le_i32_e64 s[14:15], s38, v10
	s_and_saveexec_b64 s[34:35], s[14:15]
	s_xor_b64 s[14:15], exec, s[34:35]
	s_cbranch_execz .LBB32_69
; %bb.68:
	v_mov_b32_e32 v10, 0
	v_mov_b32_e32 v11, v10
	ds_write_b64 v3, v[10:11] offset:4224
.LBB32_69:
	s_andn2_saveexec_b64 s[14:15], s[14:15]
	s_cbranch_execz .LBB32_71
; %bb.70:
	s_lshl_b64 s[34:35], s[22:23], 7
	v_lshl_add_u64 v[10:11], v[4:5], 0, s[34:35]
	flat_load_dwordx2 v[10:11], v[10:11]
	s_waitcnt vmcnt(0) lgkmcnt(0)
	ds_write_b64 v3, v[10:11] offset:4224
.LBB32_71:
	s_or_b64 exec, exec, s[14:15]
	v_add_u32_e32 v10, 24, v18
	v_cmp_le_i32_e64 s[14:15], s38, v10
	s_and_saveexec_b64 s[34:35], s[14:15]
	s_xor_b64 s[14:15], exec, s[34:35]
	s_cbranch_execz .LBB32_73
; %bb.72:
	v_mov_b32_e32 v10, 0
	v_mov_b32_e32 v11, v10
	ds_write_b64 v3, v[10:11] offset:6336
                                        ; implicit-def: $vgpr3
.LBB32_73:
	s_andn2_saveexec_b64 s[14:15], s[14:15]
	s_cbranch_execz .LBB32_75
; %bb.74:
	v_mov_b32_e32 v10, 0xc0
	v_mad_u64_u32 v[10:11], s[34:35], s22, v10, v[4:5]
	v_add_u32_e32 v11, s37, v11
	flat_load_dwordx2 v[10:11], v[10:11]
	s_waitcnt vmcnt(0) lgkmcnt(0)
	ds_write_b64 v3, v[10:11] offset:6336
.LBB32_75:
	s_or_b64 exec, exec, s[14:15]
	v_mov_b32_e32 v3, 0
	v_lshl_add_u64 v[4:5], v[4:5], 0, v[2:3]
	s_lshl_b64 s[14:15], s[18:19], 3
	v_mov_b32_e32 v3, s15
	v_subrev_co_u32_e64 v4, s[14:15], s14, v4
	s_nop 1
	v_subb_co_u32_e64 v5, s[14:15], v5, v3, s[14:15]
	s_mov_b64 s[14:15], 0x108
	s_nop 0
	v_lshl_add_u64 v[4:5], v[4:5], 0, s[14:15]
	v_cndmask_b32_e32 v5, v5, v7, vcc
	v_cndmask_b32_e32 v4, v4, v6, vcc
	s_branch .LBB32_78
.LBB32_76:
                                        ; implicit-def: $vgpr4_vgpr5
	s_cbranch_execz .LBB32_78
; %bb.77:
	flat_load_dwordx2 v[4:5], v[8:9] offset:256
	v_add_lshl_u32 v3, v1, v0, 3
	s_lshl_b64 s[14:15], s[22:23], 6
	v_lshl_add_u64 v[10:11], v[8:9], 0, s[14:15]
	s_waitcnt vmcnt(0) lgkmcnt(0)
	ds_write_b64 v3, v[4:5]
	flat_load_dwordx2 v[4:5], v[10:11] offset:256
	v_lshl_add_u64 v[10:11], v[10:11], 0, s[14:15]
	s_waitcnt vmcnt(0) lgkmcnt(0)
	ds_write_b64 v3, v[4:5] offset:2112
	flat_load_dwordx2 v[4:5], v[10:11] offset:256
	v_mov_b32_e32 v10, 0xc0
	v_mad_u64_u32 v[8:9], s[14:15], s22, v10, v[8:9]
	v_add_u32_e32 v9, s37, v9
	s_waitcnt vmcnt(0) lgkmcnt(0)
	ds_write_b64 v3, v[4:5] offset:4224
	flat_load_dwordx2 v[4:5], v[8:9] offset:256
	s_waitcnt vmcnt(0) lgkmcnt(0)
	ds_write_b64 v3, v[4:5] offset:6336
	v_mov_b64_e32 v[4:5], v[6:7]
.LBB32_78:
	s_waitcnt lgkmcnt(0)
	s_barrier
	s_and_saveexec_b64 s[14:15], s[4:5]
	s_xor_b64 s[4:5], exec, s[14:15]
	s_cbranch_execnz .LBB32_105
; %bb.79:
	s_andn2_saveexec_b64 s[4:5], s[4:5]
	s_cbranch_execnz .LBB32_108
.LBB32_80:
	s_or_b64 exec, exec, s[4:5]
	s_and_saveexec_b64 s[4:5], s[6:7]
	s_xor_b64 s[4:5], exec, s[4:5]
	s_cbranch_execnz .LBB32_109
.LBB32_81:
	s_andn2_saveexec_b64 s[4:5], s[4:5]
	s_cbranch_execnz .LBB32_110
.LBB32_82:
	s_or_b64 exec, exec, s[4:5]
	s_and_saveexec_b64 s[4:5], s[8:9]
	s_xor_b64 s[4:5], exec, s[4:5]
	s_cbranch_execnz .LBB32_113
.LBB32_83:
	s_andn2_saveexec_b64 s[4:5], s[4:5]
	s_cbranch_execnz .LBB32_116
.LBB32_84:
	s_or_b64 exec, exec, s[4:5]
	s_and_saveexec_b64 s[4:5], s[10:11]
	s_xor_b64 s[4:5], exec, s[4:5]
	s_cbranch_execnz .LBB32_117
.LBB32_85:
	s_or_saveexec_b64 s[4:5], s[4:5]
	v_add_u32_e32 v26, 0x2380, v32
	s_xor_b64 exec, exec, s[4:5]
	s_cbranch_execz .LBB32_87
.LBB32_86:
	ds_read_b64 v[6:7], v25 offset:528
	s_waitcnt lgkmcnt(0)
	v_xor_b32_e32 v7, 0x80000000, v7
	ds_write_b64 v16, v[6:7] offset:24
.LBB32_87:
	s_or_b64 exec, exec, s[4:5]
	s_waitcnt lgkmcnt(0)
	s_barrier
	ds_read_b64 v[10:11], v20
	ds_read_b128 v[6:9], v26 offset:256
	ds_read2_b64 v[32:35], v25 offset1:33
	ds_read_b64 v[16:17], v25 offset:528
	ds_read_b128 v[36:39], v26 offset:272
	v_cmp_eq_u32_e64 s[4:5], 1, v18
	s_waitcnt lgkmcnt(3)
	v_pk_mul_f32 v[40:41], v[6:7], v[10:11] op_sel:[0,1]
	s_waitcnt lgkmcnt(0)
	v_pk_fma_f32 v[42:43], v[6:7], v[10:11], v[40:41] op_sel:[0,0,1] op_sel_hi:[1,1,0] neg_lo:[0,0,1] neg_hi:[0,0,1]
	v_pk_fma_f32 v[6:7], v[6:7], v[10:11], v[40:41] op_sel:[0,0,1] op_sel_hi:[1,0,0]
	v_pk_mul_f32 v[10:11], v[8:9], v[32:33] op_sel:[0,1]
	v_mov_b32_e32 v43, v7
	v_pk_fma_f32 v[40:41], v[8:9], v[32:33], v[10:11] op_sel:[0,0,1] op_sel_hi:[1,1,0] neg_lo:[0,0,1] neg_hi:[0,0,1]
	v_pk_fma_f32 v[8:9], v[8:9], v[32:33], v[10:11] op_sel:[0,0,1] op_sel_hi:[1,0,0]
	v_pk_add_f32 v[6:7], v[42:43], 0 op_sel_hi:[1,0]
	v_mov_b32_e32 v41, v9
	v_pk_mul_f32 v[8:9], v[36:37], v[34:35] op_sel:[0,1]
	v_pk_add_f32 v[6:7], v[6:7], v[40:41]
	v_pk_fma_f32 v[10:11], v[36:37], v[34:35], v[8:9] op_sel:[0,0,1] op_sel_hi:[1,1,0] neg_lo:[0,0,1] neg_hi:[0,0,1]
	v_pk_fma_f32 v[8:9], v[36:37], v[34:35], v[8:9] op_sel:[0,0,1] op_sel_hi:[1,0,0]
	s_barrier
	v_mov_b32_e32 v11, v9
	v_pk_mul_f32 v[8:9], v[38:39], v[16:17] op_sel:[0,1]
	v_pk_add_f32 v[6:7], v[6:7], v[10:11]
	v_pk_fma_f32 v[10:11], v[38:39], v[16:17], v[8:9] op_sel:[0,0,1] op_sel_hi:[1,1,0] neg_lo:[0,0,1] neg_hi:[0,0,1]
	v_pk_fma_f32 v[8:9], v[38:39], v[16:17], v[8:9] op_sel:[0,0,1] op_sel_hi:[1,0,0]
	s_nop 0
	v_mov_b32_e32 v11, v9
	v_pk_add_f32 v[6:7], v[6:7], v[10:11]
	ds_write_b64 v23, v[6:7]
	s_waitcnt lgkmcnt(0)
	s_barrier
	s_and_saveexec_b64 s[6:7], s[4:5]
	s_cbranch_execz .LBB32_89
; %bb.88:
	ds_read2_b64 v[6:9], v24 offset1:7
	ds_read2_b64 v[30:33], v24 offset0:1 offset1:2
	ds_read2_b64 v[34:37], v24 offset0:3 offset1:4
	s_waitcnt lgkmcnt(1)
	v_add_f32_e32 v3, v30, v6
	v_add_f32_e32 v6, v31, v7
	;; [unrolled: 1-line block ×4, first 2 shown]
	ds_read2_b64 v[30:33], v24 offset0:5 offset1:6
	s_waitcnt lgkmcnt(1)
	v_add_f32_e32 v3, v3, v34
	v_add_f32_e32 v6, v6, v35
	;; [unrolled: 1-line block ×4, first 2 shown]
	s_waitcnt lgkmcnt(0)
	v_add_f32_e32 v6, v3, v30
	v_add_f32_e32 v7, v7, v31
	v_pk_add_f32 v[6:7], v[6:7], v[32:33]
	s_nop 0
	v_pk_add_f32 v[30:31], v[6:7], v[8:9]
.LBB32_89:
	s_or_b64 exec, exec, s[6:7]
	s_movk_i32 s6, 0xff00
	s_mov_b32 s7, -1
	v_lshl_add_u64 v[4:5], v[4:5], 0, s[6:7]
	s_and_b64 vcc, exec, s[30:31]
	s_barrier
	s_cbranch_vccz .LBB32_120
; %bb.90:
	v_sub_co_u32_e32 v6, vcc, v4, v2
	s_ashr_i32 s19, s18, 31
	s_nop 0
	v_subbrev_co_u32_e32 v7, vcc, 0, v5, vcc
	v_lshl_add_u64 v[6:7], s[18:19], 3, v[6:7]
	v_lshl_add_u64 v[6:7], v[6:7], 0, -8
	v_cmp_gt_i32_e32 vcc, s18, v0
	s_sub_i32 s10, s18, 32
	v_mov_b32_e32 v8, 0
	v_cndmask_b32_e32 v7, v7, v5, vcc
	v_cndmask_b32_e32 v6, v6, v4, vcc
	v_cmp_gt_i32_e64 s[6:7], s10, v18
	v_mov_b32_e32 v9, v8
	s_and_saveexec_b64 s[8:9], s[6:7]
	s_cbranch_execz .LBB32_92
; %bb.91:
	flat_load_dwordx2 v[8:9], v[6:7]
.LBB32_92:
	s_or_b64 exec, exec, s[8:9]
	v_add_lshl_u32 v3, v1, v0, 3
	s_waitcnt vmcnt(0) lgkmcnt(0)
	ds_write_b64 v3, v[8:9]
	v_add_u32_e32 v8, 8, v18
	v_cmp_le_i32_e64 s[6:7], s10, v8
	s_and_saveexec_b64 s[8:9], s[6:7]
	s_xor_b64 s[6:7], exec, s[8:9]
	s_cbranch_execz .LBB32_94
; %bb.93:
	v_mul_u32_u24_e32 v9, 33, v8
	v_mov_b32_e32 v10, 0
	v_add_lshl_u32 v9, v9, v0, 3
	v_mov_b32_e32 v11, v10
	ds_write_b64 v9, v[10:11]
.LBB32_94:
	s_andn2_saveexec_b64 s[6:7], s[6:7]
	s_cbranch_execz .LBB32_96
; %bb.95:
	s_lshl_b64 s[8:9], s[22:23], 6
	v_lshl_add_u64 v[10:11], v[6:7], 0, s[8:9]
	flat_load_dwordx2 v[10:11], v[10:11]
	s_waitcnt vmcnt(0) lgkmcnt(0)
	ds_write_b64 v3, v[10:11] offset:2112
.LBB32_96:
	s_or_b64 exec, exec, s[6:7]
	v_add_u32_e32 v9, 16, v18
	v_cmp_le_i32_e64 s[6:7], s10, v9
	s_and_saveexec_b64 s[8:9], s[6:7]
	s_xor_b64 s[6:7], exec, s[8:9]
	s_cbranch_execz .LBB32_98
; %bb.97:
	v_mov_b32_e32 v10, 0
	v_mov_b32_e32 v11, v10
	ds_write_b64 v3, v[10:11] offset:4224
.LBB32_98:
	s_andn2_saveexec_b64 s[6:7], s[6:7]
	s_cbranch_execz .LBB32_100
; %bb.99:
	s_lshl_b64 s[8:9], s[22:23], 7
	v_lshl_add_u64 v[10:11], v[6:7], 0, s[8:9]
	flat_load_dwordx2 v[10:11], v[10:11]
	s_waitcnt vmcnt(0) lgkmcnt(0)
	ds_write_b64 v3, v[10:11] offset:4224
.LBB32_100:
	s_or_b64 exec, exec, s[6:7]
	v_add_u32_e32 v10, 24, v18
	v_cmp_le_i32_e64 s[6:7], s10, v10
	s_and_saveexec_b64 s[8:9], s[6:7]
	s_xor_b64 s[6:7], exec, s[8:9]
	s_cbranch_execz .LBB32_102
; %bb.101:
	v_mov_b32_e32 v16, 0
	v_mov_b32_e32 v17, v16
	ds_write_b64 v3, v[16:17] offset:6336
                                        ; implicit-def: $vgpr3
.LBB32_102:
	s_andn2_saveexec_b64 s[6:7], s[6:7]
	s_cbranch_execz .LBB32_104
; %bb.103:
	v_mov_b32_e32 v11, 0xc0
	v_mad_u64_u32 v[16:17], s[8:9], s22, v11, v[6:7]
	v_add_u32_e32 v17, s37, v17
	flat_load_dwordx2 v[16:17], v[16:17]
	s_waitcnt vmcnt(0) lgkmcnt(0)
	ds_write_b64 v3, v[16:17] offset:6336
.LBB32_104:
	s_or_b64 exec, exec, s[6:7]
	v_mov_b32_e32 v3, 0
	v_lshl_add_u64 v[2:3], v[6:7], 0, v[2:3]
	s_lshl_b64 s[6:7], s[18:19], 3
	v_mov_b32_e32 v6, s7
	v_subrev_co_u32_e64 v2, s[6:7], s6, v2
	s_nop 1
	v_subb_co_u32_e64 v3, s[6:7], v3, v6, s[6:7]
	v_lshl_add_u64 v[2:3], v[2:3], 0, 8
	v_cndmask_b32_e32 v17, v3, v5, vcc
	v_cndmask_b32_e32 v16, v2, v4, vcc
	s_branch .LBB32_122
.LBB32_105:
	v_cmp_eq_u32_e32 vcc, v21, v0
	s_and_saveexec_b64 s[14:15], vcc
	s_cbranch_execz .LBB32_107
; %bb.106:
	v_mul_u32_u24_e32 v3, 34, v0
	v_lshlrev_b32_e32 v3, 3, v3
	v_mov_b32_e32 v6, 0
	ds_write_b32 v3, v6 offset:4
.LBB32_107:
	s_or_b64 exec, exec, s[14:15]
	s_andn2_saveexec_b64 s[4:5], s[4:5]
	s_cbranch_execz .LBB32_80
.LBB32_108:
	ds_read_b64 v[6:7], v20
	s_waitcnt lgkmcnt(0)
	v_xor_b32_e32 v7, 0x80000000, v7
	ds_write_b64 v16, v[6:7]
	s_or_b64 exec, exec, s[4:5]
	s_and_saveexec_b64 s[4:5], s[6:7]
	s_xor_b64 s[4:5], exec, s[4:5]
	s_cbranch_execz .LBB32_81
.LBB32_109:
	ds_read_b64 v[6:7], v25
                                        ; implicit-def: $vgpr17
	s_waitcnt lgkmcnt(0)
	v_xor_b32_e32 v7, 0x80000000, v7
	ds_write_b64 v16, v[6:7] offset:8
	s_andn2_saveexec_b64 s[4:5], s[4:5]
	s_cbranch_execz .LBB32_82
.LBB32_110:
	v_cmp_eq_u32_e32 vcc, v17, v0
	s_and_saveexec_b64 s[6:7], vcc
	s_cbranch_execz .LBB32_112
; %bb.111:
	v_mul_u32_u24_e32 v3, 34, v0
	v_lshlrev_b32_e32 v3, 3, v3
	v_mov_b32_e32 v6, 0
	ds_write_b32 v3, v6 offset:4
.LBB32_112:
	s_or_b64 exec, exec, s[6:7]
	s_or_b64 exec, exec, s[4:5]
	s_and_saveexec_b64 s[4:5], s[8:9]
	s_xor_b64 s[4:5], exec, s[4:5]
	s_cbranch_execz .LBB32_83
.LBB32_113:
	v_cmp_eq_u32_e32 vcc, v26, v0
	s_and_saveexec_b64 s[6:7], vcc
	s_cbranch_execz .LBB32_115
; %bb.114:
	v_mul_u32_u24_e32 v3, 34, v0
	v_lshlrev_b32_e32 v3, 3, v3
	v_mov_b32_e32 v6, 0
	ds_write_b32 v3, v6 offset:4
.LBB32_115:
	s_or_b64 exec, exec, s[6:7]
	s_andn2_saveexec_b64 s[4:5], s[4:5]
	s_cbranch_execz .LBB32_84
.LBB32_116:
	ds_read_b64 v[6:7], v25 offset:264
	s_waitcnt lgkmcnt(0)
	v_xor_b32_e32 v7, 0x80000000, v7
	ds_write_b64 v16, v[6:7] offset:16
	s_or_b64 exec, exec, s[4:5]
	s_and_saveexec_b64 s[4:5], s[10:11]
	s_xor_b64 s[4:5], exec, s[4:5]
	s_cbranch_execz .LBB32_85
.LBB32_117:
	v_cmp_eq_u32_e32 vcc, v27, v0
	s_and_saveexec_b64 s[6:7], vcc
	s_cbranch_execz .LBB32_119
; %bb.118:
	v_mul_u32_u24_e32 v3, 34, v0
	v_lshlrev_b32_e32 v3, 3, v3
	v_mov_b32_e32 v6, 0
	ds_write_b32 v3, v6 offset:4
.LBB32_119:
	s_or_b64 exec, exec, s[6:7]
                                        ; implicit-def: $vgpr16
	s_or_saveexec_b64 s[4:5], s[4:5]
	v_add_u32_e32 v26, 0x2380, v32
	s_xor_b64 exec, exec, s[4:5]
	s_cbranch_execnz .LBB32_86
	s_branch .LBB32_87
.LBB32_120:
                                        ; implicit-def: $vgpr16_vgpr17
                                        ; implicit-def: $vgpr8
                                        ; implicit-def: $vgpr9
                                        ; implicit-def: $vgpr10
	s_cbranch_execz .LBB32_122
; %bb.121:
	flat_load_dwordx2 v[2:3], v[4:5]
	v_add_lshl_u32 v6, v1, v0, 3
	s_lshl_b64 s[6:7], s[22:23], 6
	v_lshl_add_u64 v[0:1], v[4:5], 0, s[6:7]
	v_add_u32_e32 v8, 8, v18
	v_add_u32_e32 v9, 16, v18
	v_add_u32_e32 v10, 24, v18
	v_mov_b64_e32 v[16:17], v[4:5]
	s_waitcnt vmcnt(0) lgkmcnt(0)
	ds_write_b64 v6, v[2:3]
	flat_load_dwordx2 v[2:3], v[0:1]
	v_lshl_add_u64 v[0:1], v[0:1], 0, s[6:7]
	s_waitcnt vmcnt(0) lgkmcnt(0)
	ds_write_b64 v6, v[2:3] offset:2112
	flat_load_dwordx2 v[0:1], v[0:1]
	v_mov_b32_e32 v2, 0xc0
	v_mad_u64_u32 v[2:3], s[6:7], s22, v2, v[4:5]
	v_add_u32_e32 v3, s37, v3
	s_waitcnt vmcnt(0) lgkmcnt(0)
	ds_write_b64 v6, v[0:1] offset:4224
	flat_load_dwordx2 v[0:1], v[2:3]
	s_waitcnt vmcnt(0) lgkmcnt(0)
	ds_write_b64 v6, v[0:1] offset:6336
.LBB32_122:
	s_waitcnt lgkmcnt(0)
	s_barrier
	ds_read_b64 v[32:33], v23
	v_add_lshl_u32 v0, v9, v19, 3
	ds_read_b64 v[34:35], v0
	v_lshlrev_b32_e32 v4, 3, v18
	v_add_lshl_u32 v5, v8, v19, 3
	v_lshlrev_b32_e32 v6, 3, v8
	v_lshlrev_b32_e32 v7, 3, v9
	v_add_lshl_u32 v18, v10, v19, 3
	v_lshlrev_b32_e32 v19, 3, v10
	ds_read2_b64 v[0:3], v25 offset1:33
	ds_read_b64 v[20:21], v20
	ds_read_b128 v[8:11], v26 offset:256
	ds_read_b64 v[36:37], v6 offset:9088
	ds_read_b64 v[38:39], v5
	ds_read_b64 v[40:41], v4 offset:9088
	ds_read_b64 v[42:43], v19 offset:9088
	ds_read_b64 v[44:45], v18
	ds_read_b64 v[46:47], v7 offset:9088
	ds_read_b64 v[18:19], v25 offset:528
	ds_read_b128 v[4:7], v26 offset:272
	s_waitcnt lgkmcnt(5)
	v_pk_mul_f32 v[26:27], v[32:33], v[40:41] op_sel:[1,0]
	v_pk_mul_f32 v[48:49], v[38:39], v[36:37] op_sel:[1,0]
	v_pk_fma_f32 v[54:55], v[32:33], v[40:41], v[26:27] op_sel:[0,0,1] op_sel_hi:[1,1,0]
	v_pk_fma_f32 v[26:27], v[32:33], v[40:41], v[26:27] op_sel:[0,0,1] op_sel_hi:[0,1,0] neg_lo:[0,0,1] neg_hi:[0,0,1]
	v_mov_b32_e32 v55, v27
	v_pk_fma_f32 v[32:33], v[38:39], v[36:37], v[48:49] op_sel:[0,0,1] op_sel_hi:[1,1,0]
	v_pk_fma_f32 v[36:37], v[38:39], v[36:37], v[48:49] op_sel:[0,0,1] op_sel_hi:[0,1,0] neg_lo:[0,0,1] neg_hi:[0,0,1]
	s_waitcnt lgkmcnt(2)
	v_pk_mul_f32 v[50:51], v[34:35], v[46:47] op_sel:[1,0]
	v_pk_add_f32 v[26:27], v[54:55], 0 op_sel_hi:[1,0]
	v_mov_b32_e32 v33, v37
	v_pk_add_f32 v[26:27], v[26:27], v[32:33]
	v_pk_fma_f32 v[32:33], v[34:35], v[46:47], v[50:51] op_sel:[0,0,1] op_sel_hi:[1,1,0]
	v_pk_fma_f32 v[34:35], v[34:35], v[46:47], v[50:51] op_sel:[0,0,1] op_sel_hi:[0,1,0] neg_lo:[0,0,1] neg_hi:[0,0,1]
	v_pk_mul_f32 v[52:53], v[44:45], v[42:43] op_sel:[1,0]
	v_mov_b32_e32 v33, v35
	v_pk_add_f32 v[26:27], v[26:27], v[32:33]
	v_pk_fma_f32 v[32:33], v[44:45], v[42:43], v[52:53] op_sel:[0,0,1] op_sel_hi:[1,1,0]
	v_pk_fma_f32 v[34:35], v[44:45], v[42:43], v[52:53] op_sel:[0,0,1] op_sel_hi:[0,1,0] neg_lo:[0,0,1] neg_hi:[0,0,1]
	v_mov_b32_e32 v33, v35
	v_pk_add_f32 v[26:27], v[26:27], v[32:33]
	s_waitcnt lgkmcnt(0)
	s_barrier
	ds_write_b64 v23, v[26:27]
	s_waitcnt lgkmcnt(0)
	s_barrier
	s_and_saveexec_b64 s[6:7], s[4:5]
	s_cbranch_execz .LBB32_124
; %bb.123:
	ds_read2_b64 v[32:35], v24 offset1:1
	ds_read2_b64 v[36:39], v24 offset0:2 offset1:3
	ds_read2_b64 v[40:43], v24 offset0:6 offset1:7
	s_waitcnt lgkmcnt(2)
	v_pk_add_f32 v[26:27], v[30:31], v[32:33]
	ds_read2_b64 v[30:33], v24 offset0:4 offset1:5
	v_pk_add_f32 v[26:27], v[26:27], v[34:35]
	s_waitcnt lgkmcnt(2)
	v_pk_add_f32 v[26:27], v[26:27], v[36:37]
	s_nop 0
	v_pk_add_f32 v[26:27], v[26:27], v[38:39]
	s_waitcnt lgkmcnt(0)
	v_pk_add_f32 v[26:27], v[26:27], v[30:31]
	s_nop 0
	v_pk_add_f32 v[26:27], v[26:27], v[32:33]
	s_nop 0
	;; [unrolled: 2-line block ×3, first 2 shown]
	v_pk_add_f32 v[30:31], v[26:27], v[42:43]
.LBB32_124:
	s_or_b64 exec, exec, s[6:7]
	v_pk_mul_f32 v[26:27], v[8:9], v[20:21] op_sel:[0,1]
	s_nop 0
	v_pk_fma_f32 v[32:33], v[8:9], v[20:21], v[26:27] op_sel:[0,0,1] op_sel_hi:[1,1,0] neg_lo:[0,0,1] neg_hi:[0,0,1]
	v_pk_fma_f32 v[8:9], v[8:9], v[20:21], v[26:27] op_sel:[0,0,1] op_sel_hi:[1,0,0]
	v_pk_mul_f32 v[20:21], v[10:11], v[0:1] op_sel:[0,1]
	v_mov_b32_e32 v33, v9
	v_pk_fma_f32 v[26:27], v[10:11], v[0:1], v[20:21] op_sel:[0,0,1] op_sel_hi:[1,1,0] neg_lo:[0,0,1] neg_hi:[0,0,1]
	v_pk_fma_f32 v[0:1], v[10:11], v[0:1], v[20:21] op_sel:[0,0,1] op_sel_hi:[1,0,0]
	v_pk_add_f32 v[8:9], v[32:33], 0 op_sel_hi:[1,0]
	v_mov_b32_e32 v27, v1
	v_pk_add_f32 v[0:1], v[8:9], v[26:27]
	v_pk_mul_f32 v[8:9], v[4:5], v[2:3] op_sel:[0,1]
	s_barrier
	v_pk_fma_f32 v[10:11], v[4:5], v[2:3], v[8:9] op_sel:[0,0,1] op_sel_hi:[1,1,0] neg_lo:[0,0,1] neg_hi:[0,0,1]
	v_pk_fma_f32 v[2:3], v[4:5], v[2:3], v[8:9] op_sel:[0,0,1] op_sel_hi:[1,0,0]
	s_nop 0
	v_mov_b32_e32 v11, v3
	v_pk_mul_f32 v[2:3], v[6:7], v[18:19] op_sel:[0,1]
	v_pk_add_f32 v[0:1], v[0:1], v[10:11]
	v_pk_fma_f32 v[4:5], v[6:7], v[18:19], v[2:3] op_sel:[0,0,1] op_sel_hi:[1,1,0] neg_lo:[0,0,1] neg_hi:[0,0,1]
	v_pk_fma_f32 v[2:3], v[6:7], v[18:19], v[2:3] op_sel:[0,0,1] op_sel_hi:[1,0,0]
	s_nop 0
	v_mov_b32_e32 v5, v3
	v_pk_add_f32 v[0:1], v[0:1], v[4:5]
	ds_write_b64 v23, v[0:1]
	s_waitcnt lgkmcnt(0)
	s_barrier
	s_and_saveexec_b64 s[4:5], s[12:13]
	s_cbranch_execz .LBB32_126
; %bb.125:
	ds_read2_b64 v[0:3], v24 offset1:1
	ds_read2_b64 v[4:7], v24 offset0:2 offset1:3
	ds_read2_b64 v[8:11], v24 offset0:4 offset1:5
	s_waitcnt lgkmcnt(2)
	v_pk_add_f32 v[0:1], v[30:31], v[0:1]
	s_nop 0
	v_pk_add_f32 v[18:19], v[0:1], v[2:3]
	ds_read2_b64 v[0:3], v24 offset0:6 offset1:7
	s_waitcnt lgkmcnt(2)
	v_pk_add_f32 v[4:5], v[18:19], v[4:5]
	s_nop 0
	v_pk_add_f32 v[4:5], v[4:5], v[6:7]
	s_waitcnt lgkmcnt(1)
	v_pk_add_f32 v[4:5], v[4:5], v[8:9]
	s_nop 0
	v_pk_add_f32 v[4:5], v[4:5], v[10:11]
	;; [unrolled: 4-line block ×3, first 2 shown]
.LBB32_126:
	s_or_b64 exec, exec, s[4:5]
	s_mul_hi_u32 s4, s25, s24
	s_mul_i32 s36, s36, s24
	s_add_i32 s4, s4, s36
	s_mul_i32 s6, s25, s24
	s_mul_i32 s4, s4, s3
	s_mul_hi_u32 s5, s6, s3
	s_add_i32 s5, s5, s4
	s_mul_i32 s4, s6, s3
	s_lshl_b64 s[4:5], s[4:5], 3
	s_add_u32 s6, s26, s4
	s_addc_u32 s7, s27, s5
	s_mul_hi_i32 s5, s25, s2
	s_mul_i32 s4, s25, s2
	s_lshl_b64 s[4:5], s[4:5], 3
	s_add_u32 s8, s6, s4
	s_addc_u32 s9, s7, s5
	s_add_i32 s4, s2, 1
	s_cmp_ge_u32 s4, s3
	v_lshlrev_b32_e32 v32, 3, v111
	s_barrier
	s_cbranch_scc1 .LBB32_184
; %bb.127:
	s_mul_i32 s4, s28, s17
	s_mul_hi_u32 s5, s28, s16
	s_add_i32 s4, s5, s4
	s_mul_i32 s5, s29, s16
	s_add_i32 s5, s4, s5
	s_mul_i32 s4, s28, s16
	s_lshl_b64 s[4:5], s[4:5], 3
	v_mov_b32_e32 v0, s5
	v_subrev_co_u32_e32 v34, vcc, s4, v12
	v_and_b32_e32 v2, 48, v111
	s_nop 0
	v_subb_co_u32_e32 v35, vcc, v13, v0, vcc
	v_and_b32_e32 v0, 15, v111
	v_lshlrev_b32_e32 v3, 3, v2
	s_movk_i32 s4, 0x218
	v_lshrrev_b32_e32 v1, 4, v22
	v_mad_u32_u24 v129, v0, s4, v3
	v_or_b32_e32 v3, 0x78, v32
	v_mad_u32_u24 v130, v0, s4, v3
	v_lshlrev_b32_e32 v3, 5, v1
	v_lshlrev_b32_e32 v6, 5, v125
	v_mad_u32_u24 v131, v0, s4, v3
	s_movk_i32 s4, 0x860
	v_add_u32_e32 v3, 0x100, v6
	v_mad_u32_u24 v136, v125, s4, v32
	v_mul_i32_i24_e32 v7, 0xffffffe8, v1
	v_or_b32_e32 v149, v2, v0
	v_mad_u64_u32 v[0:1], s[4:5], s22, v3, 0
	v_mov_b32_e32 v2, v1
	v_mad_u64_u32 v[2:3], s[4:5], s23, v3, v[2:3]
	v_mov_b32_e32 v1, v2
	v_lshlrev_b64 v[2:3], 3, v[14:15]
	v_sub_co_u32_e32 v0, vcc, v0, v2
	v_add_u32_e32 v5, 0x110, v6
	s_nop 0
	v_subb_co_u32_e32 v1, vcc, v1, v3, vcc
	v_lshl_add_u64 v[38:39], v[16:17], 0, v[0:1]
	v_mad_u64_u32 v[0:1], s[4:5], s22, v5, 0
	v_mov_b32_e32 v4, v1
	v_mad_u64_u32 v[4:5], s[4:5], s23, v5, v[4:5]
	v_mov_b32_e32 v1, v4
	v_sub_co_u32_e32 v0, vcc, v0, v2
	v_add_u32_e32 v5, 0x108, v6
	s_nop 0
	v_subb_co_u32_e32 v1, vcc, v1, v3, vcc
	v_lshl_add_u64 v[40:41], v[16:17], 0, v[0:1]
	v_mad_u64_u32 v[0:1], s[4:5], s22, v5, 0
	v_mov_b32_e32 v4, v1
	v_mad_u64_u32 v[4:5], s[4:5], s23, v5, v[4:5]
	v_mov_b32_e32 v1, v4
	;; [unrolled: 9-line block ×15, first 2 shown]
	v_sub_co_u32_e32 v0, vcc, v0, v2
	v_lshlrev_b32_e32 v126, 2, v125
	v_mov_b32_e32 v36, 0
	v_subb_co_u32_e32 v1, vcc, v1, v3, vcc
	s_add_i32 s19, s3, -2
	v_add_u32_e32 v127, 0x2180, v32
	v_add_u32_e32 v128, 0x2380, v32
	v_cmp_gt_u32_e64 s[6:7], 64, v22
	v_or_b32_e32 v132, 1, v126
	v_or_b32_e32 v133, 2, v126
	;; [unrolled: 1-line block ×3, first 2 shown]
	v_add_u32_e32 v135, 0x2180, v6
	v_add_u32_e32 v137, 16, v126
	;; [unrolled: 1-line block ×13, first 2 shown]
	s_add_i32 s26, s28, 64
	v_mov_b32_e32 v33, v36
	s_lshl_b64 s[10:11], s[22:23], 9
	v_lshl_add_u64 v[68:69], v[16:17], 0, v[0:1]
	s_mov_b32 s12, 0
	v_add_u32_e32 v150, v131, v7
	s_branch .LBB32_129
.LBB32_128:                             ;   in Loop: Header=BB32_129 Depth=1
	s_or_b64 exec, exec, s[4:5]
	v_mul_f32_e32 v0, v71, v79
	v_fma_f32 v0, v70, v78, -v0
	v_mul_f32_e32 v2, v73, v81
	v_add_f32_e32 v0, v30, v0
	v_fma_f32 v2, v72, v80, -v2
	v_add_f32_e32 v0, v0, v2
	v_mul_f32_e32 v2, v75, v83
	v_fma_f32 v2, v74, v82, -v2
	v_mul_f32_e32 v1, v70, v79
	v_add_f32_e32 v0, v0, v2
	v_mul_f32_e32 v2, v77, v85
	v_mul_f32_e32 v3, v72, v81
	v_fma_f32 v2, v76, v84, -v2
	v_fmac_f32_e32 v1, v71, v78
	v_mul_f32_e32 v4, v74, v83
	v_add_f32_e32 v0, v0, v2
	v_add_f32_e32 v1, v31, v1
	v_fmac_f32_e32 v3, v73, v80
	v_mul_f32_e32 v2, v87, v95
	v_mul_f32_e32 v5, v76, v85
	v_add_f32_e32 v1, v1, v3
	v_fmac_f32_e32 v4, v75, v82
	v_fma_f32 v2, v86, v94, -v2
	v_add_f32_e32 v1, v1, v4
	v_fmac_f32_e32 v5, v77, v84
	v_mul_f32_e32 v6, v86, v95
	v_add_f32_e32 v0, v0, v2
	v_mul_f32_e32 v2, v89, v97
	v_add_f32_e32 v1, v1, v5
	v_fma_f32 v2, v88, v96, -v2
	v_mul_f32_e32 v7, v88, v97
	v_fmac_f32_e32 v6, v87, v94
	v_add_f32_e32 v0, v0, v2
	v_mul_f32_e32 v2, v91, v99
	v_mul_f32_e32 v3, v90, v99
	v_add_f32_e32 v1, v1, v6
	v_fmac_f32_e32 v7, v89, v96
	v_fma_f32 v2, v90, v98, -v2
	v_mul_f32_e32 v4, v93, v101
	v_mul_f32_e32 v5, v92, v101
	v_add_f32_e32 v1, v1, v7
	v_fmac_f32_e32 v3, v91, v98
	v_fma_f32 v4, v92, v100, -v4
	v_pk_add_f32 v[0:1], v[0:1], v[2:3]
	v_fmac_f32_e32 v5, v93, v100
	v_pk_mul_f32 v[2:3], v[102:103], v[112:113] op_sel:[1,0]
	v_pk_add_f32 v[0:1], v[0:1], v[4:5]
	v_pk_fma_f32 v[4:5], v[102:103], v[112:113], v[2:3] op_sel:[0,0,1] op_sel_hi:[1,1,0] neg_lo:[0,0,1] neg_hi:[0,0,1]
	v_pk_fma_f32 v[2:3], v[102:103], v[112:113], v[2:3] op_sel:[0,0,1] op_sel_hi:[0,1,0]
	v_mov_b32_e32 v5, v3
	v_pk_mul_f32 v[2:3], v[104:105], v[8:9] op_sel:[1,0]
	v_pk_add_f32 v[0:1], v[0:1], v[4:5]
	v_pk_fma_f32 v[4:5], v[104:105], v[8:9], v[2:3] op_sel:[0,0,1] op_sel_hi:[1,1,0] neg_lo:[0,0,1] neg_hi:[0,0,1]
	v_pk_fma_f32 v[2:3], v[104:105], v[8:9], v[2:3] op_sel:[0,0,1] op_sel_hi:[0,1,0]
	v_mov_b32_e32 v5, v3
	;; [unrolled: 5-line block ×3, first 2 shown]
	v_pk_mul_f32 v[2:3], v[110:111], v[114:115] op_sel_hi:[0,1]
	v_pk_add_f32 v[0:1], v[0:1], v[4:5]
	v_pk_fma_f32 v[4:5], v[108:109], v[114:115], v[2:3] op_sel:[0,0,1] op_sel_hi:[1,1,0] neg_lo:[0,0,1] neg_hi:[0,0,1]
	v_pk_fma_f32 v[2:3], v[108:109], v[114:115], v[2:3] op_sel:[0,0,1] op_sel_hi:[0,1,0]
	v_mov_b32_e32 v5, v3
	v_pk_mul_f32 v[2:3], v[116:117], v[16:17] op_sel:[1,0]
	v_pk_add_f32 v[0:1], v[0:1], v[4:5]
	v_pk_fma_f32 v[4:5], v[116:117], v[16:17], v[2:3] op_sel:[0,0,1] op_sel_hi:[1,1,0] neg_lo:[0,0,1] neg_hi:[0,0,1]
	v_pk_fma_f32 v[2:3], v[116:117], v[16:17], v[2:3] op_sel:[0,0,1] op_sel_hi:[0,1,0]
	v_mov_b32_e32 v5, v3
	v_pk_mul_f32 v[2:3], v[118:119], v[18:19] op_sel:[1,0]
	;; [unrolled: 5-line block ×3, first 2 shown]
	v_pk_add_f32 v[0:1], v[0:1], v[6:7]
	v_pk_fma_f32 v[8:9], v[120:121], v[12:13], v[2:3] op_sel:[0,0,1] op_sel_hi:[1,1,0] neg_lo:[0,0,1] neg_hi:[0,0,1]
	v_pk_fma_f32 v[2:3], v[120:121], v[12:13], v[2:3] op_sel:[0,0,1] op_sel_hi:[0,1,0]
	v_mov_b32_e32 v9, v3
	v_pk_mul_f32 v[2:3], v[124:125], v[14:15] op_sel_hi:[0,1]
	v_pk_fma_f32 v[10:11], v[122:123], v[14:15], v[2:3] op_sel:[0,0,1] op_sel_hi:[1,1,0] neg_lo:[0,0,1] neg_hi:[0,0,1]
	v_pk_fma_f32 v[2:3], v[122:123], v[14:15], v[2:3] op_sel:[0,0,1] op_sel_hi:[0,1,0]
	v_mov_b32_e32 v11, v3
	v_pk_add_f32 v[0:1], v[0:1], v[8:9]
	s_add_i32 s4, s2, 1
	s_add_i32 s26, s26, 64
	;; [unrolled: 1-line block ×3, first 2 shown]
	v_pk_add_f32 v[30:31], v[0:1], v[10:11]
	v_lshl_add_u64 v[38:39], v[38:39], 0, s[10:11]
	v_lshl_add_u64 v[40:41], v[40:41], 0, s[10:11]
	;; [unrolled: 1-line block ×16, first 2 shown]
	s_cmp_ge_u32 s2, s3
	s_mov_b32 s2, s4
	s_barrier
	s_cbranch_scc1 .LBB32_184
.LBB32_129:                             ; =>This Inner Loop Header: Depth=1
	s_cmp_eq_u32 s19, s2
	s_cselect_b32 s27, s33, 0
	s_and_saveexec_b64 s[4:5], s[0:1]
	s_cbranch_execz .LBB32_134
; %bb.130:                              ;   in Loop: Header=BB32_129 Depth=1
	s_cmp_lg_u32 s27, 0
	s_cselect_b64 s[14:15], -1, 0
	v_cmp_le_i32_e32 vcc, s27, v111
	s_and_b64 s[14:15], s[14:15], vcc
	s_and_saveexec_b64 s[22:23], s[14:15]
	s_xor_b64 s[14:15], exec, s[22:23]
	s_cbranch_execz .LBB32_132
; %bb.131:                              ;   in Loop: Header=BB32_129 Depth=1
	v_mov_b32_e32 v37, v36
	ds_write_b64 v127, v[36:37]
.LBB32_132:                             ;   in Loop: Header=BB32_129 Depth=1
	s_andn2_saveexec_b64 s[14:15], s[14:15]
	s_cbranch_execz .LBB32_134
; %bb.133:                              ;   in Loop: Header=BB32_129 Depth=1
	s_ashr_i32 s13, s26, 31
	s_mul_i32 s14, s26, s17
	s_mul_hi_u32 s15, s26, s16
	s_add_i32 s14, s15, s14
	s_mul_i32 s13, s13, s16
	s_add_i32 s15, s14, s13
	s_mul_i32 s14, s26, s16
	v_lshl_add_u64 v[0:1], s[14:15], 3, v[34:35]
	flat_load_dwordx2 v[0:1], v[0:1]
	s_waitcnt vmcnt(0) lgkmcnt(0)
	ds_write_b64 v127, v[0:1]
.LBB32_134:                             ;   in Loop: Header=BB32_129 Depth=1
	s_or_b64 exec, exec, s[4:5]
	s_cmp_eq_u32 s27, 0
	s_cselect_b64 s[14:15], -1, 0
	s_cmp_lg_u32 s27, 0
	s_cselect_b64 s[22:23], -1, 0
	v_lshl_add_u64 v[0:1], v[38:39], 0, v[32:33]
	s_and_b64 vcc, exec, s[22:23]
	s_waitcnt lgkmcnt(0)
	s_barrier
	s_cbranch_vccz .LBB32_142
; %bb.135:                              ;   in Loop: Header=BB32_129 Depth=1
	s_mov_b32 s13, s12
	v_cmp_gt_i32_e32 vcc, s27, v126
	v_mov_b64_e32 v[70:71], s[12:13]
	s_and_saveexec_b64 s[4:5], vcc
	s_cbranch_execz .LBB32_137
; %bb.136:                              ;   in Loop: Header=BB32_129 Depth=1
	flat_load_dwordx2 v[70:71], v[0:1]
.LBB32_137:                             ;   in Loop: Header=BB32_129 Depth=1
	s_or_b64 exec, exec, s[4:5]
	v_cmp_gt_i32_e32 vcc, s27, v132
	v_mov_b64_e32 v[72:73], s[12:13]
	s_and_saveexec_b64 s[4:5], vcc
	s_cbranch_execz .LBB32_139
; %bb.138:                              ;   in Loop: Header=BB32_129 Depth=1
	v_lshl_add_u64 v[2:3], v[42:43], 0, v[32:33]
	flat_load_dwordx2 v[72:73], v[2:3]
.LBB32_139:                             ;   in Loop: Header=BB32_129 Depth=1
	s_or_b64 exec, exec, s[4:5]
	s_mov_b32 s13, s12
	v_cmp_gt_i32_e32 vcc, s27, v133
	v_mov_b64_e32 v[74:75], s[12:13]
	s_and_saveexec_b64 s[4:5], vcc
	s_cbranch_execz .LBB32_141
; %bb.140:                              ;   in Loop: Header=BB32_129 Depth=1
	v_lshl_add_u64 v[2:3], v[40:41], 0, v[32:33]
	flat_load_dwordx2 v[74:75], v[2:3]
.LBB32_141:                             ;   in Loop: Header=BB32_129 Depth=1
	s_or_b64 exec, exec, s[4:5]
	v_cmp_gt_i32_e64 s[4:5], s27, v134
	s_mov_b32 s13, 0
	s_branch .LBB32_144
.LBB32_142:                             ;   in Loop: Header=BB32_129 Depth=1
	s_mov_b64 s[4:5], 0
                                        ; implicit-def: $sgpr13
                                        ; implicit-def: $vgpr74_vgpr75
                                        ; implicit-def: $vgpr72_vgpr73
                                        ; implicit-def: $vgpr70_vgpr71
	s_cbranch_execz .LBB32_144
; %bb.143:                              ;   in Loop: Header=BB32_129 Depth=1
	s_waitcnt vmcnt(0) lgkmcnt(0)
	flat_load_dwordx2 v[70:71], v[0:1]
	v_lshl_add_u64 v[0:1], v[42:43], 0, v[32:33]
	flat_load_dwordx2 v[72:73], v[0:1]
	v_lshl_add_u64 v[0:1], v[40:41], 0, v[32:33]
	flat_load_dwordx2 v[74:75], v[0:1]
	s_or_b64 s[4:5], s[4:5], exec
                                        ; implicit-def: $sgpr13
.LBB32_144:                             ;   in Loop: Header=BB32_129 Depth=1
	v_mov_b32_e32 v76, s13
	v_mov_b32_e32 v77, s13
	s_and_saveexec_b64 s[24:25], s[4:5]
	s_cbranch_execz .LBB32_146
; %bb.145:                              ;   in Loop: Header=BB32_129 Depth=1
	v_lshl_add_u64 v[0:1], v[44:45], 0, v[32:33]
	flat_load_dwordx2 v[76:77], v[0:1]
.LBB32_146:                             ;   in Loop: Header=BB32_129 Depth=1
	s_or_b64 exec, exec, s[24:25]
	ds_read_b64 v[0:1], v128
	ds_read_b64 v[78:79], v135
	v_cndmask_b32_e64 v8, 0, 1, s[22:23]
	v_cmp_ne_u32_e64 s[4:5], 1, v8
	s_andn2_b64 vcc, exec, s[22:23]
	s_waitcnt vmcnt(0) lgkmcnt(0)
	v_mul_f32_e32 v2, v71, v1
	v_mul_f32_e32 v3, v71, v0
	v_fmac_f32_e32 v2, v70, v0
	v_fma_f32 v3, v70, v1, -v3
	v_mul_f32_e32 v4, v73, v1
	ds_write_b64 v136, v[2:3]
	v_mul_f32_e32 v2, v73, v0
	v_fmac_f32_e32 v4, v72, v0
	v_fma_f32 v5, v72, v1, -v2
	v_mul_f32_e32 v2, v75, v1
	v_mul_f32_e32 v3, v75, v0
	ds_read_b64 v[80:81], v135 offset:8
	ds_write_b64 v136, v[4:5] offset:536
	v_fmac_f32_e32 v2, v74, v0
	v_fma_f32 v3, v74, v1, -v3
	ds_read_b64 v[82:83], v135 offset:16
	ds_write_b64 v136, v[2:3] offset:1072
	v_mul_f32_e32 v2, v77, v1
	v_fmac_f32_e32 v2, v76, v0
	v_mul_f32_e32 v0, v77, v0
	v_fma_f32 v3, v76, v1, -v0
	ds_read_b64 v[84:85], v135 offset:24
	ds_write_b64 v136, v[2:3] offset:1608
	s_waitcnt lgkmcnt(0)
	s_barrier
	ds_read2_b64 v[4:7], v131 offset1:1
	ds_read2_b64 v[0:3], v131 offset0:2 offset1:3
	v_lshl_add_u64 v[8:9], v[46:47], 0, v[32:33]
	s_waitcnt lgkmcnt(0)
	s_barrier
	s_cbranch_vccnz .LBB32_154
; %bb.147:                              ;   in Loop: Header=BB32_129 Depth=1
	s_mov_b32 s13, s12
	v_cmp_gt_i32_e32 vcc, s27, v137
	v_mov_b64_e32 v[86:87], s[12:13]
	s_and_saveexec_b64 s[22:23], vcc
	s_cbranch_execz .LBB32_149
; %bb.148:                              ;   in Loop: Header=BB32_129 Depth=1
	flat_load_dwordx2 v[86:87], v[8:9]
.LBB32_149:                             ;   in Loop: Header=BB32_129 Depth=1
	s_or_b64 exec, exec, s[22:23]
	v_cmp_gt_i32_e32 vcc, s27, v138
	v_mov_b64_e32 v[88:89], s[12:13]
	s_and_saveexec_b64 s[22:23], vcc
	s_cbranch_execz .LBB32_151
; %bb.150:                              ;   in Loop: Header=BB32_129 Depth=1
	v_lshl_add_u64 v[10:11], v[50:51], 0, v[32:33]
	flat_load_dwordx2 v[88:89], v[10:11]
.LBB32_151:                             ;   in Loop: Header=BB32_129 Depth=1
	s_or_b64 exec, exec, s[22:23]
	s_mov_b32 s13, s12
	v_cmp_gt_i32_e32 vcc, s27, v139
	v_mov_b64_e32 v[90:91], s[12:13]
	s_and_saveexec_b64 s[22:23], vcc
	s_cbranch_execz .LBB32_153
; %bb.152:                              ;   in Loop: Header=BB32_129 Depth=1
	v_lshl_add_u64 v[10:11], v[48:49], 0, v[32:33]
	flat_load_dwordx2 v[90:91], v[10:11]
.LBB32_153:                             ;   in Loop: Header=BB32_129 Depth=1
	s_or_b64 exec, exec, s[22:23]
	v_cmp_gt_i32_e64 s[22:23], s27, v140
	s_mov_b32 s13, 0
	s_branch .LBB32_156
.LBB32_154:                             ;   in Loop: Header=BB32_129 Depth=1
	s_mov_b64 s[22:23], 0
                                        ; implicit-def: $sgpr13
                                        ; implicit-def: $vgpr90_vgpr91
                                        ; implicit-def: $vgpr88_vgpr89
                                        ; implicit-def: $vgpr86_vgpr87
	s_cbranch_execz .LBB32_156
; %bb.155:                              ;   in Loop: Header=BB32_129 Depth=1
	s_waitcnt vmcnt(0) lgkmcnt(0)
	flat_load_dwordx2 v[86:87], v[8:9]
	v_lshl_add_u64 v[8:9], v[50:51], 0, v[32:33]
	flat_load_dwordx2 v[88:89], v[8:9]
	v_lshl_add_u64 v[8:9], v[48:49], 0, v[32:33]
	flat_load_dwordx2 v[90:91], v[8:9]
	s_or_b64 s[22:23], s[22:23], exec
                                        ; implicit-def: $sgpr13
.LBB32_156:                             ;   in Loop: Header=BB32_129 Depth=1
	v_mov_b32_e32 v92, s13
	v_mov_b32_e32 v93, s13
	s_and_saveexec_b64 s[24:25], s[22:23]
	s_cbranch_execz .LBB32_158
; %bb.157:                              ;   in Loop: Header=BB32_129 Depth=1
	v_lshl_add_u64 v[8:9], v[52:53], 0, v[32:33]
	flat_load_dwordx2 v[92:93], v[8:9]
.LBB32_158:                             ;   in Loop: Header=BB32_129 Depth=1
	s_or_b64 exec, exec, s[24:25]
	ds_read_b64 v[8:9], v128
	ds_read_b64 v[94:95], v135 offset:128
	s_and_b64 vcc, exec, s[4:5]
	s_waitcnt vmcnt(0) lgkmcnt(0)
	v_mul_f32_e32 v10, v87, v9
	v_mul_f32_e32 v11, v87, v8
	v_fmac_f32_e32 v10, v86, v8
	v_fma_f32 v11, v86, v9, -v11
	v_mul_f32_e32 v12, v89, v9
	ds_write_b64 v136, v[10:11]
	v_mul_f32_e32 v10, v89, v8
	v_fmac_f32_e32 v12, v88, v8
	v_fma_f32 v13, v88, v9, -v10
	v_mul_f32_e32 v10, v91, v9
	v_mul_f32_e32 v11, v91, v8
	ds_read_b64 v[96:97], v135 offset:136
	ds_write_b64 v136, v[12:13] offset:536
	v_fmac_f32_e32 v10, v90, v8
	v_fma_f32 v11, v90, v9, -v11
	ds_read_b64 v[98:99], v135 offset:144
	ds_write_b64 v136, v[10:11] offset:1072
	v_mul_f32_e32 v10, v93, v9
	v_fmac_f32_e32 v10, v92, v8
	v_mul_f32_e32 v8, v93, v8
	v_fma_f32 v11, v92, v9, -v8
	ds_read_b64 v[100:101], v135 offset:152
	ds_write_b64 v136, v[10:11] offset:1608
	s_waitcnt lgkmcnt(0)
	s_barrier
	ds_read2_b64 v[16:19], v131 offset1:1
	ds_read2_b64 v[12:15], v131 offset0:2 offset1:3
	v_lshl_add_u64 v[8:9], v[54:55], 0, v[32:33]
	s_waitcnt lgkmcnt(0)
	s_barrier
	s_cbranch_vccnz .LBB32_166
; %bb.159:                              ;   in Loop: Header=BB32_129 Depth=1
	s_mov_b32 s13, s12
	v_cmp_gt_i32_e32 vcc, s27, v141
	v_mov_b64_e32 v[102:103], s[12:13]
	s_and_saveexec_b64 s[22:23], vcc
	s_cbranch_execz .LBB32_161
; %bb.160:                              ;   in Loop: Header=BB32_129 Depth=1
	flat_load_dwordx2 v[102:103], v[8:9]
.LBB32_161:                             ;   in Loop: Header=BB32_129 Depth=1
	s_or_b64 exec, exec, s[22:23]
	v_cmp_gt_i32_e32 vcc, s27, v142
	v_mov_b64_e32 v[104:105], s[12:13]
	s_and_saveexec_b64 s[22:23], vcc
	s_cbranch_execz .LBB32_163
; %bb.162:                              ;   in Loop: Header=BB32_129 Depth=1
	v_lshl_add_u64 v[10:11], v[58:59], 0, v[32:33]
	flat_load_dwordx2 v[104:105], v[10:11]
.LBB32_163:                             ;   in Loop: Header=BB32_129 Depth=1
	s_or_b64 exec, exec, s[22:23]
	s_mov_b32 s13, s12
	v_cmp_gt_i32_e32 vcc, s27, v143
	v_mov_b64_e32 v[106:107], s[12:13]
	s_and_saveexec_b64 s[22:23], vcc
	s_cbranch_execz .LBB32_165
; %bb.164:                              ;   in Loop: Header=BB32_129 Depth=1
	v_lshl_add_u64 v[10:11], v[56:57], 0, v[32:33]
	flat_load_dwordx2 v[106:107], v[10:11]
.LBB32_165:                             ;   in Loop: Header=BB32_129 Depth=1
	s_or_b64 exec, exec, s[22:23]
	v_cmp_gt_i32_e64 s[22:23], s27, v144
	s_mov_b32 s13, 0
	s_branch .LBB32_168
.LBB32_166:                             ;   in Loop: Header=BB32_129 Depth=1
	s_mov_b64 s[22:23], 0
                                        ; implicit-def: $sgpr13
                                        ; implicit-def: $vgpr106_vgpr107
                                        ; implicit-def: $vgpr104_vgpr105
                                        ; implicit-def: $vgpr102_vgpr103
	s_cbranch_execz .LBB32_168
; %bb.167:                              ;   in Loop: Header=BB32_129 Depth=1
	s_waitcnt vmcnt(0) lgkmcnt(0)
	flat_load_dwordx2 v[102:103], v[8:9]
	v_lshl_add_u64 v[8:9], v[58:59], 0, v[32:33]
	flat_load_dwordx2 v[104:105], v[8:9]
	v_lshl_add_u64 v[8:9], v[56:57], 0, v[32:33]
	flat_load_dwordx2 v[106:107], v[8:9]
	s_or_b64 s[22:23], s[22:23], exec
                                        ; implicit-def: $sgpr13
.LBB32_168:                             ;   in Loop: Header=BB32_129 Depth=1
	v_mov_b32_e32 v108, s13
	v_mov_b32_e32 v110, s13
	s_and_saveexec_b64 s[24:25], s[22:23]
	s_cbranch_execz .LBB32_170
; %bb.169:                              ;   in Loop: Header=BB32_129 Depth=1
	v_lshl_add_u64 v[8:9], v[60:61], 0, v[32:33]
	flat_load_dwordx2 v[108:109], v[8:9]
	s_waitcnt vmcnt(0) lgkmcnt(0)
	v_mov_b32_e32 v110, v109
.LBB32_170:                             ;   in Loop: Header=BB32_129 Depth=1
	s_or_b64 exec, exec, s[24:25]
	ds_read_b64 v[8:9], v128
	ds_read_b64 v[112:113], v135 offset:256
	s_and_b64 vcc, exec, s[4:5]
	v_lshl_add_u64 v[122:123], v[62:63], 0, v[32:33]
	s_waitcnt vmcnt(0) lgkmcnt(0)
	v_mul_f32_e32 v10, v103, v9
	v_mul_f32_e32 v11, v103, v8
	;; [unrolled: 1-line block ×4, first 2 shown]
	v_fmac_f32_e32 v10, v102, v8
	v_fma_f32 v11, v102, v9, -v11
	v_fmac_f32_e32 v20, v104, v8
	v_fma_f32 v21, v104, v9, -v21
	ds_write2_b64 v136, v[10:11], v[20:21] offset1:67
	v_mul_f32_e32 v10, v107, v9
	v_mul_f32_e32 v20, v110, v9
	v_fmac_f32_e32 v10, v106, v8
	v_mul_f32_e32 v11, v107, v8
	v_fmac_f32_e32 v20, v108, v8
	v_mul_f32_e32 v8, v110, v8
	v_fma_f32 v11, v106, v9, -v11
	v_fma_f32 v21, v108, v9, -v8
	ds_write2_b64 v136, v[10:11], v[20:21] offset0:134 offset1:201
	ds_read2_b64 v[8:11], v135 offset0:33 offset1:34
	ds_read_b64 v[114:115], v135 offset:280
	s_waitcnt lgkmcnt(0)
	s_barrier
	ds_read2_b64 v[24:27], v131 offset1:1
	ds_read2_b64 v[20:23], v131 offset0:2 offset1:3
	s_waitcnt lgkmcnt(0)
	s_barrier
	s_cbranch_vccnz .LBB32_178
; %bb.171:                              ;   in Loop: Header=BB32_129 Depth=1
	s_mov_b32 s13, s12
	v_cmp_gt_i32_e32 vcc, s27, v145
	v_mov_b64_e32 v[116:117], s[12:13]
	s_and_saveexec_b64 s[4:5], vcc
	s_cbranch_execz .LBB32_173
; %bb.172:                              ;   in Loop: Header=BB32_129 Depth=1
	flat_load_dwordx2 v[116:117], v[122:123]
.LBB32_173:                             ;   in Loop: Header=BB32_129 Depth=1
	s_or_b64 exec, exec, s[4:5]
	v_cmp_gt_i32_e32 vcc, s27, v146
	v_mov_b64_e32 v[118:119], s[12:13]
	s_and_saveexec_b64 s[4:5], vcc
	s_cbranch_execz .LBB32_175
; %bb.174:                              ;   in Loop: Header=BB32_129 Depth=1
	v_lshl_add_u64 v[118:119], v[66:67], 0, v[32:33]
	flat_load_dwordx2 v[118:119], v[118:119]
.LBB32_175:                             ;   in Loop: Header=BB32_129 Depth=1
	s_or_b64 exec, exec, s[4:5]
	s_mov_b32 s13, s12
	v_cmp_gt_i32_e32 vcc, s27, v147
	v_mov_b64_e32 v[120:121], s[12:13]
	s_and_saveexec_b64 s[4:5], vcc
	s_cbranch_execz .LBB32_177
; %bb.176:                              ;   in Loop: Header=BB32_129 Depth=1
	v_lshl_add_u64 v[120:121], v[64:65], 0, v[32:33]
	flat_load_dwordx2 v[120:121], v[120:121]
.LBB32_177:                             ;   in Loop: Header=BB32_129 Depth=1
	s_or_b64 exec, exec, s[4:5]
	v_cmp_gt_i32_e64 s[4:5], s27, v148
	s_mov_b32 s13, 0
	s_branch .LBB32_180
.LBB32_178:                             ;   in Loop: Header=BB32_129 Depth=1
	s_mov_b64 s[4:5], 0
                                        ; implicit-def: $sgpr13
                                        ; implicit-def: $vgpr120_vgpr121
                                        ; implicit-def: $vgpr118_vgpr119
                                        ; implicit-def: $vgpr116_vgpr117
	s_cbranch_execz .LBB32_180
; %bb.179:                              ;   in Loop: Header=BB32_129 Depth=1
	s_waitcnt vmcnt(0) lgkmcnt(0)
	v_lshl_add_u64 v[118:119], v[66:67], 0, v[32:33]
	v_lshl_add_u64 v[120:121], v[64:65], 0, v[32:33]
	flat_load_dwordx2 v[116:117], v[122:123]
	s_or_b64 s[4:5], s[4:5], exec
	flat_load_dwordx2 v[118:119], v[118:119]
                                        ; implicit-def: $sgpr13
	s_nop 0
	flat_load_dwordx2 v[120:121], v[120:121]
.LBB32_180:                             ;   in Loop: Header=BB32_129 Depth=1
	v_mov_b32_e32 v122, s13
	v_mov_b32_e32 v124, s13
	s_and_saveexec_b64 s[22:23], s[4:5]
	s_cbranch_execz .LBB32_182
; %bb.181:                              ;   in Loop: Header=BB32_129 Depth=1
	v_lshl_add_u64 v[122:123], v[68:69], 0, v[32:33]
	flat_load_dwordx2 v[122:123], v[122:123]
	s_waitcnt vmcnt(0) lgkmcnt(0)
	v_mov_b32_e32 v124, v123
.LBB32_182:                             ;   in Loop: Header=BB32_129 Depth=1
	s_or_b64 exec, exec, s[22:23]
	v_pk_add_f32 v[24:25], v[24:25], 0 op_sel_hi:[1,0]
	v_pk_add_f32 v[16:17], v[16:17], 0 op_sel_hi:[1,0]
	v_pk_add_f32 v[24:25], v[24:25], v[26:27]
	v_pk_add_f32 v[16:17], v[16:17], v[18:19]
	;; [unrolled: 1-line block ×5, first 2 shown]
	ds_read_b64 v[20:21], v128
	v_pk_add_f32 v[26:27], v[12:13], v[14:15]
	v_pk_add_f32 v[4:5], v[4:5], 0 op_sel_hi:[1,0]
	v_cmp_gt_i32_e32 vcc, s27, v111
	v_pk_add_f32 v[152:153], v[4:5], v[6:7]
	s_waitcnt vmcnt(0) lgkmcnt(0)
	v_mul_f32_e32 v12, v117, v21
	v_mul_f32_e32 v13, v117, v20
	;; [unrolled: 1-line block ×4, first 2 shown]
	v_fmac_f32_e32 v12, v116, v20
	v_fma_f32 v13, v116, v21, -v13
	v_fmac_f32_e32 v14, v118, v20
	v_fma_f32 v15, v118, v21, -v15
	ds_write2_b64 v136, v[12:13], v[14:15] offset1:67
	v_mul_f32_e32 v12, v121, v21
	v_mul_f32_e32 v13, v121, v20
	;; [unrolled: 1-line block ×4, first 2 shown]
	v_fmac_f32_e32 v12, v120, v20
	v_fma_f32 v13, v120, v21, -v13
	v_fmac_f32_e32 v14, v122, v20
	v_fma_f32 v15, v122, v21, -v15
	ds_write2_b64 v136, v[12:13], v[14:15] offset0:134 offset1:201
	ds_read_b128 v[16:19], v135 offset:384
	ds_read_b128 v[12:15], v135 offset:400
	s_waitcnt lgkmcnt(0)
	s_barrier
	ds_read2_b64 v[20:23], v131 offset1:1
	ds_read2_b64 v[4:7], v131 offset0:2 offset1:3
	v_pk_add_f32 v[0:1], v[152:153], v[0:1]
	s_or_b64 s[4:5], s[14:15], vcc
	v_pk_add_f32 v[0:1], v[0:1], v[2:3]
	s_waitcnt lgkmcnt(1)
	v_pk_add_f32 v[2:3], v[20:21], 0 op_sel_hi:[1,0]
	s_and_b64 s[14:15], s[6:7], s[4:5]
	v_pk_add_f32 v[2:3], v[2:3], v[22:23]
	s_waitcnt lgkmcnt(0)
	v_pk_add_f32 v[2:3], v[2:3], v[4:5]
	s_barrier
	v_pk_add_f32 v[2:3], v[2:3], v[6:7]
	ds_write2_b64 v150, v[0:1], v[26:27] offset1:16
	ds_write2_b64 v150, v[24:25], v[2:3] offset0:32 offset1:48
	s_waitcnt lgkmcnt(0)
	s_barrier
	s_and_saveexec_b64 s[4:5], s[14:15]
	s_cbranch_execz .LBB32_128
; %bb.183:                              ;   in Loop: Header=BB32_129 Depth=1
	ds_read_b64 v[20:21], v129
	ds_read2_b64 v[0:3], v129 offset0:1 offset1:2
	ds_read2_b64 v[4:7], v129 offset0:3 offset1:4
	v_add_u32_e32 v22, s26, v149
	v_ashrrev_i32_e32 v23, 31, v22
	v_lshl_add_u64 v[24:25], v[22:23], 3, s[8:9]
	s_waitcnt lgkmcnt(1)
	v_add_f32_e32 v0, v0, v20
	v_add_f32_e32 v1, v1, v21
	v_add_f32_e32 v20, v0, v2
	v_add_f32_e32 v21, v1, v3
	ds_read2_b64 v[0:3], v129 offset0:5 offset1:6
	s_waitcnt lgkmcnt(1)
	v_add_f32_e32 v4, v20, v4
	v_add_f32_e32 v5, v21, v5
	;; [unrolled: 1-line block ×4, first 2 shown]
	ds_read2_b64 v[4:7], v129 offset0:7 offset1:8
	s_waitcnt lgkmcnt(1)
	v_pk_add_f32 v[0:1], v[20:21], v[0:1]
	ds_read2_b64 v[20:23], v129 offset0:9 offset1:10
	v_pk_add_f32 v[0:1], v[0:1], v[2:3]
	s_waitcnt lgkmcnt(1)
	v_pk_add_f32 v[0:1], v[0:1], v[4:5]
	s_nop 0
	v_pk_add_f32 v[4:5], v[0:1], v[6:7]
	ds_read2_b64 v[0:3], v129 offset0:11 offset1:12
	s_waitcnt lgkmcnt(1)
	v_pk_add_f32 v[20:21], v[4:5], v[20:21]
	ds_read2_b64 v[4:7], v129 offset0:13 offset1:14
	v_pk_add_f32 v[20:21], v[20:21], v[22:23]
	ds_read_b64 v[22:23], v130
	s_waitcnt lgkmcnt(2)
	v_pk_add_f32 v[0:1], v[20:21], v[0:1]
	s_nop 0
	v_pk_add_f32 v[0:1], v[0:1], v[2:3]
	s_waitcnt lgkmcnt(1)
	v_pk_add_f32 v[0:1], v[0:1], v[4:5]
	s_nop 0
	v_pk_add_f32 v[0:1], v[0:1], v[6:7]
	s_waitcnt lgkmcnt(0)
	v_pk_add_f32 v[0:1], v[0:1], v[22:23]
	global_store_dwordx2 v[24:25], v[0:1], off
	s_branch .LBB32_128
.LBB32_184:
	s_movk_i32 s2, 0x218
	v_cmp_gt_i32_e32 vcc, s18, v111
	v_mad_u32_u24 v0, v125, s2, v32
	s_or_b64 s[2:3], s[20:21], vcc
	s_and_b64 s[0:1], s[0:1], s[2:3]
	ds_write_b64 v0, v[30:31]
	s_waitcnt lgkmcnt(0)
	s_barrier
	s_and_saveexec_b64 s[2:3], s[0:1]
	s_cbranch_execz .LBB32_186
; %bb.185:
	ds_read2_b64 v[0:3], v32 offset1:67
	ds_read2_b64 v[4:7], v32 offset0:134 offset1:201
	v_lshl_add_u64 v[8:9], v[28:29], 3, s[8:9]
	s_waitcnt lgkmcnt(1)
	v_pk_add_f32 v[0:1], v[2:3], v[0:1]
	s_waitcnt lgkmcnt(0)
	v_pk_add_f32 v[0:1], v[0:1], v[4:5]
	s_nop 0
	v_pk_add_f32 v[0:1], v[0:1], v[6:7]
	global_store_dwordx2 v[8:9], v[0:1], off
.LBB32_186:
	s_endpgm
	.section	.rodata,"a",@progbits
	.p2align	6, 0x0
	.amdhsa_kernel _ZL26rocblas_hemvn_kernel_upperILb1ELi64ELi4ELi33ELi32ELi16ElPK19rocblas_complex_numIfEPKS3_PS1_EviT6_lT7_lT5_lS8_lS9_lS7_lT8_i
		.amdhsa_group_segment_fixed_size 9600
		.amdhsa_private_segment_fixed_size 0
		.amdhsa_kernarg_size 376
		.amdhsa_user_sgpr_count 2
		.amdhsa_user_sgpr_dispatch_ptr 0
		.amdhsa_user_sgpr_queue_ptr 0
		.amdhsa_user_sgpr_kernarg_segment_ptr 1
		.amdhsa_user_sgpr_dispatch_id 0
		.amdhsa_user_sgpr_kernarg_preload_length 0
		.amdhsa_user_sgpr_kernarg_preload_offset 0
		.amdhsa_user_sgpr_private_segment_size 0
		.amdhsa_uses_dynamic_stack 0
		.amdhsa_enable_private_segment 0
		.amdhsa_system_sgpr_workgroup_id_x 1
		.amdhsa_system_sgpr_workgroup_id_y 0
		.amdhsa_system_sgpr_workgroup_id_z 1
		.amdhsa_system_sgpr_workgroup_info 0
		.amdhsa_system_vgpr_workitem_id 1
		.amdhsa_next_free_vgpr 154
		.amdhsa_next_free_sgpr 39
		.amdhsa_accum_offset 156
		.amdhsa_reserve_vcc 1
		.amdhsa_float_round_mode_32 0
		.amdhsa_float_round_mode_16_64 0
		.amdhsa_float_denorm_mode_32 3
		.amdhsa_float_denorm_mode_16_64 3
		.amdhsa_dx10_clamp 1
		.amdhsa_ieee_mode 1
		.amdhsa_fp16_overflow 0
		.amdhsa_tg_split 0
		.amdhsa_exception_fp_ieee_invalid_op 0
		.amdhsa_exception_fp_denorm_src 0
		.amdhsa_exception_fp_ieee_div_zero 0
		.amdhsa_exception_fp_ieee_overflow 0
		.amdhsa_exception_fp_ieee_underflow 0
		.amdhsa_exception_fp_ieee_inexact 0
		.amdhsa_exception_int_div_zero 0
	.end_amdhsa_kernel
	.section	.text._ZL26rocblas_hemvn_kernel_upperILb1ELi64ELi4ELi33ELi32ELi16ElPK19rocblas_complex_numIfEPKS3_PS1_EviT6_lT7_lT5_lS8_lS9_lS7_lT8_i,"axG",@progbits,_ZL26rocblas_hemvn_kernel_upperILb1ELi64ELi4ELi33ELi32ELi16ElPK19rocblas_complex_numIfEPKS3_PS1_EviT6_lT7_lT5_lS8_lS9_lS7_lT8_i,comdat
.Lfunc_end32:
	.size	_ZL26rocblas_hemvn_kernel_upperILb1ELi64ELi4ELi33ELi32ELi16ElPK19rocblas_complex_numIfEPKS3_PS1_EviT6_lT7_lT5_lS8_lS9_lS7_lT8_i, .Lfunc_end32-_ZL26rocblas_hemvn_kernel_upperILb1ELi64ELi4ELi33ELi32ELi16ElPK19rocblas_complex_numIfEPKS3_PS1_EviT6_lT7_lT5_lS8_lS9_lS7_lT8_i
                                        ; -- End function
	.section	.AMDGPU.csdata,"",@progbits
; Kernel info:
; codeLenInByte = 9288
; NumSgprs: 45
; NumVgprs: 154
; NumAgprs: 0
; TotalNumVgprs: 154
; ScratchSize: 0
; MemoryBound: 1
; FloatMode: 240
; IeeeMode: 1
; LDSByteSize: 9600 bytes/workgroup (compile time only)
; SGPRBlocks: 5
; VGPRBlocks: 19
; NumSGPRsForWavesPerEU: 45
; NumVGPRsForWavesPerEU: 154
; AccumOffset: 156
; Occupancy: 3
; WaveLimiterHint : 1
; COMPUTE_PGM_RSRC2:SCRATCH_EN: 0
; COMPUTE_PGM_RSRC2:USER_SGPR: 2
; COMPUTE_PGM_RSRC2:TRAP_HANDLER: 0
; COMPUTE_PGM_RSRC2:TGID_X_EN: 1
; COMPUTE_PGM_RSRC2:TGID_Y_EN: 0
; COMPUTE_PGM_RSRC2:TGID_Z_EN: 1
; COMPUTE_PGM_RSRC2:TIDIG_COMP_CNT: 1
; COMPUTE_PGM_RSRC3_GFX90A:ACCUM_OFFSET: 38
; COMPUTE_PGM_RSRC3_GFX90A:TG_SPLIT: 0
	.section	.text._ZL36rocblas_hemvn_kernel_upper_block_sumILi64ElPK19rocblas_complex_numIfEPKPS1_S1_EviT1_lS7_lT2_lT0_lPT3_i,"axG",@progbits,_ZL36rocblas_hemvn_kernel_upper_block_sumILi64ElPK19rocblas_complex_numIfEPKPS1_S1_EviT1_lS7_lT2_lT0_lPT3_i,comdat
	.globl	_ZL36rocblas_hemvn_kernel_upper_block_sumILi64ElPK19rocblas_complex_numIfEPKPS1_S1_EviT1_lS7_lT2_lT0_lPT3_i ; -- Begin function _ZL36rocblas_hemvn_kernel_upper_block_sumILi64ElPK19rocblas_complex_numIfEPKPS1_S1_EviT1_lS7_lT2_lT0_lPT3_i
	.p2align	8
	.type	_ZL36rocblas_hemvn_kernel_upper_block_sumILi64ElPK19rocblas_complex_numIfEPKPS1_S1_EviT1_lS7_lT2_lT0_lPT3_i,@function
_ZL36rocblas_hemvn_kernel_upper_block_sumILi64ElPK19rocblas_complex_numIfEPKPS1_S1_EviT1_lS7_lT2_lT0_lPT3_i: ; @_ZL36rocblas_hemvn_kernel_upper_block_sumILi64ElPK19rocblas_complex_numIfEPKPS1_S1_EviT1_lS7_lT2_lT0_lPT3_i
; %bb.0:
	s_load_dwordx8 s[16:23], s[0:1], 0x8
	s_mov_b32 s14, s3
	s_mov_b32 s15, 0
	s_waitcnt lgkmcnt(0)
	s_mul_i32 s3, s3, s19
	s_mul_hi_u32 s4, s14, s18
	s_add_i32 s5, s4, s3
	s_mul_i32 s4, s14, s18
	s_lshl_b64 s[4:5], s[4:5], 3
	s_add_u32 s4, s16, s4
	s_mul_i32 s3, s14, s23
	s_mul_hi_u32 s6, s14, s22
	s_addc_u32 s5, s17, s5
	s_add_i32 s7, s6, s3
	s_mul_i32 s6, s14, s22
	s_load_dwordx2 s[8:9], s[4:5], 0x0
	s_lshl_b64 s[4:5], s[6:7], 3
	s_add_u32 s4, s20, s4
	s_addc_u32 s5, s21, s5
	s_load_dwordx2 s[10:11], s[4:5], 0x0
	s_waitcnt lgkmcnt(0)
	s_or_b32 s3, s8, s9
	s_bitset0_b32 s3, 31
	s_cmp_eq_u32 s3, 0
	s_cselect_b64 s[18:19], -1, 0
	v_cmp_eq_f32_e64 s[4:5], s10, 1.0
	v_cmp_eq_f32_e64 s[6:7], s11, 0
	s_and_b64 s[4:5], s[4:5], s[6:7]
	s_and_b64 s[4:5], s[18:19], s[4:5]
	s_and_b64 vcc, exec, s[4:5]
	s_cbranch_vccnz .LBB33_17
; %bb.1:
	s_load_dwordx2 s[12:13], s[0:1], 0x28
	s_load_dword s16, s[0:1], 0x0
	s_load_dwordx4 s[4:7], s[0:1], 0x30
	s_lshl_b64 s[20:21], s[14:15], 3
	v_lshl_or_b32 v0, s2, 6, v0
	s_waitcnt lgkmcnt(0)
	s_add_u32 s12, s12, s20
	s_addc_u32 s13, s13, s21
	s_load_dwordx2 s[12:13], s[12:13], 0x0
	s_lshl_b64 s[4:5], s[4:5], 3
	s_mov_b64 s[20:21], -1
	s_waitcnt lgkmcnt(0)
	s_add_u32 s12, s12, s4
	s_addc_u32 s13, s13, s5
	s_andn2_b64 vcc, exec, s[18:19]
	v_cmp_gt_i32_e64 s[4:5], s16, v0
	s_cbranch_vccnz .LBB33_7
; %bb.2:
	s_and_saveexec_b64 s[18:19], s[4:5]
	s_cbranch_execz .LBB33_6
; %bb.3:
	v_ashrrev_i32_e32 v1, 31, v0
	v_cmp_neq_f32_e64 s[4:5], s10, 0
	v_cmp_neq_f32_e64 s[20:21], s11, 0
	v_mul_lo_u32 v4, v0, s7
	v_mul_lo_u32 v1, v1, s6
	v_mad_u64_u32 v[2:3], s[22:23], v0, s6, 0
	v_add3_u32 v3, v3, v4, v1
	s_or_b64 s[4:5], s[4:5], s[20:21]
	s_andn2_b64 vcc, exec, s[4:5]
	v_mov_b32_e32 v4, 0
	v_lshl_add_u64 v[2:3], v[2:3], 3, s[12:13]
	v_mov_b32_e32 v5, 0
	s_cbranch_vccnz .LBB33_5
; %bb.4:
	global_load_dwordx2 v[6:7], v[2:3], off
	s_waitcnt vmcnt(0)
	v_pk_mul_f32 v[8:9], v[6:7], s[10:11] op_sel:[1,0]
	s_nop 0
	v_pk_fma_f32 v[4:5], v[6:7], s[10:11], v[8:9] op_sel:[0,0,1] op_sel_hi:[1,1,0] neg_lo:[0,0,1] neg_hi:[0,0,1]
	v_pk_fma_f32 v[6:7], v[6:7], s[10:11], v[8:9] op_sel:[0,0,1] op_sel_hi:[0,1,0]
	v_mov_b32_e32 v5, v7
.LBB33_5:
	global_store_dwordx2 v[2:3], v[4:5], off
.LBB33_6:
	s_or_b64 exec, exec, s[18:19]
	s_mov_b64 s[20:21], 0
.LBB33_7:
	s_andn2_b64 vcc, exec, s[20:21]
	s_cbranch_vccnz .LBB33_17
; %bb.8:
	v_cmp_gt_i32_e32 vcc, s16, v0
	s_and_saveexec_b64 s[4:5], vcc
	s_cbranch_execz .LBB33_17
; %bb.9:
	v_mov_b32_e32 v3, 0
	v_ashrrev_i32_e32 v1, 31, v0
	s_cmp_lt_i32 s2, 0
	v_mov_b32_e32 v2, v3
	s_cbranch_scc1 .LBB33_12
; %bb.10:
	s_load_dwordx2 s[4:5], s[0:1], 0x48
	s_load_dword s3, s[0:1], 0x58
	s_ashr_i32 s17, s16, 31
	s_mul_hi_u32 s0, s16, s14
	s_mul_i32 s1, s17, s14
	s_add_i32 s0, s0, s1
	s_mul_i32 s14, s16, s14
	s_waitcnt lgkmcnt(0)
	s_mul_i32 s0, s0, s3
	s_mul_hi_u32 s1, s14, s3
	s_add_i32 s1, s1, s0
	s_mul_i32 s0, s14, s3
	s_lshl_b64 s[0:1], s[0:1], 3
	s_add_u32 s0, s4, s0
	s_addc_u32 s1, s5, s1
	v_mov_b32_e32 v2, 0
	v_lshl_add_u64 v[4:5], v[0:1], 3, s[0:1]
	s_add_i32 s2, s2, 1
	s_lshl_b64 s[0:1], s[16:17], 3
	v_mov_b32_e32 v3, v2
.LBB33_11:                              ; =>This Inner Loop Header: Depth=1
	global_load_dwordx2 v[6:7], v[4:5], off
	s_add_i32 s2, s2, -1
	v_lshl_add_u64 v[4:5], v[4:5], 0, s[0:1]
	s_cmp_eq_u32 s2, 0
	s_waitcnt vmcnt(0)
	v_pk_add_f32 v[2:3], v[2:3], v[6:7]
	s_cbranch_scc0 .LBB33_11
.LBB33_12:
	v_cmp_neq_f32_e64 s[0:1], s10, 0
	v_cmp_neq_f32_e64 s[2:3], s11, 0
	s_or_b64 s[0:1], s[0:1], s[2:3]
	v_pk_mul_f32 v[8:9], v[2:3], s[8:9] op_sel:[1,0]
	s_andn2_b64 vcc, exec, s[0:1]
	v_pk_fma_f32 v[4:5], v[2:3], s[8:9], v[8:9] op_sel:[0,0,1] op_sel_hi:[0,1,0]
	v_mul_lo_u32 v1, v1, s6
	v_mul_lo_u32 v10, v0, s7
	s_cbranch_vccz .LBB33_14
; %bb.13:
	v_pk_mul_f32 v[12:13], v[2:3], s[8:9] op_sel_hi:[0,1]
	v_mad_u64_u32 v[6:7], s[0:1], v0, s6, 0
	v_add3_u32 v7, v7, v10, v1
	v_sub_f32_e32 v4, v12, v9
	s_cbranch_execz .LBB33_15
	s_branch .LBB33_16
.LBB33_14:
                                        ; implicit-def: $vgpr6_vgpr7
.LBB33_15:
	v_mad_u64_u32 v[6:7], s[0:1], v0, s6, 0
	v_add3_u32 v7, v7, v10, v1
	v_lshl_add_u64 v[0:1], v[6:7], 3, s[12:13]
	global_load_dwordx2 v[0:1], v[0:1], off
	v_pk_fma_f32 v[2:3], v[2:3], s[8:9], v[8:9] op_sel:[0,0,1] op_sel_hi:[1,1,0] neg_lo:[0,0,1] neg_hi:[0,0,1]
	s_waitcnt vmcnt(0)
	v_pk_mul_f32 v[8:9], v[0:1], s[10:11] op_sel:[1,0]
	s_nop 0
	v_pk_fma_f32 v[10:11], v[0:1], s[10:11], v[8:9] op_sel:[0,0,1] op_sel_hi:[1,1,0] neg_lo:[0,0,1] neg_hi:[0,0,1]
	v_pk_fma_f32 v[0:1], v[0:1], s[10:11], v[8:9] op_sel:[0,0,1] op_sel_hi:[0,1,0]
	v_mov_b32_e32 v11, v1
	v_mov_b32_e32 v3, v5
	v_pk_add_f32 v[4:5], v[2:3], v[10:11]
.LBB33_16:
	v_lshl_add_u64 v[0:1], v[6:7], 3, s[12:13]
	global_store_dwordx2 v[0:1], v[4:5], off
.LBB33_17:
	s_endpgm
	.section	.rodata,"a",@progbits
	.p2align	6, 0x0
	.amdhsa_kernel _ZL36rocblas_hemvn_kernel_upper_block_sumILi64ElPK19rocblas_complex_numIfEPKPS1_S1_EviT1_lS7_lT2_lT0_lPT3_i
		.amdhsa_group_segment_fixed_size 0
		.amdhsa_private_segment_fixed_size 0
		.amdhsa_kernarg_size 344
		.amdhsa_user_sgpr_count 2
		.amdhsa_user_sgpr_dispatch_ptr 0
		.amdhsa_user_sgpr_queue_ptr 0
		.amdhsa_user_sgpr_kernarg_segment_ptr 1
		.amdhsa_user_sgpr_dispatch_id 0
		.amdhsa_user_sgpr_kernarg_preload_length 0
		.amdhsa_user_sgpr_kernarg_preload_offset 0
		.amdhsa_user_sgpr_private_segment_size 0
		.amdhsa_uses_dynamic_stack 0
		.amdhsa_enable_private_segment 0
		.amdhsa_system_sgpr_workgroup_id_x 1
		.amdhsa_system_sgpr_workgroup_id_y 0
		.amdhsa_system_sgpr_workgroup_id_z 1
		.amdhsa_system_sgpr_workgroup_info 0
		.amdhsa_system_vgpr_workitem_id 0
		.amdhsa_next_free_vgpr 14
		.amdhsa_next_free_sgpr 24
		.amdhsa_accum_offset 16
		.amdhsa_reserve_vcc 1
		.amdhsa_float_round_mode_32 0
		.amdhsa_float_round_mode_16_64 0
		.amdhsa_float_denorm_mode_32 3
		.amdhsa_float_denorm_mode_16_64 3
		.amdhsa_dx10_clamp 1
		.amdhsa_ieee_mode 1
		.amdhsa_fp16_overflow 0
		.amdhsa_tg_split 0
		.amdhsa_exception_fp_ieee_invalid_op 0
		.amdhsa_exception_fp_denorm_src 0
		.amdhsa_exception_fp_ieee_div_zero 0
		.amdhsa_exception_fp_ieee_overflow 0
		.amdhsa_exception_fp_ieee_underflow 0
		.amdhsa_exception_fp_ieee_inexact 0
		.amdhsa_exception_int_div_zero 0
	.end_amdhsa_kernel
	.section	.text._ZL36rocblas_hemvn_kernel_upper_block_sumILi64ElPK19rocblas_complex_numIfEPKPS1_S1_EviT1_lS7_lT2_lT0_lPT3_i,"axG",@progbits,_ZL36rocblas_hemvn_kernel_upper_block_sumILi64ElPK19rocblas_complex_numIfEPKPS1_S1_EviT1_lS7_lT2_lT0_lPT3_i,comdat
.Lfunc_end33:
	.size	_ZL36rocblas_hemvn_kernel_upper_block_sumILi64ElPK19rocblas_complex_numIfEPKPS1_S1_EviT1_lS7_lT2_lT0_lPT3_i, .Lfunc_end33-_ZL36rocblas_hemvn_kernel_upper_block_sumILi64ElPK19rocblas_complex_numIfEPKPS1_S1_EviT1_lS7_lT2_lT0_lPT3_i
                                        ; -- End function
	.section	.AMDGPU.csdata,"",@progbits
; Kernel info:
; codeLenInByte = 760
; NumSgprs: 30
; NumVgprs: 14
; NumAgprs: 0
; TotalNumVgprs: 14
; ScratchSize: 0
; MemoryBound: 0
; FloatMode: 240
; IeeeMode: 1
; LDSByteSize: 0 bytes/workgroup (compile time only)
; SGPRBlocks: 3
; VGPRBlocks: 1
; NumSGPRsForWavesPerEU: 30
; NumVGPRsForWavesPerEU: 14
; AccumOffset: 16
; Occupancy: 8
; WaveLimiterHint : 1
; COMPUTE_PGM_RSRC2:SCRATCH_EN: 0
; COMPUTE_PGM_RSRC2:USER_SGPR: 2
; COMPUTE_PGM_RSRC2:TRAP_HANDLER: 0
; COMPUTE_PGM_RSRC2:TGID_X_EN: 1
; COMPUTE_PGM_RSRC2:TGID_Y_EN: 0
; COMPUTE_PGM_RSRC2:TGID_Z_EN: 1
; COMPUTE_PGM_RSRC2:TIDIG_COMP_CNT: 0
; COMPUTE_PGM_RSRC3_GFX90A:ACCUM_OFFSET: 3
; COMPUTE_PGM_RSRC3_GFX90A:TG_SPLIT: 0
	.section	.text._ZL26rocblas_hemvn_kernel_upperILb1ELi64ELi4ELi33ELi32ELi16EiPK19rocblas_complex_numIfEPKS3_PS1_EviT6_lT7_lT5_lS8_lS9_lS7_lT8_i,"axG",@progbits,_ZL26rocblas_hemvn_kernel_upperILb1ELi64ELi4ELi33ELi32ELi16EiPK19rocblas_complex_numIfEPKS3_PS1_EviT6_lT7_lT5_lS8_lS9_lS7_lT8_i,comdat
	.globl	_ZL26rocblas_hemvn_kernel_upperILb1ELi64ELi4ELi33ELi32ELi16EiPK19rocblas_complex_numIfEPKS3_PS1_EviT6_lT7_lT5_lS8_lS9_lS7_lT8_i ; -- Begin function _ZL26rocblas_hemvn_kernel_upperILb1ELi64ELi4ELi33ELi32ELi16EiPK19rocblas_complex_numIfEPKS3_PS1_EviT6_lT7_lT5_lS8_lS9_lS7_lT8_i
	.p2align	8
	.type	_ZL26rocblas_hemvn_kernel_upperILb1ELi64ELi4ELi33ELi32ELi16EiPK19rocblas_complex_numIfEPKS3_PS1_EviT6_lT7_lT5_lS8_lS9_lS7_lT8_i,@function
_ZL26rocblas_hemvn_kernel_upperILb1ELi64ELi4ELi33ELi32ELi16EiPK19rocblas_complex_numIfEPKS3_PS1_EviT6_lT7_lT5_lS8_lS9_lS7_lT8_i: ; @_ZL26rocblas_hemvn_kernel_upperILb1ELi64ELi4ELi33ELi32ELi16EiPK19rocblas_complex_numIfEPKS3_PS1_EviT6_lT7_lT5_lS8_lS9_lS7_lT8_i
; %bb.0:
	s_load_dwordx2 s[4:5], s[0:1], 0x84
	s_add_u32 s12, s0, 0x78
	s_mov_b32 s20, s3
	s_addc_u32 s13, s1, 0
	s_waitcnt lgkmcnt(0)
	s_and_b32 s3, s5, 0xffff
	s_lshr_b32 s5, s4, 16
	s_and_b32 s4, s4, 0xffff
	s_mul_i32 s4, s5, s4
	s_mul_i32 s4, s4, s3
	s_cmpk_lg_i32 s4, 0x100
	s_cbranch_scc1 .LBB34_186
; %bb.1:
	s_load_dwordx8 s[4:11], s[0:1], 0x8
	s_mov_b32 s21, 0
	s_waitcnt lgkmcnt(0)
	s_mul_i32 s3, s20, s7
	s_mul_hi_u32 s7, s20, s6
	s_add_i32 s7, s7, s3
	s_mul_i32 s6, s20, s6
	s_lshl_b64 s[6:7], s[6:7], 3
	s_add_u32 s14, s4, s6
	s_addc_u32 s15, s5, s7
	s_load_dwordx2 s[16:17], s[14:15], 0x0
	s_load_dwordx2 s[24:25], s[0:1], 0x68
	s_load_dwordx4 s[4:7], s[0:1], 0x58
	s_waitcnt lgkmcnt(0)
	s_or_b32 s3, s16, s17
	s_bitset0_b32 s3, 31
	s_cmp_lg_u32 s3, 0
	s_cselect_b64 s[14:15], -1, 0
	s_and_b64 vcc, exec, s[14:15]
	s_cbranch_vccnz .LBB34_4
; %bb.2:
	s_mul_i32 s3, s20, s7
	s_mul_hi_u32 s7, s20, s6
	s_add_i32 s7, s7, s3
	s_mul_i32 s6, s20, s6
	s_lshl_b64 s[6:7], s[6:7], 3
	s_add_u32 s4, s4, s6
	s_addc_u32 s5, s5, s7
	s_load_dwordx2 s[4:5], s[4:5], 0x0
	s_mov_b64 s[16:17], 0
	s_waitcnt lgkmcnt(0)
	v_cmp_eq_f32_e64 s[6:7], s4, 1.0
	v_cmp_eq_f32_e64 s[4:5], s5, 0
	s_and_b64 s[4:5], s[6:7], s[4:5]
	s_andn2_b64 vcc, exec, s[4:5]
	s_mov_b64 s[4:5], 0
                                        ; implicit-def: $sgpr6_sgpr7
	s_cbranch_vccz .LBB34_5
; %bb.3:
	s_mov_b64 s[4:5], -1
	s_mov_b64 s[6:7], 0
	s_branch .LBB34_5
.LBB34_4:
	s_mov_b64 s[16:17], -1
	s_mov_b64 s[4:5], 0
                                        ; implicit-def: $sgpr6_sgpr7
.LBB34_5:
	s_and_b64 vcc, exec, s[16:17]
	s_cbranch_vccz .LBB34_7
; %bb.6:
	s_lshl_b64 s[4:5], s[20:21], 3
	s_add_u32 s4, s8, s4
	s_addc_u32 s5, s9, s5
	s_load_dwordx2 s[4:5], s[4:5], 0x0
	s_lshl_b64 s[6:7], s[10:11], 3
	s_waitcnt lgkmcnt(0)
	s_add_u32 s6, s4, s6
	s_addc_u32 s7, s5, s7
	s_mov_b64 s[4:5], -1
.LBB34_7:
	s_andn2_b64 vcc, exec, s[4:5]
	s_cbranch_vccnz .LBB34_186
; %bb.8:
	v_cndmask_b32_e64 v1, 0, 1, s[14:15]
	v_cmp_ne_u32_e64 s[4:5], 1, v1
	s_andn2_b64 vcc, exec, s[14:15]
	s_mov_b64 s[8:9], 0
	s_cbranch_vccnz .LBB34_10
; %bb.9:
	s_load_dwordx4 s[8:11], s[0:1], 0x38
	s_lshl_b64 s[14:15], s[20:21], 3
	s_waitcnt lgkmcnt(0)
	s_add_u32 s8, s8, s14
	s_addc_u32 s9, s9, s15
	s_load_dwordx2 s[8:9], s[8:9], 0x0
	s_lshl_b64 s[10:11], s[10:11], 3
	s_waitcnt lgkmcnt(0)
	s_add_u32 s8, s8, s10
	s_addc_u32 s9, s9, s11
.LBB34_10:
	s_and_b64 vcc, exec, s[4:5]
	s_cbranch_vccnz .LBB34_186
; %bb.11:
	s_load_dword s3, s[12:13], 0x0
	s_load_dword s36, s[0:1], 0x0
	;; [unrolled: 1-line block ×3, first 2 shown]
	v_and_b32_e32 v30, 0x3ff, v0
	s_lshl_b32 s26, s2, 6
	v_add_u32_e32 v28, s26, v30
	s_waitcnt lgkmcnt(0)
	s_ashr_i32 s37, s36, 31
	s_lshr_b32 s5, s37, 26
	s_add_i32 s5, s36, s5
	s_andn2_b32 s5, s5, 63
	v_bfe_u32 v29, v0, 10, 10
	s_add_i32 s4, s3, -1
	s_sub_i32 s33, s36, s5
	v_mul_lo_u32 v0, v28, s21
	s_cmp_eq_u32 s2, s4
	v_ashrrev_i32_e32 v1, 31, v0
	s_cselect_b32 s16, s33, 0
	v_lshl_add_u64 v[14:15], v[0:1], 3, s[8:9]
	v_cmp_eq_u32_e64 s[12:13], 0, v29
	s_and_saveexec_b64 s[4:5], s[12:13]
	s_cbranch_execz .LBB34_16
; %bb.12:
	s_cmp_lg_u32 s16, 0
	s_cselect_b64 s[8:9], -1, 0
	v_cmp_le_i32_e32 vcc, s16, v30
	v_mov_b32_e32 v0, 0x2380
	s_and_b64 s[8:9], s[8:9], vcc
	v_lshl_add_u32 v0, v30, 3, v0
	s_and_saveexec_b64 s[10:11], s[8:9]
	s_xor_b64 s[8:9], exec, s[10:11]
	s_cbranch_execz .LBB34_14
; %bb.13:
	v_mov_b32_e32 v2, 0
	v_mov_b32_e32 v3, v2
	ds_write_b64 v0, v[2:3]
                                        ; implicit-def: $vgpr0
.LBB34_14:
	s_andn2_saveexec_b64 s[8:9], s[8:9]
	s_cbranch_execz .LBB34_16
; %bb.15:
	flat_load_dwordx2 v[2:3], v[14:15]
	s_waitcnt vmcnt(0) lgkmcnt(0)
	ds_write_b64 v0, v[2:3]
.LBB34_16:
	s_or_b64 exec, exec, s[4:5]
	s_load_dword s22, s[0:1], 0x28
	s_ashr_i32 s27, s26, 31
	v_lshl_add_u32 v22, v29, 6, v30
	s_lshl_b64 s[0:1], s[26:27], 3
	v_and_b32_e32 v0, 31, v30
	v_lshrrev_b32_e32 v1, 5, v22
	s_add_u32 s4, s6, s0
	s_addc_u32 s5, s7, s1
	s_waitcnt lgkmcnt(0)
	v_mad_u64_u32 v[12:13], s[0:1], v1, s22, v[0:1]
	s_mul_i32 s0, s26, s22
	s_ashr_i32 s1, s0, 31
	s_lshl_b64 s[0:1], s[0:1], 3
	s_add_u32 s0, s0, s4
	s_addc_u32 s1, s1, s5
	s_cmp_eq_u32 s16, 0
	s_cselect_b64 s[18:19], -1, 0
	s_cmp_lg_u32 s16, 0
	v_ashrrev_i32_e32 v13, 31, v12
	s_cselect_b64 s[30:31], -1, 0
	v_lshl_add_u64 v[6:7], v[12:13], 3, s[0:1]
	s_and_b64 vcc, exec, s[30:31]
	v_cmp_gt_i32_e64 s[0:1], s16, v0
	v_lshlrev_b32_e32 v2, 3, v0
	s_cbranch_vccz .LBB34_32
; %bb.17:
	v_sub_co_u32_e32 v4, vcc, v6, v2
	s_ashr_i32 s17, s16, 31
	s_nop 0
	v_subbrev_co_u32_e32 v5, vcc, 0, v7, vcc
	v_lshl_add_u64 v[4:5], s[16:17], 3, v[4:5]
	v_lshl_add_u64 v[4:5], v[4:5], 0, -8
	v_mov_b32_e32 v8, 0
	v_cndmask_b32_e64 v5, v5, v7, s[0:1]
	v_cndmask_b32_e64 v4, v4, v6, s[0:1]
	v_cmp_gt_i32_e32 vcc, s16, v1
	v_mov_b32_e32 v9, v8
	s_and_saveexec_b64 s[4:5], vcc
	s_cbranch_execz .LBB34_19
; %bb.18:
	flat_load_dwordx2 v[8:9], v[4:5]
.LBB34_19:
	s_or_b64 exec, exec, s[4:5]
	v_mul_u32_u24_e32 v3, 33, v1
	v_add_lshl_u32 v3, v3, v0, 3
	s_waitcnt vmcnt(0) lgkmcnt(0)
	ds_write_b64 v3, v[8:9]
	v_add_u32_e32 v8, 8, v1
	v_cmp_le_i32_e32 vcc, s16, v8
	s_and_saveexec_b64 s[4:5], vcc
	s_xor_b64 s[4:5], exec, s[4:5]
	s_cbranch_execz .LBB34_21
; %bb.20:
	v_mul_u32_u24_e32 v8, 33, v8
	v_add_lshl_u32 v10, v8, v0, 3
	v_mov_b32_e32 v8, 0
	v_mov_b32_e32 v9, v8
	ds_write_b64 v10, v[8:9]
.LBB34_21:
	s_andn2_saveexec_b64 s[4:5], s[4:5]
	s_cbranch_execz .LBB34_23
; %bb.22:
	s_lshl_b32 s6, s22, 3
	s_ashr_i32 s7, s6, 31
	v_lshl_add_u64 v[8:9], s[6:7], 3, v[4:5]
	flat_load_dwordx2 v[8:9], v[8:9]
	s_waitcnt vmcnt(0) lgkmcnt(0)
	ds_write_b64 v3, v[8:9] offset:2112
.LBB34_23:
	s_or_b64 exec, exec, s[4:5]
	v_add_u32_e32 v8, 16, v1
	v_cmp_le_i32_e32 vcc, s16, v8
	s_and_saveexec_b64 s[4:5], vcc
	s_xor_b64 s[4:5], exec, s[4:5]
	s_cbranch_execz .LBB34_25
; %bb.24:
	v_mov_b32_e32 v8, 0
	v_mov_b32_e32 v9, v8
	ds_write_b64 v3, v[8:9] offset:4224
.LBB34_25:
	s_andn2_saveexec_b64 s[4:5], s[4:5]
	s_cbranch_execz .LBB34_27
; %bb.26:
	s_lshl_b32 s6, s22, 4
	s_ashr_i32 s7, s6, 31
	v_lshl_add_u64 v[8:9], s[6:7], 3, v[4:5]
	flat_load_dwordx2 v[8:9], v[8:9]
	s_waitcnt vmcnt(0) lgkmcnt(0)
	ds_write_b64 v3, v[8:9] offset:4224
.LBB34_27:
	s_or_b64 exec, exec, s[4:5]
	v_add_u32_e32 v8, 24, v1
	v_cmp_le_i32_e32 vcc, s16, v8
	s_and_saveexec_b64 s[4:5], vcc
	s_xor_b64 s[4:5], exec, s[4:5]
	s_cbranch_execz .LBB34_29
; %bb.28:
	v_mov_b32_e32 v8, 0
	v_mov_b32_e32 v9, v8
	ds_write_b64 v3, v[8:9] offset:6336
                                        ; implicit-def: $vgpr3
.LBB34_29:
	s_andn2_saveexec_b64 s[4:5], s[4:5]
	s_cbranch_execz .LBB34_31
; %bb.30:
	s_mul_i32 s6, s22, 24
	s_ashr_i32 s7, s6, 31
	v_lshl_add_u64 v[8:9], s[6:7], 3, v[4:5]
	flat_load_dwordx2 v[8:9], v[8:9]
	s_waitcnt vmcnt(0) lgkmcnt(0)
	ds_write_b64 v3, v[8:9] offset:6336
.LBB34_31:
	s_or_b64 exec, exec, s[4:5]
	v_mov_b32_e32 v3, 0
	v_lshl_add_u64 v[4:5], v[4:5], 0, v[2:3]
	s_lshl_b64 s[4:5], s[16:17], 3
	v_mov_b32_e32 v3, s5
	v_subrev_co_u32_e32 v4, vcc, s4, v4
	s_nop 1
	v_subb_co_u32_e32 v5, vcc, v5, v3, vcc
	v_lshl_add_u64 v[4:5], v[4:5], 0, 8
	v_cndmask_b32_e64 v5, v5, v7, s[0:1]
	v_cndmask_b32_e64 v4, v4, v6, s[0:1]
	v_mul_u32_u24_e32 v18, 33, v1
	s_branch .LBB34_34
.LBB34_32:
                                        ; implicit-def: $vgpr4_vgpr5
	v_mul_u32_u24_e32 v18, 33, v1
	s_cbranch_execz .LBB34_34
; %bb.33:
	flat_load_dwordx2 v[4:5], v[6:7]
	s_lshl_b32 s0, s22, 3
	v_add_lshl_u32 v3, v18, v0, 3
	s_ashr_i32 s1, s0, 31
	v_lshl_add_u64 v[8:9], s[0:1], 3, v[6:7]
	s_ashr_i32 s23, s22, 31
	s_lshl_b64 s[0:1], s[22:23], 6
	s_waitcnt vmcnt(0) lgkmcnt(0)
	ds_write_b64 v3, v[4:5]
	flat_load_dwordx2 v[4:5], v[8:9]
	v_lshl_add_u64 v[8:9], v[8:9], 0, s[0:1]
	s_waitcnt vmcnt(0) lgkmcnt(0)
	ds_write_b64 v3, v[4:5] offset:2112
	flat_load_dwordx2 v[4:5], v[8:9]
	v_lshl_add_u64 v[8:9], v[8:9], 0, s[0:1]
	s_waitcnt vmcnt(0) lgkmcnt(0)
	ds_write_b64 v3, v[4:5] offset:4224
	flat_load_dwordx2 v[4:5], v[8:9]
	s_waitcnt vmcnt(0) lgkmcnt(0)
	ds_write_b64 v3, v[4:5] offset:6336
	v_mov_b64_e32 v[4:5], v[6:7]
.LBB34_34:
	v_lshlrev_b32_e32 v21, 2, v1
	v_cmp_le_u32_e64 s[4:5], v21, v0
	s_waitcnt lgkmcnt(0)
	s_barrier
	s_and_saveexec_b64 s[0:1], s[4:5]
	s_xor_b64 s[0:1], exec, s[0:1]
	s_cbranch_execz .LBB34_38
; %bb.35:
	v_cmp_eq_u32_e32 vcc, v21, v0
	s_and_saveexec_b64 s[6:7], vcc
	s_cbranch_execz .LBB34_37
; %bb.36:
	v_mul_u32_u24_e32 v3, 34, v0
	v_lshlrev_b32_e32 v3, 3, v3
	v_mov_b32_e32 v6, 0
	ds_write_b32 v3, v6 offset:4
.LBB34_37:
	s_or_b64 exec, exec, s[6:7]
.LBB34_38:
	s_or_saveexec_b64 s[0:1], s[0:1]
	v_mul_u32_u24_e32 v19, 33, v0
	v_add_lshl_u32 v16, v21, v19, 3
	s_xor_b64 exec, exec, s[0:1]
	s_cbranch_execz .LBB34_40
; %bb.39:
	v_mul_u32_u24_e32 v3, 0x84, v1
	v_add_lshl_u32 v3, v3, v0, 3
	ds_read_b64 v[6:7], v3
	s_waitcnt lgkmcnt(0)
	v_xor_b32_e32 v7, 0x80000000, v7
	ds_write_b64 v16, v[6:7]
.LBB34_40:
	s_or_b64 exec, exec, s[0:1]
	v_or_b32_e32 v17, 1, v21
	v_cmp_ge_u32_e64 s[6:7], v21, v0
	v_mul_u32_u24_e32 v3, 33, v17
	s_and_saveexec_b64 s[0:1], s[6:7]
	s_xor_b64 s[0:1], exec, s[0:1]
	s_cbranch_execz .LBB34_42
; %bb.41:
	v_add_lshl_u32 v6, v3, v0, 3
	ds_read_b64 v[6:7], v6
	s_waitcnt lgkmcnt(0)
	v_xor_b32_e32 v7, 0x80000000, v7
	ds_write_b64 v16, v[6:7] offset:8
.LBB34_42:
	s_andn2_saveexec_b64 s[0:1], s[0:1]
	s_cbranch_execz .LBB34_46
; %bb.43:
	v_cmp_eq_u32_e32 vcc, v17, v0
	s_and_saveexec_b64 s[8:9], vcc
	s_cbranch_execz .LBB34_45
; %bb.44:
	v_mul_u32_u24_e32 v6, 34, v0
	v_lshlrev_b32_e32 v6, 3, v6
	v_mov_b32_e32 v7, 0
	ds_write_b32 v6, v7 offset:4
.LBB34_45:
	s_or_b64 exec, exec, s[8:9]
.LBB34_46:
	s_or_b64 exec, exec, s[0:1]
	v_or_b32_e32 v26, 2, v21
	v_cmp_le_u32_e64 s[8:9], v26, v0
	s_and_saveexec_b64 s[0:1], s[8:9]
	s_xor_b64 s[0:1], exec, s[0:1]
	s_cbranch_execz .LBB34_50
; %bb.47:
	v_cmp_eq_u32_e32 vcc, v26, v0
	s_and_saveexec_b64 s[10:11], vcc
	s_cbranch_execz .LBB34_49
; %bb.48:
	v_mul_u32_u24_e32 v6, 34, v0
	v_lshlrev_b32_e32 v6, 3, v6
	v_mov_b32_e32 v7, 0
	ds_write_b32 v6, v7 offset:4
.LBB34_49:
	s_or_b64 exec, exec, s[10:11]
.LBB34_50:
	s_andn2_saveexec_b64 s[0:1], s[0:1]
	s_cbranch_execz .LBB34_52
; %bb.51:
	v_mul_u32_u24_e32 v6, 33, v26
	v_add_lshl_u32 v6, v6, v0, 3
	ds_read_b64 v[6:7], v6
	s_waitcnt lgkmcnt(0)
	v_xor_b32_e32 v7, 0x80000000, v7
	ds_write_b64 v16, v[6:7] offset:16
.LBB34_52:
	s_or_b64 exec, exec, s[0:1]
	v_or_b32_e32 v27, 3, v21
	v_cmp_le_u32_e64 s[10:11], v27, v0
	s_and_saveexec_b64 s[0:1], s[10:11]
	s_xor_b64 s[0:1], exec, s[0:1]
	s_cbranch_execz .LBB34_56
; %bb.53:
	v_cmp_eq_u32_e32 vcc, v27, v0
	s_and_saveexec_b64 s[14:15], vcc
	s_cbranch_execz .LBB34_55
; %bb.54:
	v_mul_u32_u24_e32 v6, 34, v0
	v_lshlrev_b32_e32 v6, 3, v6
	v_mov_b32_e32 v7, 0
	ds_write_b32 v6, v7 offset:4
.LBB34_55:
	s_or_b64 exec, exec, s[14:15]
.LBB34_56:
	s_andn2_saveexec_b64 s[0:1], s[0:1]
	s_cbranch_execz .LBB34_58
; %bb.57:
	v_mul_u32_u24_e32 v6, 33, v27
	v_add_lshl_u32 v6, v6, v0, 3
	ds_read_b64 v[6:7], v6
	s_waitcnt lgkmcnt(0)
	v_xor_b32_e32 v7, 0x80000000, v7
	ds_write_b64 v16, v[6:7] offset:24
.LBB34_58:
	s_or_b64 exec, exec, s[0:1]
	v_mul_u32_u24_e32 v6, 0x84, v1
	v_lshlrev_b32_e32 v31, 3, v21
	s_waitcnt lgkmcnt(0)
	s_barrier
	v_add_lshl_u32 v20, v6, v0, 3
	v_add_lshl_u32 v25, v3, v0, 3
	ds_read_b128 v[6:9], v31 offset:9088
	ds_read_b64 v[10:11], v20
	ds_read2_b64 v[32:35], v25 offset1:33
	ds_read_b64 v[40:41], v25 offset:528
	ds_read_b128 v[36:39], v31 offset:9104
	s_mov_b32 s14, 0
	s_waitcnt lgkmcnt(3)
	v_pk_mul_f32 v[42:43], v[6:7], v[10:11] op_sel:[0,1]
	s_mov_b32 s15, s14
	v_pk_fma_f32 v[44:45], v[6:7], v[10:11], v[42:43] op_sel:[0,0,1] op_sel_hi:[1,1,0] neg_lo:[0,0,1] neg_hi:[0,0,1]
	v_pk_fma_f32 v[6:7], v[6:7], v[10:11], v[42:43] op_sel:[0,0,1] op_sel_hi:[1,0,0]
	s_waitcnt lgkmcnt(2)
	v_pk_mul_f32 v[10:11], v[8:9], v[32:33] op_sel:[0,1]
	v_mov_b32_e32 v45, v7
	v_pk_fma_f32 v[42:43], v[8:9], v[32:33], v[10:11] op_sel:[0,0,1] op_sel_hi:[1,1,0] neg_lo:[0,0,1] neg_hi:[0,0,1]
	v_pk_fma_f32 v[8:9], v[8:9], v[32:33], v[10:11] op_sel:[0,0,1] op_sel_hi:[1,0,0]
	v_pk_add_f32 v[6:7], v[44:45], 0 op_sel_hi:[1,0]
	v_mov_b32_e32 v43, v9
	s_waitcnt lgkmcnt(0)
	v_pk_mul_f32 v[8:9], v[36:37], v[34:35] op_sel:[0,1]
	v_pk_add_f32 v[6:7], v[6:7], v[42:43]
	v_pk_fma_f32 v[10:11], v[36:37], v[34:35], v[8:9] op_sel:[0,0,1] op_sel_hi:[1,1,0] neg_lo:[0,0,1] neg_hi:[0,0,1]
	v_pk_fma_f32 v[8:9], v[36:37], v[34:35], v[8:9] op_sel:[0,0,1] op_sel_hi:[1,0,0]
	v_add_lshl_u32 v23, v1, v19, 3
	v_mov_b32_e32 v11, v9
	v_pk_mul_f32 v[8:9], v[38:39], v[40:41] op_sel:[0,1]
	v_pk_add_f32 v[6:7], v[6:7], v[10:11]
	v_pk_fma_f32 v[10:11], v[38:39], v[40:41], v[8:9] op_sel:[0,0,1] op_sel_hi:[1,1,0] neg_lo:[0,0,1] neg_hi:[0,0,1]
	v_pk_fma_f32 v[8:9], v[38:39], v[40:41], v[8:9] op_sel:[0,0,1] op_sel_hi:[1,0,0]
	v_cmp_gt_u32_e64 s[0:1], 32, v22
	v_mov_b32_e32 v11, v9
	v_pk_add_f32 v[6:7], v[6:7], v[10:11]
	v_mov_b64_e32 v[32:33], s[14:15]
	v_lshlrev_b32_e32 v24, 3, v19
	s_barrier
	ds_write_b64 v23, v[6:7]
	s_waitcnt lgkmcnt(0)
	s_barrier
	s_and_saveexec_b64 s[14:15], s[0:1]
	s_cbranch_execz .LBB34_60
; %bb.59:
	ds_read2_b64 v[6:9], v24 offset1:7
	ds_read2_b64 v[32:35], v24 offset0:1 offset1:2
	ds_read2_b64 v[36:39], v24 offset0:3 offset1:4
	s_waitcnt lgkmcnt(1)
	v_add_f32_e32 v3, v32, v6
	v_add_f32_e32 v6, v33, v7
	;; [unrolled: 1-line block ×4, first 2 shown]
	ds_read2_b64 v[32:35], v24 offset0:5 offset1:6
	s_waitcnt lgkmcnt(1)
	v_add_f32_e32 v3, v3, v36
	v_add_f32_e32 v6, v6, v37
	;; [unrolled: 1-line block ×4, first 2 shown]
	s_waitcnt lgkmcnt(0)
	v_add_f32_e32 v3, v3, v32
	v_add_f32_e32 v7, v6, v33
	;; [unrolled: 1-line block ×4, first 2 shown]
	v_pk_add_f32 v[32:33], v[6:7], v[8:9]
.LBB34_60:
	s_or_b64 exec, exec, s[14:15]
	s_lshl_b32 s28, s22, 5
	s_ashr_i32 s29, s28, 31
	v_lshl_add_u64 v[8:9], s[28:29], 3, v[4:5]
	s_mov_b64 s[14:15], 0x100
	v_lshl_add_u64 v[6:7], v[8:9], 0, s[14:15]
	s_and_b64 vcc, exec, s[30:31]
	s_barrier
	s_cbranch_vccz .LBB34_76
; %bb.61:
	v_or_b32_e32 v3, 32, v0
	v_lshlrev_b32_e32 v4, 3, v3
	v_sub_co_u32_e32 v4, vcc, v6, v4
	s_ashr_i32 s17, s16, 31
	s_nop 0
	v_subbrev_co_u32_e32 v5, vcc, 0, v7, vcc
	v_lshl_add_u64 v[4:5], s[16:17], 3, v[4:5]
	v_lshl_add_u64 v[4:5], v[4:5], 0, -8
	v_cmp_gt_i32_e32 vcc, s16, v3
	s_sub_i32 s23, s16, 32
	v_mov_b32_e32 v10, 0
	v_cndmask_b32_e32 v5, v5, v7, vcc
	v_cndmask_b32_e32 v4, v4, v6, vcc
	v_cmp_gt_i32_e64 s[14:15], s23, v1
	v_mov_b32_e32 v11, v10
	s_and_saveexec_b64 s[34:35], s[14:15]
	s_cbranch_execz .LBB34_63
; %bb.62:
	flat_load_dwordx2 v[10:11], v[4:5]
.LBB34_63:
	s_or_b64 exec, exec, s[34:35]
	v_add_lshl_u32 v3, v18, v0, 3
	s_waitcnt vmcnt(0) lgkmcnt(0)
	ds_write_b64 v3, v[10:11]
	v_add_u32_e32 v10, 8, v1
	v_cmp_le_i32_e64 s[14:15], s23, v10
	s_and_saveexec_b64 s[34:35], s[14:15]
	s_xor_b64 s[14:15], exec, s[34:35]
	s_cbranch_execz .LBB34_65
; %bb.64:
	v_mul_u32_u24_e32 v10, 33, v10
	v_add_lshl_u32 v34, v10, v0, 3
	v_mov_b32_e32 v10, 0
	v_mov_b32_e32 v11, v10
	ds_write_b64 v34, v[10:11]
.LBB34_65:
	s_andn2_saveexec_b64 s[14:15], s[14:15]
	s_cbranch_execz .LBB34_67
; %bb.66:
	s_lshl_b32 s34, s22, 3
	s_ashr_i32 s35, s34, 31
	v_lshl_add_u64 v[10:11], s[34:35], 3, v[4:5]
	flat_load_dwordx2 v[10:11], v[10:11]
	s_waitcnt vmcnt(0) lgkmcnt(0)
	ds_write_b64 v3, v[10:11] offset:2112
.LBB34_67:
	s_or_b64 exec, exec, s[14:15]
	v_add_u32_e32 v10, 16, v1
	v_cmp_le_i32_e64 s[14:15], s23, v10
	s_and_saveexec_b64 s[34:35], s[14:15]
	s_xor_b64 s[14:15], exec, s[34:35]
	s_cbranch_execz .LBB34_69
; %bb.68:
	v_mul_u32_u24_e32 v10, 33, v10
	v_add_lshl_u32 v34, v10, v0, 3
	v_mov_b32_e32 v10, 0
	v_mov_b32_e32 v11, v10
	ds_write_b64 v34, v[10:11]
.LBB34_69:
	s_andn2_saveexec_b64 s[14:15], s[14:15]
	s_cbranch_execz .LBB34_71
; %bb.70:
	s_lshl_b32 s34, s22, 4
	s_ashr_i32 s35, s34, 31
	v_lshl_add_u64 v[10:11], s[34:35], 3, v[4:5]
	flat_load_dwordx2 v[10:11], v[10:11]
	s_waitcnt vmcnt(0) lgkmcnt(0)
	ds_write_b64 v3, v[10:11] offset:4224
.LBB34_71:
	s_or_b64 exec, exec, s[14:15]
	v_add_u32_e32 v10, 24, v1
	v_cmp_le_i32_e64 s[14:15], s23, v10
	s_and_saveexec_b64 s[34:35], s[14:15]
	s_xor_b64 s[14:15], exec, s[34:35]
	s_cbranch_execz .LBB34_73
; %bb.72:
	v_mov_b32_e32 v10, 0
	v_mov_b32_e32 v11, v10
	ds_write_b64 v3, v[10:11] offset:6336
                                        ; implicit-def: $vgpr3
.LBB34_73:
	s_andn2_saveexec_b64 s[14:15], s[14:15]
	s_cbranch_execz .LBB34_75
; %bb.74:
	s_mul_i32 s34, s22, 24
	s_ashr_i32 s35, s34, 31
	v_lshl_add_u64 v[10:11], s[34:35], 3, v[4:5]
	flat_load_dwordx2 v[10:11], v[10:11]
	s_waitcnt vmcnt(0) lgkmcnt(0)
	ds_write_b64 v3, v[10:11] offset:6336
.LBB34_75:
	s_or_b64 exec, exec, s[14:15]
	v_mov_b32_e32 v3, 0
	v_lshl_add_u64 v[4:5], v[4:5], 0, v[2:3]
	s_lshl_b64 s[14:15], s[16:17], 3
	v_mov_b32_e32 v3, s15
	v_subrev_co_u32_e64 v4, s[14:15], s14, v4
	s_nop 1
	v_subb_co_u32_e64 v5, s[14:15], v5, v3, s[14:15]
	s_mov_b64 s[14:15], 0x108
	s_nop 0
	v_lshl_add_u64 v[4:5], v[4:5], 0, s[14:15]
	v_cndmask_b32_e32 v5, v5, v7, vcc
	v_cndmask_b32_e32 v4, v4, v6, vcc
	s_branch .LBB34_78
.LBB34_76:
                                        ; implicit-def: $vgpr4_vgpr5
	s_cbranch_execz .LBB34_78
; %bb.77:
	flat_load_dwordx2 v[4:5], v[8:9] offset:256
	s_lshl_b32 s14, s22, 3
	v_add_lshl_u32 v3, v18, v0, 3
	s_ashr_i32 s15, s14, 31
	v_lshl_add_u64 v[8:9], s[14:15], 3, v[8:9]
	s_ashr_i32 s23, s22, 31
	s_lshl_b64 s[14:15], s[22:23], 6
	s_waitcnt vmcnt(0) lgkmcnt(0)
	ds_write_b64 v3, v[4:5]
	flat_load_dwordx2 v[4:5], v[8:9] offset:256
	v_lshl_add_u64 v[8:9], v[8:9], 0, s[14:15]
	s_waitcnt vmcnt(0) lgkmcnt(0)
	ds_write_b64 v3, v[4:5] offset:2112
	flat_load_dwordx2 v[4:5], v[8:9] offset:256
	v_lshl_add_u64 v[8:9], v[8:9], 0, s[14:15]
	s_waitcnt vmcnt(0) lgkmcnt(0)
	ds_write_b64 v3, v[4:5] offset:4224
	flat_load_dwordx2 v[4:5], v[8:9] offset:256
	s_waitcnt vmcnt(0) lgkmcnt(0)
	ds_write_b64 v3, v[4:5] offset:6336
	v_mov_b64_e32 v[4:5], v[6:7]
.LBB34_78:
	s_waitcnt lgkmcnt(0)
	s_barrier
	s_and_saveexec_b64 s[14:15], s[4:5]
	s_xor_b64 s[4:5], exec, s[14:15]
	s_cbranch_execnz .LBB34_105
; %bb.79:
	s_andn2_saveexec_b64 s[4:5], s[4:5]
	s_cbranch_execnz .LBB34_108
.LBB34_80:
	s_or_b64 exec, exec, s[4:5]
	s_and_saveexec_b64 s[4:5], s[6:7]
	s_xor_b64 s[4:5], exec, s[4:5]
	s_cbranch_execnz .LBB34_109
.LBB34_81:
	s_andn2_saveexec_b64 s[4:5], s[4:5]
	s_cbranch_execnz .LBB34_110
.LBB34_82:
	s_or_b64 exec, exec, s[4:5]
	s_and_saveexec_b64 s[4:5], s[8:9]
	s_xor_b64 s[4:5], exec, s[4:5]
	s_cbranch_execnz .LBB34_113
.LBB34_83:
	s_andn2_saveexec_b64 s[4:5], s[4:5]
	s_cbranch_execnz .LBB34_116
.LBB34_84:
	s_or_b64 exec, exec, s[4:5]
	s_and_saveexec_b64 s[4:5], s[10:11]
	s_xor_b64 s[4:5], exec, s[4:5]
	s_cbranch_execnz .LBB34_117
.LBB34_85:
	s_or_saveexec_b64 s[4:5], s[4:5]
	v_add_u32_e32 v26, 0x2380, v31
	s_xor_b64 exec, exec, s[4:5]
	s_cbranch_execz .LBB34_87
.LBB34_86:
	ds_read_b64 v[6:7], v25 offset:528
	s_waitcnt lgkmcnt(0)
	v_xor_b32_e32 v7, 0x80000000, v7
	ds_write_b64 v16, v[6:7] offset:24
.LBB34_87:
	s_or_b64 exec, exec, s[4:5]
	s_waitcnt lgkmcnt(0)
	s_barrier
	ds_read_b64 v[10:11], v20
	ds_read_b128 v[6:9], v26 offset:256
	ds_read2_b64 v[34:37], v25 offset1:33
	ds_read_b64 v[16:17], v25 offset:528
	ds_read_b128 v[38:41], v26 offset:272
	v_cmp_eq_u32_e64 s[4:5], 1, v1
	s_waitcnt lgkmcnt(3)
	v_pk_mul_f32 v[42:43], v[6:7], v[10:11] op_sel:[0,1]
	s_waitcnt lgkmcnt(0)
	v_pk_fma_f32 v[44:45], v[6:7], v[10:11], v[42:43] op_sel:[0,0,1] op_sel_hi:[1,1,0] neg_lo:[0,0,1] neg_hi:[0,0,1]
	v_pk_fma_f32 v[6:7], v[6:7], v[10:11], v[42:43] op_sel:[0,0,1] op_sel_hi:[1,0,0]
	v_pk_mul_f32 v[10:11], v[8:9], v[34:35] op_sel:[0,1]
	v_mov_b32_e32 v45, v7
	v_pk_fma_f32 v[42:43], v[8:9], v[34:35], v[10:11] op_sel:[0,0,1] op_sel_hi:[1,1,0] neg_lo:[0,0,1] neg_hi:[0,0,1]
	v_pk_fma_f32 v[8:9], v[8:9], v[34:35], v[10:11] op_sel:[0,0,1] op_sel_hi:[1,0,0]
	v_pk_add_f32 v[6:7], v[44:45], 0 op_sel_hi:[1,0]
	v_mov_b32_e32 v43, v9
	v_pk_mul_f32 v[8:9], v[38:39], v[36:37] op_sel:[0,1]
	v_pk_add_f32 v[6:7], v[6:7], v[42:43]
	v_pk_fma_f32 v[10:11], v[38:39], v[36:37], v[8:9] op_sel:[0,0,1] op_sel_hi:[1,1,0] neg_lo:[0,0,1] neg_hi:[0,0,1]
	v_pk_fma_f32 v[8:9], v[38:39], v[36:37], v[8:9] op_sel:[0,0,1] op_sel_hi:[1,0,0]
	s_barrier
	v_mov_b32_e32 v11, v9
	v_pk_mul_f32 v[8:9], v[40:41], v[16:17] op_sel:[0,1]
	v_pk_add_f32 v[6:7], v[6:7], v[10:11]
	v_pk_fma_f32 v[10:11], v[40:41], v[16:17], v[8:9] op_sel:[0,0,1] op_sel_hi:[1,1,0] neg_lo:[0,0,1] neg_hi:[0,0,1]
	v_pk_fma_f32 v[8:9], v[40:41], v[16:17], v[8:9] op_sel:[0,0,1] op_sel_hi:[1,0,0]
	s_nop 0
	v_mov_b32_e32 v11, v9
	v_pk_add_f32 v[6:7], v[6:7], v[10:11]
	ds_write_b64 v23, v[6:7]
	s_waitcnt lgkmcnt(0)
	s_barrier
	s_and_saveexec_b64 s[6:7], s[4:5]
	s_cbranch_execz .LBB34_89
; %bb.88:
	ds_read2_b64 v[6:9], v24 offset1:7
	ds_read2_b64 v[32:35], v24 offset0:1 offset1:2
	ds_read2_b64 v[36:39], v24 offset0:3 offset1:4
	s_waitcnt lgkmcnt(1)
	v_add_f32_e32 v3, v32, v6
	v_add_f32_e32 v6, v33, v7
	;; [unrolled: 1-line block ×4, first 2 shown]
	ds_read2_b64 v[32:35], v24 offset0:5 offset1:6
	s_waitcnt lgkmcnt(1)
	v_add_f32_e32 v3, v3, v36
	v_add_f32_e32 v6, v6, v37
	;; [unrolled: 1-line block ×4, first 2 shown]
	s_waitcnt lgkmcnt(0)
	v_add_f32_e32 v6, v3, v32
	v_add_f32_e32 v7, v7, v33
	v_pk_add_f32 v[6:7], v[6:7], v[34:35]
	s_nop 0
	v_pk_add_f32 v[32:33], v[6:7], v[8:9]
.LBB34_89:
	s_or_b64 exec, exec, s[6:7]
	s_movk_i32 s6, 0xff00
	s_mov_b32 s7, -1
	v_lshl_add_u64 v[4:5], v[4:5], 0, s[6:7]
	s_and_b64 vcc, exec, s[30:31]
	s_barrier
	s_cbranch_vccz .LBB34_120
; %bb.90:
	v_sub_co_u32_e32 v6, vcc, v4, v2
	s_ashr_i32 s17, s16, 31
	s_nop 0
	v_subbrev_co_u32_e32 v7, vcc, 0, v5, vcc
	v_lshl_add_u64 v[6:7], s[16:17], 3, v[6:7]
	v_lshl_add_u64 v[6:7], v[6:7], 0, -8
	v_cmp_gt_i32_e32 vcc, s16, v0
	s_sub_i32 s10, s16, 32
	v_mov_b32_e32 v8, 0
	v_cndmask_b32_e32 v7, v7, v5, vcc
	v_cndmask_b32_e32 v6, v6, v4, vcc
	v_cmp_gt_i32_e64 s[6:7], s10, v1
	v_mov_b32_e32 v9, v8
	s_and_saveexec_b64 s[8:9], s[6:7]
	s_cbranch_execz .LBB34_92
; %bb.91:
	flat_load_dwordx2 v[8:9], v[6:7]
.LBB34_92:
	s_or_b64 exec, exec, s[8:9]
	v_add_lshl_u32 v3, v18, v0, 3
	s_waitcnt vmcnt(0) lgkmcnt(0)
	ds_write_b64 v3, v[8:9]
	v_add_u32_e32 v8, 8, v1
	v_cmp_le_i32_e64 s[6:7], s10, v8
	s_and_saveexec_b64 s[8:9], s[6:7]
	s_xor_b64 s[6:7], exec, s[8:9]
	s_cbranch_execz .LBB34_94
; %bb.93:
	v_mul_u32_u24_e32 v9, 33, v8
	v_mov_b32_e32 v10, 0
	v_add_lshl_u32 v9, v9, v0, 3
	v_mov_b32_e32 v11, v10
	ds_write_b64 v9, v[10:11]
.LBB34_94:
	s_andn2_saveexec_b64 s[6:7], s[6:7]
	s_cbranch_execz .LBB34_96
; %bb.95:
	s_lshl_b32 s8, s22, 3
	s_ashr_i32 s9, s8, 31
	v_lshl_add_u64 v[10:11], s[8:9], 3, v[6:7]
	flat_load_dwordx2 v[10:11], v[10:11]
	s_waitcnt vmcnt(0) lgkmcnt(0)
	ds_write_b64 v3, v[10:11] offset:2112
.LBB34_96:
	s_or_b64 exec, exec, s[6:7]
	v_add_u32_e32 v9, 16, v1
	v_cmp_le_i32_e64 s[6:7], s10, v9
	s_and_saveexec_b64 s[8:9], s[6:7]
	s_xor_b64 s[6:7], exec, s[8:9]
	s_cbranch_execz .LBB34_98
; %bb.97:
	v_mov_b32_e32 v10, 0
	v_mov_b32_e32 v11, v10
	ds_write_b64 v3, v[10:11] offset:4224
.LBB34_98:
	s_andn2_saveexec_b64 s[6:7], s[6:7]
	s_cbranch_execz .LBB34_100
; %bb.99:
	s_lshl_b32 s8, s22, 4
	s_ashr_i32 s9, s8, 31
	v_lshl_add_u64 v[10:11], s[8:9], 3, v[6:7]
	flat_load_dwordx2 v[10:11], v[10:11]
	s_waitcnt vmcnt(0) lgkmcnt(0)
	ds_write_b64 v3, v[10:11] offset:4224
.LBB34_100:
	s_or_b64 exec, exec, s[6:7]
	v_add_u32_e32 v10, 24, v1
	v_cmp_le_i32_e64 s[6:7], s10, v10
	s_and_saveexec_b64 s[8:9], s[6:7]
	s_xor_b64 s[6:7], exec, s[8:9]
	s_cbranch_execz .LBB34_102
; %bb.101:
	v_mov_b32_e32 v16, 0
	v_mov_b32_e32 v17, v16
	ds_write_b64 v3, v[16:17] offset:6336
                                        ; implicit-def: $vgpr3
.LBB34_102:
	s_andn2_saveexec_b64 s[6:7], s[6:7]
	s_cbranch_execz .LBB34_104
; %bb.103:
	s_mul_i32 s8, s22, 24
	s_ashr_i32 s9, s8, 31
	v_lshl_add_u64 v[16:17], s[8:9], 3, v[6:7]
	flat_load_dwordx2 v[16:17], v[16:17]
	s_waitcnt vmcnt(0) lgkmcnt(0)
	ds_write_b64 v3, v[16:17] offset:6336
.LBB34_104:
	s_or_b64 exec, exec, s[6:7]
	v_mov_b32_e32 v3, 0
	v_lshl_add_u64 v[2:3], v[6:7], 0, v[2:3]
	s_lshl_b64 s[6:7], s[16:17], 3
	v_mov_b32_e32 v6, s7
	v_subrev_co_u32_e64 v2, s[6:7], s6, v2
	s_nop 1
	v_subb_co_u32_e64 v3, s[6:7], v3, v6, s[6:7]
	v_lshl_add_u64 v[2:3], v[2:3], 0, 8
	v_cndmask_b32_e32 v17, v3, v5, vcc
	v_cndmask_b32_e32 v16, v2, v4, vcc
	s_branch .LBB34_122
.LBB34_105:
	v_cmp_eq_u32_e32 vcc, v21, v0
	s_and_saveexec_b64 s[14:15], vcc
	s_cbranch_execz .LBB34_107
; %bb.106:
	v_mul_u32_u24_e32 v3, 34, v0
	v_lshlrev_b32_e32 v3, 3, v3
	v_mov_b32_e32 v6, 0
	ds_write_b32 v3, v6 offset:4
.LBB34_107:
	s_or_b64 exec, exec, s[14:15]
	s_andn2_saveexec_b64 s[4:5], s[4:5]
	s_cbranch_execz .LBB34_80
.LBB34_108:
	ds_read_b64 v[6:7], v20
	s_waitcnt lgkmcnt(0)
	v_xor_b32_e32 v7, 0x80000000, v7
	ds_write_b64 v16, v[6:7]
	s_or_b64 exec, exec, s[4:5]
	s_and_saveexec_b64 s[4:5], s[6:7]
	s_xor_b64 s[4:5], exec, s[4:5]
	s_cbranch_execz .LBB34_81
.LBB34_109:
	ds_read_b64 v[6:7], v25
                                        ; implicit-def: $vgpr17
	s_waitcnt lgkmcnt(0)
	v_xor_b32_e32 v7, 0x80000000, v7
	ds_write_b64 v16, v[6:7] offset:8
	s_andn2_saveexec_b64 s[4:5], s[4:5]
	s_cbranch_execz .LBB34_82
.LBB34_110:
	v_cmp_eq_u32_e32 vcc, v17, v0
	s_and_saveexec_b64 s[6:7], vcc
	s_cbranch_execz .LBB34_112
; %bb.111:
	v_mul_u32_u24_e32 v3, 34, v0
	v_lshlrev_b32_e32 v3, 3, v3
	v_mov_b32_e32 v6, 0
	ds_write_b32 v3, v6 offset:4
.LBB34_112:
	s_or_b64 exec, exec, s[6:7]
	s_or_b64 exec, exec, s[4:5]
	s_and_saveexec_b64 s[4:5], s[8:9]
	s_xor_b64 s[4:5], exec, s[4:5]
	s_cbranch_execz .LBB34_83
.LBB34_113:
	v_cmp_eq_u32_e32 vcc, v26, v0
	s_and_saveexec_b64 s[6:7], vcc
	s_cbranch_execz .LBB34_115
; %bb.114:
	v_mul_u32_u24_e32 v3, 34, v0
	v_lshlrev_b32_e32 v3, 3, v3
	v_mov_b32_e32 v6, 0
	ds_write_b32 v3, v6 offset:4
.LBB34_115:
	s_or_b64 exec, exec, s[6:7]
	s_andn2_saveexec_b64 s[4:5], s[4:5]
	s_cbranch_execz .LBB34_84
.LBB34_116:
	ds_read_b64 v[6:7], v25 offset:264
	s_waitcnt lgkmcnt(0)
	v_xor_b32_e32 v7, 0x80000000, v7
	ds_write_b64 v16, v[6:7] offset:16
	s_or_b64 exec, exec, s[4:5]
	s_and_saveexec_b64 s[4:5], s[10:11]
	s_xor_b64 s[4:5], exec, s[4:5]
	s_cbranch_execz .LBB34_85
.LBB34_117:
	v_cmp_eq_u32_e32 vcc, v27, v0
	s_and_saveexec_b64 s[6:7], vcc
	s_cbranch_execz .LBB34_119
; %bb.118:
	v_mul_u32_u24_e32 v3, 34, v0
	v_lshlrev_b32_e32 v3, 3, v3
	v_mov_b32_e32 v6, 0
	ds_write_b32 v3, v6 offset:4
.LBB34_119:
	s_or_b64 exec, exec, s[6:7]
                                        ; implicit-def: $vgpr16
	s_or_saveexec_b64 s[4:5], s[4:5]
	v_add_u32_e32 v26, 0x2380, v31
	s_xor_b64 exec, exec, s[4:5]
	s_cbranch_execnz .LBB34_86
	s_branch .LBB34_87
.LBB34_120:
                                        ; implicit-def: $vgpr16_vgpr17
                                        ; implicit-def: $vgpr8
                                        ; implicit-def: $vgpr9
                                        ; implicit-def: $vgpr10
	s_cbranch_execz .LBB34_122
; %bb.121:
	flat_load_dwordx2 v[2:3], v[4:5]
	s_lshl_b32 s6, s22, 3
	v_add_lshl_u32 v0, v18, v0, 3
	s_ashr_i32 s7, s6, 31
	v_lshl_add_u64 v[6:7], s[6:7], 3, v[4:5]
	s_ashr_i32 s23, s22, 31
	s_lshl_b64 s[6:7], s[22:23], 6
	v_add_u32_e32 v8, 8, v1
	v_add_u32_e32 v9, 16, v1
	;; [unrolled: 1-line block ×3, first 2 shown]
	v_mov_b64_e32 v[16:17], v[4:5]
	s_waitcnt vmcnt(0) lgkmcnt(0)
	ds_write_b64 v0, v[2:3]
	flat_load_dwordx2 v[2:3], v[6:7]
	v_lshl_add_u64 v[6:7], v[6:7], 0, s[6:7]
	s_waitcnt vmcnt(0) lgkmcnt(0)
	ds_write_b64 v0, v[2:3] offset:2112
	flat_load_dwordx2 v[2:3], v[6:7]
	v_lshl_add_u64 v[6:7], v[6:7], 0, s[6:7]
	s_waitcnt vmcnt(0) lgkmcnt(0)
	ds_write_b64 v0, v[2:3] offset:4224
	flat_load_dwordx2 v[2:3], v[6:7]
	s_waitcnt vmcnt(0) lgkmcnt(0)
	ds_write_b64 v0, v[2:3] offset:6336
.LBB34_122:
	s_waitcnt lgkmcnt(0)
	s_barrier
	ds_read_b64 v[34:35], v23
	v_add_lshl_u32 v0, v9, v19, 3
	ds_read_b64 v[36:37], v0
	v_lshlrev_b32_e32 v4, 3, v1
	v_add_lshl_u32 v5, v8, v19, 3
	v_lshlrev_b32_e32 v6, 3, v8
	v_lshlrev_b32_e32 v7, 3, v9
	v_add_lshl_u32 v18, v10, v19, 3
	v_lshlrev_b32_e32 v19, 3, v10
	ds_read2_b64 v[0:3], v25 offset1:33
	ds_read_b64 v[20:21], v20
	ds_read_b128 v[8:11], v26 offset:256
	ds_read_b64 v[38:39], v6 offset:9088
	ds_read_b64 v[40:41], v5
	ds_read_b64 v[42:43], v4 offset:9088
	ds_read_b64 v[44:45], v19 offset:9088
	ds_read_b64 v[46:47], v18
	ds_read_b64 v[48:49], v7 offset:9088
	ds_read_b64 v[18:19], v25 offset:528
	ds_read_b128 v[4:7], v26 offset:272
	s_waitcnt lgkmcnt(5)
	v_pk_mul_f32 v[26:27], v[34:35], v[42:43] op_sel:[1,0]
	v_pk_mul_f32 v[50:51], v[40:41], v[38:39] op_sel:[1,0]
	v_pk_fma_f32 v[56:57], v[34:35], v[42:43], v[26:27] op_sel:[0,0,1] op_sel_hi:[1,1,0]
	v_pk_fma_f32 v[26:27], v[34:35], v[42:43], v[26:27] op_sel:[0,0,1] op_sel_hi:[0,1,0] neg_lo:[0,0,1] neg_hi:[0,0,1]
	v_mov_b32_e32 v57, v27
	v_pk_fma_f32 v[34:35], v[40:41], v[38:39], v[50:51] op_sel:[0,0,1] op_sel_hi:[1,1,0]
	v_pk_fma_f32 v[38:39], v[40:41], v[38:39], v[50:51] op_sel:[0,0,1] op_sel_hi:[0,1,0] neg_lo:[0,0,1] neg_hi:[0,0,1]
	s_waitcnt lgkmcnt(2)
	v_pk_mul_f32 v[52:53], v[36:37], v[48:49] op_sel:[1,0]
	v_pk_add_f32 v[26:27], v[56:57], 0 op_sel_hi:[1,0]
	v_mov_b32_e32 v35, v39
	v_pk_add_f32 v[26:27], v[26:27], v[34:35]
	v_pk_fma_f32 v[34:35], v[36:37], v[48:49], v[52:53] op_sel:[0,0,1] op_sel_hi:[1,1,0]
	v_pk_fma_f32 v[36:37], v[36:37], v[48:49], v[52:53] op_sel:[0,0,1] op_sel_hi:[0,1,0] neg_lo:[0,0,1] neg_hi:[0,0,1]
	v_pk_mul_f32 v[54:55], v[46:47], v[44:45] op_sel:[1,0]
	v_mov_b32_e32 v35, v37
	v_pk_add_f32 v[26:27], v[26:27], v[34:35]
	v_pk_fma_f32 v[34:35], v[46:47], v[44:45], v[54:55] op_sel:[0,0,1] op_sel_hi:[1,1,0]
	v_pk_fma_f32 v[36:37], v[46:47], v[44:45], v[54:55] op_sel:[0,0,1] op_sel_hi:[0,1,0] neg_lo:[0,0,1] neg_hi:[0,0,1]
	v_mov_b32_e32 v35, v37
	v_pk_add_f32 v[26:27], v[26:27], v[34:35]
	s_waitcnt lgkmcnt(0)
	s_barrier
	ds_write_b64 v23, v[26:27]
	s_waitcnt lgkmcnt(0)
	s_barrier
	s_and_saveexec_b64 s[6:7], s[4:5]
	s_cbranch_execz .LBB34_124
; %bb.123:
	ds_read2_b64 v[34:37], v24 offset1:1
	ds_read2_b64 v[38:41], v24 offset0:2 offset1:3
	ds_read2_b64 v[42:45], v24 offset0:6 offset1:7
	s_waitcnt lgkmcnt(2)
	v_pk_add_f32 v[26:27], v[32:33], v[34:35]
	ds_read2_b64 v[32:35], v24 offset0:4 offset1:5
	v_pk_add_f32 v[26:27], v[26:27], v[36:37]
	s_waitcnt lgkmcnt(2)
	v_pk_add_f32 v[26:27], v[26:27], v[38:39]
	s_nop 0
	v_pk_add_f32 v[26:27], v[26:27], v[40:41]
	s_waitcnt lgkmcnt(0)
	v_pk_add_f32 v[26:27], v[26:27], v[32:33]
	s_nop 0
	v_pk_add_f32 v[26:27], v[26:27], v[34:35]
	s_nop 0
	;; [unrolled: 2-line block ×3, first 2 shown]
	v_pk_add_f32 v[32:33], v[26:27], v[44:45]
.LBB34_124:
	s_or_b64 exec, exec, s[6:7]
	v_pk_mul_f32 v[26:27], v[8:9], v[20:21] op_sel:[0,1]
	s_nop 0
	v_pk_fma_f32 v[34:35], v[8:9], v[20:21], v[26:27] op_sel:[0,0,1] op_sel_hi:[1,1,0] neg_lo:[0,0,1] neg_hi:[0,0,1]
	v_pk_fma_f32 v[8:9], v[8:9], v[20:21], v[26:27] op_sel:[0,0,1] op_sel_hi:[1,0,0]
	v_pk_mul_f32 v[20:21], v[10:11], v[0:1] op_sel:[0,1]
	v_mov_b32_e32 v35, v9
	v_pk_fma_f32 v[26:27], v[10:11], v[0:1], v[20:21] op_sel:[0,0,1] op_sel_hi:[1,1,0] neg_lo:[0,0,1] neg_hi:[0,0,1]
	v_pk_fma_f32 v[0:1], v[10:11], v[0:1], v[20:21] op_sel:[0,0,1] op_sel_hi:[1,0,0]
	v_pk_add_f32 v[8:9], v[34:35], 0 op_sel_hi:[1,0]
	v_mov_b32_e32 v27, v1
	v_pk_add_f32 v[0:1], v[8:9], v[26:27]
	v_pk_mul_f32 v[8:9], v[4:5], v[2:3] op_sel:[0,1]
	s_barrier
	v_pk_fma_f32 v[10:11], v[4:5], v[2:3], v[8:9] op_sel:[0,0,1] op_sel_hi:[1,1,0] neg_lo:[0,0,1] neg_hi:[0,0,1]
	v_pk_fma_f32 v[2:3], v[4:5], v[2:3], v[8:9] op_sel:[0,0,1] op_sel_hi:[1,0,0]
	s_nop 0
	v_mov_b32_e32 v11, v3
	v_pk_mul_f32 v[2:3], v[6:7], v[18:19] op_sel:[0,1]
	v_pk_add_f32 v[0:1], v[0:1], v[10:11]
	v_pk_fma_f32 v[4:5], v[6:7], v[18:19], v[2:3] op_sel:[0,0,1] op_sel_hi:[1,1,0] neg_lo:[0,0,1] neg_hi:[0,0,1]
	v_pk_fma_f32 v[2:3], v[6:7], v[18:19], v[2:3] op_sel:[0,0,1] op_sel_hi:[1,0,0]
	s_nop 0
	v_mov_b32_e32 v5, v3
	v_pk_add_f32 v[0:1], v[0:1], v[4:5]
	ds_write_b64 v23, v[0:1]
	s_waitcnt lgkmcnt(0)
	s_barrier
	s_and_saveexec_b64 s[4:5], s[0:1]
	s_cbranch_execz .LBB34_126
; %bb.125:
	ds_read2_b64 v[0:3], v24 offset1:1
	ds_read2_b64 v[4:7], v24 offset0:2 offset1:3
	ds_read2_b64 v[8:11], v24 offset0:4 offset1:5
	s_waitcnt lgkmcnt(2)
	v_pk_add_f32 v[0:1], v[32:33], v[0:1]
	s_nop 0
	v_pk_add_f32 v[18:19], v[0:1], v[2:3]
	ds_read2_b64 v[0:3], v24 offset0:6 offset1:7
	s_waitcnt lgkmcnt(2)
	v_pk_add_f32 v[4:5], v[18:19], v[4:5]
	s_nop 0
	v_pk_add_f32 v[4:5], v[4:5], v[6:7]
	s_waitcnt lgkmcnt(1)
	v_pk_add_f32 v[4:5], v[4:5], v[8:9]
	s_nop 0
	v_pk_add_f32 v[4:5], v[4:5], v[10:11]
	s_waitcnt lgkmcnt(0)
	v_pk_add_f32 v[0:1], v[4:5], v[0:1]
	s_nop 0
	v_pk_add_f32 v[32:33], v[0:1], v[2:3]
.LBB34_126:
	s_or_b64 exec, exec, s[4:5]
	s_mul_hi_u32 s0, s36, s20
	s_mul_i32 s37, s37, s20
	s_add_i32 s0, s0, s37
	s_mul_i32 s4, s36, s20
	s_mul_i32 s0, s0, s3
	s_mul_hi_u32 s1, s4, s3
	s_add_i32 s1, s1, s0
	s_mul_i32 s0, s4, s3
	s_lshl_b64 s[0:1], s[0:1], 3
	s_add_u32 s4, s24, s0
	s_addc_u32 s5, s25, s1
	s_mul_hi_i32 s1, s36, s2
	s_mul_i32 s0, s36, s2
	s_lshl_b64 s[0:1], s[0:1], 3
	s_add_u32 s6, s4, s0
	s_addc_u32 s7, s5, s1
	s_add_i32 s8, s2, 1
	s_cmp_ge_u32 s8, s3
	v_lshlrev_b32_e32 v31, 3, v30
	s_barrier
	s_cbranch_scc1 .LBB34_184
; %bb.127:
	s_mul_i32 s0, s26, s21
	v_and_b32_e32 v4, 48, v30
	s_ashr_i32 s1, s0, 31
	v_and_b32_e32 v2, 15, v30
	s_lshl_b32 s4, s22, 4
	v_lshlrev_b32_e32 v5, 3, v4
	s_movk_i32 s9, 0x218
	s_lshl_b64 s[0:1], s[0:1], 3
	v_lshrrev_b32_e32 v3, 4, v22
	s_lshl_b32 s27, s21, 6
	s_ashr_i32 s5, s4, 31
	v_mad_u32_u24 v139, v2, s9, v5
	v_or_b32_e32 v5, 0x78, v31
	s_ashr_i32 s23, s22, 31
	s_lshl_b32 s24, s22, 1
	s_mul_i32 s30, s22, 3
	s_mul_i32 s21, s21, s8
	v_lshlrev_b32_e32 v123, 2, v29
	v_mov_b32_e32 v0, s1
	v_subrev_co_u32_e32 v34, vcc, s0, v14
	s_add_i32 s17, s3, -2
	v_mad_u32_u24 v140, v2, s9, v5
	v_lshlrev_b32_e32 v5, 5, v3
	s_ashr_i32 s25, s24, 31
	v_mul_i32_i24_e32 v6, 0xffffffe8, v3
	s_ashr_i32 s31, s30, 31
	s_lshl_b64 s[14:15], s[22:23], 3
	s_lshl_b32 s8, s21, 6
	v_add_u32_e32 v3, s26, v4
	s_lshl_b64 s[20:21], s[28:29], 3
	s_lshl_b64 s[10:11], s[4:5], 5
	;; [unrolled: 1-line block ×3, first 2 shown]
	v_subb_co_u32_e32 v35, vcc, v15, v0, vcc
	v_mad_u64_u32 v[0:1], s[0:1], v123, s22, v[30:31]
	v_mad_u32_u24 v141, v2, s9, v5
	v_add3_u32 v36, v3, v2, 64
	v_lshlrev_b64 v[2:3], 3, v[12:13]
	s_add_u32 s36, s34, s20
	v_ashrrev_i32_e32 v1, 31, v0
	v_sub_co_u32_e32 v38, vcc, 0, v2
	s_addc_u32 s37, s35, s21
	v_mov_b32_e32 v5, 0x2180
	v_subb_co_u32_e32 v39, vcc, 0, v3, vcc
	v_lshlrev_b64 v[2:3], 3, v[0:1]
	s_add_u32 s38, s14, s20
	v_lshl_add_u32 v145, v29, 5, v5
	v_lshl_add_u64 v[4:5], s[20:21], 0, v[2:3]
	s_addc_u32 s39, s15, s21
	s_lshl_b64 s[24:25], s[24:25], 3
	v_lshl_add_u64 v[40:41], v[16:17], 0, v[4:5]
	v_lshl_add_u64 v[4:5], s[36:37], 0, v[2:3]
	s_add_u32 s40, s20, s24
	v_lshl_add_u64 v[42:43], v[16:17], 0, v[4:5]
	v_lshl_add_u64 v[4:5], s[38:39], 0, v[2:3]
	s_addc_u32 s41, s21, s25
	s_lshl_b64 s[30:31], s[30:31], 3
	v_lshl_add_u64 v[44:45], v[16:17], 0, v[4:5]
	v_lshl_add_u64 v[4:5], s[40:41], 0, v[2:3]
	s_add_u32 s40, s20, s30
	s_addc_u32 s41, s21, s31
	v_lshl_add_u64 v[46:47], v[16:17], 0, v[4:5]
	v_lshl_add_u64 v[4:5], s[40:41], 0, v[2:3]
	s_lshl_b64 s[40:41], s[4:5], 3
	s_add_u32 s42, s20, s40
	s_addc_u32 s43, s21, s41
	s_add_u32 s44, s36, s40
	s_addc_u32 s45, s37, s41
	v_lshl_add_u64 v[48:49], v[16:17], 0, v[4:5]
	v_lshl_add_u64 v[4:5], s[42:43], 0, v[2:3]
	s_add_u32 s38, s38, s40
	v_lshl_add_u64 v[50:51], v[16:17], 0, v[4:5]
	v_lshl_add_u64 v[4:5], s[44:45], 0, v[2:3]
	s_addc_u32 s39, s39, s41
	v_lshl_add_u64 v[52:53], v[16:17], 0, v[4:5]
	v_lshl_add_u64 v[4:5], s[38:39], 0, v[2:3]
	s_add_u32 s38, s42, s24
	s_addc_u32 s39, s43, s25
	v_lshl_add_u64 v[54:55], v[16:17], 0, v[4:5]
	v_lshl_add_u64 v[4:5], s[38:39], 0, v[2:3]
	s_add_u32 s38, s42, s30
	s_addc_u32 s39, s43, s31
	v_lshl_add_u64 v[56:57], v[16:17], 0, v[4:5]
	v_lshl_add_u64 v[4:5], s[38:39], 0, v[2:3]
	s_lshl_b64 s[38:39], s[4:5], 4
	s_add_u32 s20, s38, s20
	s_addc_u32 s21, s39, s21
	s_add_u32 s36, s36, s38
	v_lshl_add_u64 v[58:59], v[16:17], 0, v[4:5]
	v_lshl_add_u64 v[4:5], s[20:21], 0, v[2:3]
	s_addc_u32 s37, s37, s39
	v_lshl_add_u64 v[60:61], v[16:17], 0, v[4:5]
	v_lshl_add_u64 v[4:5], s[36:37], 0, v[2:3]
	s_add_u32 s36, s20, s14
	s_addc_u32 s37, s21, s15
	v_lshl_add_u64 v[62:63], v[16:17], 0, v[4:5]
	v_lshl_add_u64 v[4:5], s[36:37], 0, v[2:3]
	s_add_u32 s36, s20, s24
	s_addc_u32 s37, s21, s25
	s_add_u32 s20, s20, s30
	s_addc_u32 s21, s21, s31
	v_lshl_add_u64 v[0:1], s[28:29], 0, v[0:1]
	s_movk_i32 s9, 0x860
	v_lshl_add_u64 v[64:65], v[16:17], 0, v[4:5]
	v_lshl_add_u64 v[4:5], s[36:37], 0, v[2:3]
	;; [unrolled: 1-line block ×3, first 2 shown]
	v_lshlrev_b64 v[0:1], 3, v[0:1]
	v_mad_u32_u24 v146, v29, s9, v31
	v_lshl_add_u64 v[68:69], v[16:17], 0, v[2:3]
	s_mul_i32 s9, s22, 0x180
	s_mul_hi_i32 s20, s4, 24
	v_mad_i64_i32 v[2:3], s[4:5], s4, 24, v[0:1]
	s_add_u32 s4, s9, s34
	s_addc_u32 s5, s20, s35
	v_lshl_add_u64 v[0:1], s[4:5], 0, v[0:1]
	v_lshl_add_u64 v[72:73], v[16:17], 0, v[0:1]
	;; [unrolled: 1-line block ×7, first 2 shown]
	v_add_u32_e32 v137, 0x2180, v31
	v_add_u32_e32 v138, 0x2380, v31
	v_cmp_gt_u32_e64 s[0:1], 64, v22
	v_or_b32_e32 v142, 1, v123
	v_or_b32_e32 v143, 2, v123
	;; [unrolled: 1-line block ×3, first 2 shown]
	v_add_u32_e32 v147, 16, v123
	v_add_u32_e32 v148, 17, v123
	v_add_u32_e32 v149, 18, v123
	v_add_u32_e32 v150, 19, v123
	v_add_u32_e32 v151, 32, v123
	v_add_u32_e32 v152, 33, v123
	v_add_u32_e32 v153, 34, v123
	v_add_u32_e32 v154, 35, v123
	v_add_u32_e32 v155, 48, v123
	v_add_u32_e32 v156, 49, v123
	v_add_u32_e32 v157, 50, v123
	v_add_u32_e32 v158, 51, v123
	v_lshl_add_u64 v[66:67], v[16:17], 0, v[4:5]
	v_lshl_add_u64 v[70:71], v[16:17], 0, v[2:3]
	;; [unrolled: 1-line block ×3, first 2 shown]
	s_mov_b32 s14, 0
	v_add_u32_e32 v159, v141, v6
	v_mov_b32_e32 v80, 0
	s_branch .LBB34_129
.LBB34_128:                             ;   in Loop: Header=BB34_129 Depth=1
	s_or_b64 exec, exec, s[4:5]
	v_mul_f32_e32 v0, v83, v91
	v_fma_f32 v0, v82, v90, -v0
	v_mul_f32_e32 v2, v85, v93
	v_add_f32_e32 v0, v32, v0
	v_fma_f32 v2, v84, v92, -v2
	v_add_f32_e32 v0, v0, v2
	v_mul_f32_e32 v2, v87, v95
	v_fma_f32 v2, v86, v94, -v2
	v_mul_f32_e32 v1, v82, v91
	v_add_f32_e32 v0, v0, v2
	v_mul_f32_e32 v2, v89, v97
	v_mul_f32_e32 v3, v84, v93
	v_fma_f32 v2, v88, v96, -v2
	v_fmac_f32_e32 v1, v83, v90
	v_mul_f32_e32 v4, v86, v95
	v_add_f32_e32 v0, v0, v2
	v_add_f32_e32 v1, v33, v1
	v_fmac_f32_e32 v3, v85, v92
	v_mul_f32_e32 v2, v99, v107
	v_mul_f32_e32 v5, v88, v97
	v_add_f32_e32 v1, v1, v3
	v_fmac_f32_e32 v4, v87, v94
	v_fma_f32 v2, v98, v106, -v2
	v_add_f32_e32 v1, v1, v4
	v_fmac_f32_e32 v5, v89, v96
	v_mul_f32_e32 v6, v98, v107
	v_add_f32_e32 v0, v0, v2
	v_mul_f32_e32 v2, v101, v109
	v_add_f32_e32 v1, v1, v5
	v_fma_f32 v2, v100, v108, -v2
	v_mul_f32_e32 v7, v100, v109
	v_fmac_f32_e32 v6, v99, v106
	v_add_f32_e32 v0, v0, v2
	v_mul_f32_e32 v2, v103, v111
	v_mul_f32_e32 v3, v102, v111
	v_add_f32_e32 v1, v1, v6
	v_fmac_f32_e32 v7, v101, v108
	v_fma_f32 v2, v102, v110, -v2
	v_mul_f32_e32 v4, v105, v113
	v_mul_f32_e32 v5, v104, v113
	v_add_f32_e32 v1, v1, v7
	v_fmac_f32_e32 v3, v103, v110
	v_fma_f32 v4, v104, v112, -v4
	v_pk_add_f32 v[0:1], v[0:1], v[2:3]
	v_fmac_f32_e32 v5, v105, v112
	v_pk_mul_f32 v[2:3], v[114:115], v[124:125] op_sel:[1,0]
	v_pk_add_f32 v[0:1], v[0:1], v[4:5]
	v_pk_fma_f32 v[4:5], v[114:115], v[124:125], v[2:3] op_sel:[0,0,1] op_sel_hi:[1,1,0] neg_lo:[0,0,1] neg_hi:[0,0,1]
	v_pk_fma_f32 v[2:3], v[114:115], v[124:125], v[2:3] op_sel:[0,0,1] op_sel_hi:[0,1,0]
	v_mov_b32_e32 v5, v3
	v_pk_mul_f32 v[2:3], v[116:117], v[8:9] op_sel:[1,0]
	v_pk_add_f32 v[0:1], v[0:1], v[4:5]
	v_pk_fma_f32 v[4:5], v[116:117], v[8:9], v[2:3] op_sel:[0,0,1] op_sel_hi:[1,1,0] neg_lo:[0,0,1] neg_hi:[0,0,1]
	v_pk_fma_f32 v[2:3], v[116:117], v[8:9], v[2:3] op_sel:[0,0,1] op_sel_hi:[0,1,0]
	v_mov_b32_e32 v5, v3
	;; [unrolled: 5-line block ×3, first 2 shown]
	v_pk_mul_f32 v[2:3], v[122:123], v[126:127] op_sel_hi:[0,1]
	v_pk_add_f32 v[0:1], v[0:1], v[4:5]
	v_pk_fma_f32 v[4:5], v[120:121], v[126:127], v[2:3] op_sel:[0,0,1] op_sel_hi:[1,1,0] neg_lo:[0,0,1] neg_hi:[0,0,1]
	v_pk_fma_f32 v[2:3], v[120:121], v[126:127], v[2:3] op_sel:[0,0,1] op_sel_hi:[0,1,0]
	v_mov_b32_e32 v5, v3
	v_pk_mul_f32 v[2:3], v[128:129], v[16:17] op_sel:[1,0]
	v_pk_add_f32 v[0:1], v[0:1], v[4:5]
	v_pk_fma_f32 v[4:5], v[128:129], v[16:17], v[2:3] op_sel:[0,0,1] op_sel_hi:[1,1,0] neg_lo:[0,0,1] neg_hi:[0,0,1]
	v_pk_fma_f32 v[2:3], v[128:129], v[16:17], v[2:3] op_sel:[0,0,1] op_sel_hi:[0,1,0]
	v_mov_b32_e32 v5, v3
	v_pk_mul_f32 v[2:3], v[130:131], v[18:19] op_sel:[1,0]
	;; [unrolled: 5-line block ×3, first 2 shown]
	v_pk_add_f32 v[0:1], v[0:1], v[6:7]
	v_pk_fma_f32 v[8:9], v[132:133], v[12:13], v[2:3] op_sel:[0,0,1] op_sel_hi:[1,1,0] neg_lo:[0,0,1] neg_hi:[0,0,1]
	v_pk_fma_f32 v[2:3], v[132:133], v[12:13], v[2:3] op_sel:[0,0,1] op_sel_hi:[0,1,0]
	v_mov_b32_e32 v9, v3
	v_pk_mul_f32 v[2:3], v[136:137], v[14:15] op_sel_hi:[0,1]
	v_pk_fma_f32 v[10:11], v[134:135], v[14:15], v[2:3] op_sel:[0,0,1] op_sel_hi:[1,1,0] neg_lo:[0,0,1] neg_hi:[0,0,1]
	v_pk_fma_f32 v[2:3], v[134:135], v[14:15], v[2:3] op_sel:[0,0,1] op_sel_hi:[0,1,0]
	v_mov_b32_e32 v11, v3
	v_pk_add_f32 v[0:1], v[0:1], v[8:9]
	s_add_i32 s4, s2, 1
	s_add_i32 s8, s8, s27
	;; [unrolled: 1-line block ×3, first 2 shown]
	v_pk_add_f32 v[32:33], v[0:1], v[10:11]
	v_add_u32_e32 v36, 64, v36
	v_lshl_add_u64 v[40:41], v[40:41], 0, s[10:11]
	v_lshl_add_u64 v[42:43], v[42:43], 0, s[10:11]
	;; [unrolled: 1-line block ×20, first 2 shown]
	s_cmp_ge_u32 s2, s3
	s_mov_b32 s2, s4
	s_barrier
	s_cbranch_scc1 .LBB34_184
.LBB34_129:                             ; =>This Inner Loop Header: Depth=1
	s_cmp_eq_u32 s17, s2
	s_cselect_b32 s26, s33, 0
	s_and_saveexec_b64 s[4:5], s[12:13]
	s_cbranch_execz .LBB34_134
; %bb.130:                              ;   in Loop: Header=BB34_129 Depth=1
	s_cmp_lg_u32 s26, 0
	s_cselect_b64 s[20:21], -1, 0
	v_cmp_le_i32_e32 vcc, s26, v30
	s_and_b64 s[20:21], s[20:21], vcc
	s_and_saveexec_b64 s[22:23], s[20:21]
	s_xor_b64 s[20:21], exec, s[22:23]
	s_cbranch_execz .LBB34_132
; %bb.131:                              ;   in Loop: Header=BB34_129 Depth=1
	v_mov_b32_e32 v81, v80
	ds_write_b64 v137, v[80:81]
.LBB34_132:                             ;   in Loop: Header=BB34_129 Depth=1
	s_andn2_saveexec_b64 s[20:21], s[20:21]
	s_cbranch_execz .LBB34_134
; %bb.133:                              ;   in Loop: Header=BB34_129 Depth=1
	s_ashr_i32 s9, s8, 31
	v_lshl_add_u64 v[0:1], s[8:9], 3, v[34:35]
	flat_load_dwordx2 v[0:1], v[0:1]
	s_waitcnt vmcnt(0) lgkmcnt(0)
	ds_write_b64 v137, v[0:1]
.LBB34_134:                             ;   in Loop: Header=BB34_129 Depth=1
	s_or_b64 exec, exec, s[4:5]
	s_cmp_eq_u32 s26, 0
	s_cselect_b64 s[20:21], -1, 0
	s_cmp_lg_u32 s26, 0
	s_cselect_b64 s[22:23], -1, 0
	v_lshl_add_u64 v[0:1], v[40:41], 0, v[38:39]
	s_and_b64 vcc, exec, s[22:23]
	s_waitcnt lgkmcnt(0)
	s_barrier
	s_cbranch_vccz .LBB34_142
; %bb.135:                              ;   in Loop: Header=BB34_129 Depth=1
	s_mov_b32 s15, s14
	v_cmp_gt_i32_e32 vcc, s26, v123
	v_mov_b64_e32 v[82:83], s[14:15]
	s_and_saveexec_b64 s[4:5], vcc
	s_cbranch_execz .LBB34_137
; %bb.136:                              ;   in Loop: Header=BB34_129 Depth=1
	flat_load_dwordx2 v[82:83], v[0:1]
.LBB34_137:                             ;   in Loop: Header=BB34_129 Depth=1
	s_or_b64 exec, exec, s[4:5]
	v_cmp_gt_i32_e32 vcc, s26, v142
	v_mov_b64_e32 v[84:85], s[14:15]
	s_and_saveexec_b64 s[4:5], vcc
	s_cbranch_execz .LBB34_139
; %bb.138:                              ;   in Loop: Header=BB34_129 Depth=1
	v_lshl_add_u64 v[2:3], v[44:45], 0, v[38:39]
	flat_load_dwordx2 v[84:85], v[2:3]
.LBB34_139:                             ;   in Loop: Header=BB34_129 Depth=1
	s_or_b64 exec, exec, s[4:5]
	s_mov_b32 s15, s14
	v_cmp_gt_i32_e32 vcc, s26, v143
	v_mov_b64_e32 v[86:87], s[14:15]
	s_and_saveexec_b64 s[4:5], vcc
	s_cbranch_execz .LBB34_141
; %bb.140:                              ;   in Loop: Header=BB34_129 Depth=1
	v_lshl_add_u64 v[2:3], v[46:47], 0, v[38:39]
	flat_load_dwordx2 v[86:87], v[2:3]
.LBB34_141:                             ;   in Loop: Header=BB34_129 Depth=1
	s_or_b64 exec, exec, s[4:5]
	v_cmp_gt_i32_e64 s[4:5], s26, v144
	s_mov_b32 s9, 0
	s_branch .LBB34_144
.LBB34_142:                             ;   in Loop: Header=BB34_129 Depth=1
	s_mov_b64 s[4:5], 0
                                        ; implicit-def: $sgpr9
                                        ; implicit-def: $vgpr86_vgpr87
                                        ; implicit-def: $vgpr84_vgpr85
                                        ; implicit-def: $vgpr82_vgpr83
	s_cbranch_execz .LBB34_144
; %bb.143:                              ;   in Loop: Header=BB34_129 Depth=1
	s_waitcnt vmcnt(0) lgkmcnt(0)
	flat_load_dwordx2 v[82:83], v[0:1]
	v_lshl_add_u64 v[0:1], v[44:45], 0, v[38:39]
	flat_load_dwordx2 v[84:85], v[0:1]
	v_lshl_add_u64 v[0:1], v[42:43], 0, v[38:39]
	flat_load_dwordx2 v[86:87], v[0:1]
	s_or_b64 s[4:5], s[4:5], exec
                                        ; implicit-def: $sgpr9
.LBB34_144:                             ;   in Loop: Header=BB34_129 Depth=1
	v_mov_b32_e32 v88, s9
	v_mov_b32_e32 v89, s9
	s_and_saveexec_b64 s[24:25], s[4:5]
	s_cbranch_execz .LBB34_146
; %bb.145:                              ;   in Loop: Header=BB34_129 Depth=1
	v_lshl_add_u64 v[0:1], v[48:49], 0, v[38:39]
	flat_load_dwordx2 v[88:89], v[0:1]
.LBB34_146:                             ;   in Loop: Header=BB34_129 Depth=1
	s_or_b64 exec, exec, s[24:25]
	ds_read_b64 v[0:1], v138
	ds_read_b64 v[90:91], v145
	v_cndmask_b32_e64 v8, 0, 1, s[22:23]
	v_cmp_ne_u32_e64 s[4:5], 1, v8
	s_andn2_b64 vcc, exec, s[22:23]
	s_waitcnt vmcnt(0) lgkmcnt(0)
	v_mul_f32_e32 v2, v83, v1
	v_mul_f32_e32 v3, v83, v0
	v_fmac_f32_e32 v2, v82, v0
	v_fma_f32 v3, v82, v1, -v3
	v_mul_f32_e32 v4, v85, v1
	ds_write_b64 v146, v[2:3]
	v_mul_f32_e32 v2, v85, v0
	v_fmac_f32_e32 v4, v84, v0
	v_fma_f32 v5, v84, v1, -v2
	v_mul_f32_e32 v2, v87, v1
	v_mul_f32_e32 v3, v87, v0
	ds_read_b64 v[92:93], v145 offset:8
	ds_write_b64 v146, v[4:5] offset:536
	v_fmac_f32_e32 v2, v86, v0
	v_fma_f32 v3, v86, v1, -v3
	ds_read_b64 v[94:95], v145 offset:16
	ds_write_b64 v146, v[2:3] offset:1072
	v_mul_f32_e32 v2, v89, v1
	v_fmac_f32_e32 v2, v88, v0
	v_mul_f32_e32 v0, v89, v0
	v_fma_f32 v3, v88, v1, -v0
	ds_read_b64 v[96:97], v145 offset:24
	ds_write_b64 v146, v[2:3] offset:1608
	s_waitcnt lgkmcnt(0)
	s_barrier
	ds_read2_b64 v[4:7], v141 offset1:1
	ds_read2_b64 v[0:3], v141 offset0:2 offset1:3
	v_lshl_add_u64 v[8:9], v[50:51], 0, v[38:39]
	s_waitcnt lgkmcnt(0)
	s_barrier
	s_cbranch_vccnz .LBB34_154
; %bb.147:                              ;   in Loop: Header=BB34_129 Depth=1
	s_mov_b32 s15, s14
	v_cmp_gt_i32_e32 vcc, s26, v147
	v_mov_b64_e32 v[98:99], s[14:15]
	s_and_saveexec_b64 s[22:23], vcc
	s_cbranch_execz .LBB34_149
; %bb.148:                              ;   in Loop: Header=BB34_129 Depth=1
	flat_load_dwordx2 v[98:99], v[8:9]
.LBB34_149:                             ;   in Loop: Header=BB34_129 Depth=1
	s_or_b64 exec, exec, s[22:23]
	v_cmp_gt_i32_e32 vcc, s26, v148
	v_mov_b64_e32 v[100:101], s[14:15]
	s_and_saveexec_b64 s[22:23], vcc
	s_cbranch_execz .LBB34_151
; %bb.150:                              ;   in Loop: Header=BB34_129 Depth=1
	v_lshl_add_u64 v[10:11], v[54:55], 0, v[38:39]
	flat_load_dwordx2 v[100:101], v[10:11]
.LBB34_151:                             ;   in Loop: Header=BB34_129 Depth=1
	s_or_b64 exec, exec, s[22:23]
	s_mov_b32 s15, s14
	v_cmp_gt_i32_e32 vcc, s26, v149
	v_mov_b64_e32 v[102:103], s[14:15]
	s_and_saveexec_b64 s[22:23], vcc
	s_cbranch_execz .LBB34_153
; %bb.152:                              ;   in Loop: Header=BB34_129 Depth=1
	v_lshl_add_u64 v[10:11], v[56:57], 0, v[38:39]
	flat_load_dwordx2 v[102:103], v[10:11]
.LBB34_153:                             ;   in Loop: Header=BB34_129 Depth=1
	s_or_b64 exec, exec, s[22:23]
	v_cmp_gt_i32_e64 s[22:23], s26, v150
	s_mov_b32 s9, 0
	s_branch .LBB34_156
.LBB34_154:                             ;   in Loop: Header=BB34_129 Depth=1
	s_mov_b64 s[22:23], 0
                                        ; implicit-def: $sgpr9
                                        ; implicit-def: $vgpr102_vgpr103
                                        ; implicit-def: $vgpr100_vgpr101
                                        ; implicit-def: $vgpr98_vgpr99
	s_cbranch_execz .LBB34_156
; %bb.155:                              ;   in Loop: Header=BB34_129 Depth=1
	s_waitcnt vmcnt(0) lgkmcnt(0)
	flat_load_dwordx2 v[98:99], v[8:9]
	v_lshl_add_u64 v[8:9], v[54:55], 0, v[38:39]
	flat_load_dwordx2 v[100:101], v[8:9]
	v_lshl_add_u64 v[8:9], v[52:53], 0, v[38:39]
	flat_load_dwordx2 v[102:103], v[8:9]
	s_or_b64 s[22:23], s[22:23], exec
                                        ; implicit-def: $sgpr9
.LBB34_156:                             ;   in Loop: Header=BB34_129 Depth=1
	v_mov_b32_e32 v104, s9
	v_mov_b32_e32 v105, s9
	s_and_saveexec_b64 s[24:25], s[22:23]
	s_cbranch_execz .LBB34_158
; %bb.157:                              ;   in Loop: Header=BB34_129 Depth=1
	v_lshl_add_u64 v[8:9], v[58:59], 0, v[38:39]
	flat_load_dwordx2 v[104:105], v[8:9]
.LBB34_158:                             ;   in Loop: Header=BB34_129 Depth=1
	s_or_b64 exec, exec, s[24:25]
	ds_read_b64 v[8:9], v138
	ds_read_b64 v[106:107], v145 offset:128
	s_and_b64 vcc, exec, s[4:5]
	s_waitcnt vmcnt(0) lgkmcnt(0)
	v_mul_f32_e32 v10, v99, v9
	v_mul_f32_e32 v11, v99, v8
	v_fmac_f32_e32 v10, v98, v8
	v_fma_f32 v11, v98, v9, -v11
	v_mul_f32_e32 v12, v101, v9
	ds_write_b64 v146, v[10:11]
	v_mul_f32_e32 v10, v101, v8
	v_fmac_f32_e32 v12, v100, v8
	v_fma_f32 v13, v100, v9, -v10
	v_mul_f32_e32 v10, v103, v9
	v_mul_f32_e32 v11, v103, v8
	ds_read_b64 v[108:109], v145 offset:136
	ds_write_b64 v146, v[12:13] offset:536
	v_fmac_f32_e32 v10, v102, v8
	v_fma_f32 v11, v102, v9, -v11
	ds_read_b64 v[110:111], v145 offset:144
	ds_write_b64 v146, v[10:11] offset:1072
	v_mul_f32_e32 v10, v105, v9
	v_fmac_f32_e32 v10, v104, v8
	v_mul_f32_e32 v8, v105, v8
	v_fma_f32 v11, v104, v9, -v8
	ds_read_b64 v[112:113], v145 offset:152
	ds_write_b64 v146, v[10:11] offset:1608
	s_waitcnt lgkmcnt(0)
	s_barrier
	ds_read2_b64 v[16:19], v141 offset1:1
	ds_read2_b64 v[12:15], v141 offset0:2 offset1:3
	v_lshl_add_u64 v[8:9], v[60:61], 0, v[38:39]
	s_waitcnt lgkmcnt(0)
	s_barrier
	s_cbranch_vccnz .LBB34_166
; %bb.159:                              ;   in Loop: Header=BB34_129 Depth=1
	s_mov_b32 s15, s14
	v_cmp_gt_i32_e32 vcc, s26, v151
	v_mov_b64_e32 v[114:115], s[14:15]
	s_and_saveexec_b64 s[22:23], vcc
	s_cbranch_execz .LBB34_161
; %bb.160:                              ;   in Loop: Header=BB34_129 Depth=1
	flat_load_dwordx2 v[114:115], v[8:9]
.LBB34_161:                             ;   in Loop: Header=BB34_129 Depth=1
	s_or_b64 exec, exec, s[22:23]
	v_cmp_gt_i32_e32 vcc, s26, v152
	v_mov_b64_e32 v[116:117], s[14:15]
	s_and_saveexec_b64 s[22:23], vcc
	s_cbranch_execz .LBB34_163
; %bb.162:                              ;   in Loop: Header=BB34_129 Depth=1
	v_lshl_add_u64 v[10:11], v[64:65], 0, v[38:39]
	flat_load_dwordx2 v[116:117], v[10:11]
.LBB34_163:                             ;   in Loop: Header=BB34_129 Depth=1
	s_or_b64 exec, exec, s[22:23]
	s_mov_b32 s15, s14
	v_cmp_gt_i32_e32 vcc, s26, v153
	v_mov_b64_e32 v[118:119], s[14:15]
	s_and_saveexec_b64 s[22:23], vcc
	s_cbranch_execz .LBB34_165
; %bb.164:                              ;   in Loop: Header=BB34_129 Depth=1
	v_lshl_add_u64 v[10:11], v[66:67], 0, v[38:39]
	flat_load_dwordx2 v[118:119], v[10:11]
.LBB34_165:                             ;   in Loop: Header=BB34_129 Depth=1
	s_or_b64 exec, exec, s[22:23]
	v_cmp_gt_i32_e64 s[22:23], s26, v154
	s_mov_b32 s9, 0
	s_branch .LBB34_168
.LBB34_166:                             ;   in Loop: Header=BB34_129 Depth=1
	s_mov_b64 s[22:23], 0
                                        ; implicit-def: $sgpr9
                                        ; implicit-def: $vgpr118_vgpr119
                                        ; implicit-def: $vgpr116_vgpr117
                                        ; implicit-def: $vgpr114_vgpr115
	s_cbranch_execz .LBB34_168
; %bb.167:                              ;   in Loop: Header=BB34_129 Depth=1
	s_waitcnt vmcnt(0) lgkmcnt(0)
	flat_load_dwordx2 v[114:115], v[8:9]
	v_lshl_add_u64 v[8:9], v[64:65], 0, v[38:39]
	flat_load_dwordx2 v[116:117], v[8:9]
	v_lshl_add_u64 v[8:9], v[62:63], 0, v[38:39]
	flat_load_dwordx2 v[118:119], v[8:9]
	s_or_b64 s[22:23], s[22:23], exec
                                        ; implicit-def: $sgpr9
.LBB34_168:                             ;   in Loop: Header=BB34_129 Depth=1
	v_mov_b32_e32 v120, s9
	v_mov_b32_e32 v122, s9
	s_and_saveexec_b64 s[24:25], s[22:23]
	s_cbranch_execz .LBB34_170
; %bb.169:                              ;   in Loop: Header=BB34_129 Depth=1
	v_lshl_add_u64 v[8:9], v[68:69], 0, v[38:39]
	flat_load_dwordx2 v[120:121], v[8:9]
	s_waitcnt vmcnt(0) lgkmcnt(0)
	v_mov_b32_e32 v122, v121
.LBB34_170:                             ;   in Loop: Header=BB34_129 Depth=1
	s_or_b64 exec, exec, s[24:25]
	ds_read_b64 v[8:9], v138
	ds_read_b64 v[124:125], v145 offset:256
	s_and_b64 vcc, exec, s[4:5]
	v_lshl_add_u64 v[134:135], v[70:71], 0, v[38:39]
	s_waitcnt vmcnt(0) lgkmcnt(0)
	v_mul_f32_e32 v10, v115, v9
	v_mul_f32_e32 v11, v115, v8
	;; [unrolled: 1-line block ×4, first 2 shown]
	v_fmac_f32_e32 v10, v114, v8
	v_fma_f32 v11, v114, v9, -v11
	v_fmac_f32_e32 v20, v116, v8
	v_fma_f32 v21, v116, v9, -v21
	ds_write2_b64 v146, v[10:11], v[20:21] offset1:67
	v_mul_f32_e32 v10, v119, v9
	v_mul_f32_e32 v20, v122, v9
	v_fmac_f32_e32 v10, v118, v8
	v_mul_f32_e32 v11, v119, v8
	v_fmac_f32_e32 v20, v120, v8
	v_mul_f32_e32 v8, v122, v8
	v_fma_f32 v11, v118, v9, -v11
	v_fma_f32 v21, v120, v9, -v8
	ds_write2_b64 v146, v[10:11], v[20:21] offset0:134 offset1:201
	ds_read2_b64 v[8:11], v145 offset0:33 offset1:34
	ds_read_b64 v[126:127], v145 offset:280
	s_waitcnt lgkmcnt(0)
	s_barrier
	ds_read2_b64 v[24:27], v141 offset1:1
	ds_read2_b64 v[20:23], v141 offset0:2 offset1:3
	s_waitcnt lgkmcnt(0)
	s_barrier
	s_cbranch_vccnz .LBB34_178
; %bb.171:                              ;   in Loop: Header=BB34_129 Depth=1
	s_mov_b32 s15, s14
	v_cmp_gt_i32_e32 vcc, s26, v155
	v_mov_b64_e32 v[128:129], s[14:15]
	s_and_saveexec_b64 s[4:5], vcc
	s_cbranch_execz .LBB34_173
; %bb.172:                              ;   in Loop: Header=BB34_129 Depth=1
	flat_load_dwordx2 v[128:129], v[134:135]
.LBB34_173:                             ;   in Loop: Header=BB34_129 Depth=1
	s_or_b64 exec, exec, s[4:5]
	v_cmp_gt_i32_e32 vcc, s26, v156
	v_mov_b64_e32 v[130:131], s[14:15]
	s_and_saveexec_b64 s[4:5], vcc
	s_cbranch_execz .LBB34_175
; %bb.174:                              ;   in Loop: Header=BB34_129 Depth=1
	v_lshl_add_u64 v[130:131], v[74:75], 0, v[38:39]
	flat_load_dwordx2 v[130:131], v[130:131]
.LBB34_175:                             ;   in Loop: Header=BB34_129 Depth=1
	s_or_b64 exec, exec, s[4:5]
	s_mov_b32 s15, s14
	v_cmp_gt_i32_e32 vcc, s26, v157
	v_mov_b64_e32 v[132:133], s[14:15]
	s_and_saveexec_b64 s[4:5], vcc
	s_cbranch_execz .LBB34_177
; %bb.176:                              ;   in Loop: Header=BB34_129 Depth=1
	v_lshl_add_u64 v[132:133], v[76:77], 0, v[38:39]
	flat_load_dwordx2 v[132:133], v[132:133]
.LBB34_177:                             ;   in Loop: Header=BB34_129 Depth=1
	s_or_b64 exec, exec, s[4:5]
	v_cmp_gt_i32_e64 s[4:5], s26, v158
	s_mov_b32 s9, 0
	s_branch .LBB34_180
.LBB34_178:                             ;   in Loop: Header=BB34_129 Depth=1
	s_mov_b64 s[4:5], 0
                                        ; implicit-def: $sgpr9
                                        ; implicit-def: $vgpr132_vgpr133
                                        ; implicit-def: $vgpr130_vgpr131
                                        ; implicit-def: $vgpr128_vgpr129
	s_cbranch_execz .LBB34_180
; %bb.179:                              ;   in Loop: Header=BB34_129 Depth=1
	s_waitcnt vmcnt(0) lgkmcnt(0)
	v_lshl_add_u64 v[130:131], v[74:75], 0, v[38:39]
	v_lshl_add_u64 v[132:133], v[72:73], 0, v[38:39]
	flat_load_dwordx2 v[128:129], v[134:135]
	s_or_b64 s[4:5], s[4:5], exec
	flat_load_dwordx2 v[130:131], v[130:131]
                                        ; implicit-def: $sgpr9
	s_nop 0
	flat_load_dwordx2 v[132:133], v[132:133]
.LBB34_180:                             ;   in Loop: Header=BB34_129 Depth=1
	v_mov_b32_e32 v134, s9
	v_mov_b32_e32 v136, s9
	s_and_saveexec_b64 s[22:23], s[4:5]
	s_cbranch_execz .LBB34_182
; %bb.181:                              ;   in Loop: Header=BB34_129 Depth=1
	v_lshl_add_u64 v[134:135], v[78:79], 0, v[38:39]
	flat_load_dwordx2 v[134:135], v[134:135]
	s_waitcnt vmcnt(0) lgkmcnt(0)
	v_mov_b32_e32 v136, v135
.LBB34_182:                             ;   in Loop: Header=BB34_129 Depth=1
	s_or_b64 exec, exec, s[22:23]
	v_pk_add_f32 v[24:25], v[24:25], 0 op_sel_hi:[1,0]
	v_pk_add_f32 v[16:17], v[16:17], 0 op_sel_hi:[1,0]
	v_pk_add_f32 v[24:25], v[24:25], v[26:27]
	v_pk_add_f32 v[16:17], v[16:17], v[18:19]
	;; [unrolled: 1-line block ×5, first 2 shown]
	ds_read_b64 v[20:21], v138
	v_pk_add_f32 v[26:27], v[12:13], v[14:15]
	v_pk_add_f32 v[4:5], v[4:5], 0 op_sel_hi:[1,0]
	v_cmp_gt_i32_e32 vcc, s26, v30
	v_pk_add_f32 v[160:161], v[4:5], v[6:7]
	s_waitcnt vmcnt(0) lgkmcnt(0)
	v_mul_f32_e32 v12, v129, v21
	v_mul_f32_e32 v13, v129, v20
	v_mul_f32_e32 v14, v131, v21
	v_mul_f32_e32 v15, v131, v20
	v_fmac_f32_e32 v12, v128, v20
	v_fma_f32 v13, v128, v21, -v13
	v_fmac_f32_e32 v14, v130, v20
	v_fma_f32 v15, v130, v21, -v15
	ds_write2_b64 v146, v[12:13], v[14:15] offset1:67
	v_mul_f32_e32 v12, v133, v21
	v_mul_f32_e32 v13, v133, v20
	;; [unrolled: 1-line block ×4, first 2 shown]
	v_fmac_f32_e32 v12, v132, v20
	v_fma_f32 v13, v132, v21, -v13
	v_fmac_f32_e32 v14, v134, v20
	v_fma_f32 v15, v134, v21, -v15
	ds_write2_b64 v146, v[12:13], v[14:15] offset0:134 offset1:201
	ds_read_b128 v[16:19], v145 offset:384
	ds_read_b128 v[12:15], v145 offset:400
	s_waitcnt lgkmcnt(0)
	s_barrier
	ds_read2_b64 v[20:23], v141 offset1:1
	ds_read2_b64 v[4:7], v141 offset0:2 offset1:3
	v_pk_add_f32 v[0:1], v[160:161], v[0:1]
	s_or_b64 s[4:5], s[20:21], vcc
	v_pk_add_f32 v[0:1], v[0:1], v[2:3]
	s_waitcnt lgkmcnt(1)
	v_pk_add_f32 v[2:3], v[20:21], 0 op_sel_hi:[1,0]
	s_and_b64 s[20:21], s[0:1], s[4:5]
	v_pk_add_f32 v[2:3], v[2:3], v[22:23]
	s_waitcnt lgkmcnt(0)
	v_pk_add_f32 v[2:3], v[2:3], v[4:5]
	s_barrier
	v_pk_add_f32 v[2:3], v[2:3], v[6:7]
	ds_write2_b64 v159, v[0:1], v[26:27] offset1:16
	ds_write2_b64 v159, v[24:25], v[2:3] offset0:32 offset1:48
	s_waitcnt lgkmcnt(0)
	s_barrier
	s_and_saveexec_b64 s[4:5], s[20:21]
	s_cbranch_execz .LBB34_128
; %bb.183:                              ;   in Loop: Header=BB34_129 Depth=1
	ds_read_b64 v[20:21], v139
	ds_read2_b64 v[0:3], v139 offset0:1 offset1:2
	ds_read2_b64 v[4:7], v139 offset0:3 offset1:4
	v_ashrrev_i32_e32 v37, 31, v36
	v_lshl_add_u64 v[24:25], v[36:37], 3, s[6:7]
	s_waitcnt lgkmcnt(1)
	v_add_f32_e32 v0, v0, v20
	v_add_f32_e32 v1, v1, v21
	;; [unrolled: 1-line block ×4, first 2 shown]
	ds_read2_b64 v[0:3], v139 offset0:5 offset1:6
	s_waitcnt lgkmcnt(1)
	v_add_f32_e32 v4, v20, v4
	v_add_f32_e32 v5, v21, v5
	;; [unrolled: 1-line block ×4, first 2 shown]
	ds_read2_b64 v[4:7], v139 offset0:7 offset1:8
	s_waitcnt lgkmcnt(1)
	v_pk_add_f32 v[0:1], v[20:21], v[0:1]
	ds_read2_b64 v[20:23], v139 offset0:9 offset1:10
	v_pk_add_f32 v[0:1], v[0:1], v[2:3]
	s_waitcnt lgkmcnt(1)
	v_pk_add_f32 v[0:1], v[0:1], v[4:5]
	s_nop 0
	v_pk_add_f32 v[4:5], v[0:1], v[6:7]
	ds_read2_b64 v[0:3], v139 offset0:11 offset1:12
	s_waitcnt lgkmcnt(1)
	v_pk_add_f32 v[20:21], v[4:5], v[20:21]
	ds_read2_b64 v[4:7], v139 offset0:13 offset1:14
	v_pk_add_f32 v[20:21], v[20:21], v[22:23]
	ds_read_b64 v[22:23], v140
	s_waitcnt lgkmcnt(2)
	v_pk_add_f32 v[0:1], v[20:21], v[0:1]
	s_nop 0
	v_pk_add_f32 v[0:1], v[0:1], v[2:3]
	s_waitcnt lgkmcnt(1)
	v_pk_add_f32 v[0:1], v[0:1], v[4:5]
	s_nop 0
	v_pk_add_f32 v[0:1], v[0:1], v[6:7]
	s_waitcnt lgkmcnt(0)
	v_pk_add_f32 v[0:1], v[0:1], v[22:23]
	global_store_dwordx2 v[24:25], v[0:1], off
	s_branch .LBB34_128
.LBB34_184:
	s_movk_i32 s0, 0x218
	v_cmp_gt_i32_e32 vcc, s16, v30
	v_mad_u32_u24 v0, v29, s0, v31
	s_or_b64 s[0:1], s[18:19], vcc
	s_and_b64 s[0:1], s[12:13], s[0:1]
	ds_write_b64 v0, v[32:33]
	s_waitcnt lgkmcnt(0)
	s_barrier
	s_and_saveexec_b64 s[2:3], s[0:1]
	s_cbranch_execz .LBB34_186
; %bb.185:
	ds_read2_b64 v[0:3], v31 offset1:67
	ds_read2_b64 v[4:7], v31 offset0:134 offset1:201
	v_ashrrev_i32_e32 v29, 31, v28
	v_lshl_add_u64 v[8:9], v[28:29], 3, s[6:7]
	s_waitcnt lgkmcnt(1)
	v_pk_add_f32 v[0:1], v[2:3], v[0:1]
	s_waitcnt lgkmcnt(0)
	v_pk_add_f32 v[0:1], v[0:1], v[4:5]
	s_nop 0
	v_pk_add_f32 v[0:1], v[0:1], v[6:7]
	global_store_dwordx2 v[8:9], v[0:1], off
.LBB34_186:
	s_endpgm
	.section	.rodata,"a",@progbits
	.p2align	6, 0x0
	.amdhsa_kernel _ZL26rocblas_hemvn_kernel_upperILb1ELi64ELi4ELi33ELi32ELi16EiPK19rocblas_complex_numIfEPKS3_PS1_EviT6_lT7_lT5_lS8_lS9_lS7_lT8_i
		.amdhsa_group_segment_fixed_size 9600
		.amdhsa_private_segment_fixed_size 0
		.amdhsa_kernarg_size 376
		.amdhsa_user_sgpr_count 2
		.amdhsa_user_sgpr_dispatch_ptr 0
		.amdhsa_user_sgpr_queue_ptr 0
		.amdhsa_user_sgpr_kernarg_segment_ptr 1
		.amdhsa_user_sgpr_dispatch_id 0
		.amdhsa_user_sgpr_kernarg_preload_length 0
		.amdhsa_user_sgpr_kernarg_preload_offset 0
		.amdhsa_user_sgpr_private_segment_size 0
		.amdhsa_uses_dynamic_stack 0
		.amdhsa_enable_private_segment 0
		.amdhsa_system_sgpr_workgroup_id_x 1
		.amdhsa_system_sgpr_workgroup_id_y 0
		.amdhsa_system_sgpr_workgroup_id_z 1
		.amdhsa_system_sgpr_workgroup_info 0
		.amdhsa_system_vgpr_workitem_id 1
		.amdhsa_next_free_vgpr 162
		.amdhsa_next_free_sgpr 46
		.amdhsa_accum_offset 164
		.amdhsa_reserve_vcc 1
		.amdhsa_float_round_mode_32 0
		.amdhsa_float_round_mode_16_64 0
		.amdhsa_float_denorm_mode_32 3
		.amdhsa_float_denorm_mode_16_64 3
		.amdhsa_dx10_clamp 1
		.amdhsa_ieee_mode 1
		.amdhsa_fp16_overflow 0
		.amdhsa_tg_split 0
		.amdhsa_exception_fp_ieee_invalid_op 0
		.amdhsa_exception_fp_denorm_src 0
		.amdhsa_exception_fp_ieee_div_zero 0
		.amdhsa_exception_fp_ieee_overflow 0
		.amdhsa_exception_fp_ieee_underflow 0
		.amdhsa_exception_fp_ieee_inexact 0
		.amdhsa_exception_int_div_zero 0
	.end_amdhsa_kernel
	.section	.text._ZL26rocblas_hemvn_kernel_upperILb1ELi64ELi4ELi33ELi32ELi16EiPK19rocblas_complex_numIfEPKS3_PS1_EviT6_lT7_lT5_lS8_lS9_lS7_lT8_i,"axG",@progbits,_ZL26rocblas_hemvn_kernel_upperILb1ELi64ELi4ELi33ELi32ELi16EiPK19rocblas_complex_numIfEPKS3_PS1_EviT6_lT7_lT5_lS8_lS9_lS7_lT8_i,comdat
.Lfunc_end34:
	.size	_ZL26rocblas_hemvn_kernel_upperILb1ELi64ELi4ELi33ELi32ELi16EiPK19rocblas_complex_numIfEPKS3_PS1_EviT6_lT7_lT5_lS8_lS9_lS7_lT8_i, .Lfunc_end34-_ZL26rocblas_hemvn_kernel_upperILb1ELi64ELi4ELi33ELi32ELi16EiPK19rocblas_complex_numIfEPKS3_PS1_EviT6_lT7_lT5_lS8_lS9_lS7_lT8_i
                                        ; -- End function
	.section	.AMDGPU.csdata,"",@progbits
; Kernel info:
; codeLenInByte = 8984
; NumSgprs: 52
; NumVgprs: 162
; NumAgprs: 0
; TotalNumVgprs: 162
; ScratchSize: 0
; MemoryBound: 1
; FloatMode: 240
; IeeeMode: 1
; LDSByteSize: 9600 bytes/workgroup (compile time only)
; SGPRBlocks: 6
; VGPRBlocks: 20
; NumSGPRsForWavesPerEU: 52
; NumVGPRsForWavesPerEU: 162
; AccumOffset: 164
; Occupancy: 3
; WaveLimiterHint : 1
; COMPUTE_PGM_RSRC2:SCRATCH_EN: 0
; COMPUTE_PGM_RSRC2:USER_SGPR: 2
; COMPUTE_PGM_RSRC2:TRAP_HANDLER: 0
; COMPUTE_PGM_RSRC2:TGID_X_EN: 1
; COMPUTE_PGM_RSRC2:TGID_Y_EN: 0
; COMPUTE_PGM_RSRC2:TGID_Z_EN: 1
; COMPUTE_PGM_RSRC2:TIDIG_COMP_CNT: 1
; COMPUTE_PGM_RSRC3_GFX90A:ACCUM_OFFSET: 40
; COMPUTE_PGM_RSRC3_GFX90A:TG_SPLIT: 0
	.section	.text._ZL36rocblas_hemvn_kernel_upper_block_sumILi64EiPK19rocblas_complex_numIfEPKPS1_S1_EviT1_lS7_lT2_lT0_lPT3_i,"axG",@progbits,_ZL36rocblas_hemvn_kernel_upper_block_sumILi64EiPK19rocblas_complex_numIfEPKPS1_S1_EviT1_lS7_lT2_lT0_lPT3_i,comdat
	.globl	_ZL36rocblas_hemvn_kernel_upper_block_sumILi64EiPK19rocblas_complex_numIfEPKPS1_S1_EviT1_lS7_lT2_lT0_lPT3_i ; -- Begin function _ZL36rocblas_hemvn_kernel_upper_block_sumILi64EiPK19rocblas_complex_numIfEPKPS1_S1_EviT1_lS7_lT2_lT0_lPT3_i
	.p2align	8
	.type	_ZL36rocblas_hemvn_kernel_upper_block_sumILi64EiPK19rocblas_complex_numIfEPKPS1_S1_EviT1_lS7_lT2_lT0_lPT3_i,@function
_ZL36rocblas_hemvn_kernel_upper_block_sumILi64EiPK19rocblas_complex_numIfEPKPS1_S1_EviT1_lS7_lT2_lT0_lPT3_i: ; @_ZL36rocblas_hemvn_kernel_upper_block_sumILi64EiPK19rocblas_complex_numIfEPKPS1_S1_EviT1_lS7_lT2_lT0_lPT3_i
; %bb.0:
	s_load_dwordx8 s[4:11], s[0:1], 0x8
	s_mov_b32 s12, s3
	s_mov_b32 s13, 0
	s_waitcnt lgkmcnt(0)
	s_mul_i32 s3, s3, s7
	s_mul_hi_u32 s7, s12, s6
	s_add_i32 s7, s7, s3
	s_mul_i32 s6, s12, s6
	s_lshl_b64 s[6:7], s[6:7], 3
	s_add_u32 s4, s4, s6
	s_mul_i32 s3, s12, s11
	s_mul_hi_u32 s6, s12, s10
	s_addc_u32 s5, s5, s7
	s_add_i32 s11, s6, s3
	s_mul_i32 s10, s12, s10
	s_load_dwordx2 s[6:7], s[4:5], 0x0
	s_lshl_b64 s[4:5], s[10:11], 3
	s_add_u32 s4, s8, s4
	s_addc_u32 s5, s9, s5
	s_load_dwordx2 s[8:9], s[4:5], 0x0
	s_waitcnt lgkmcnt(0)
	s_or_b32 s3, s6, s7
	s_bitset0_b32 s3, 31
	s_cmp_eq_u32 s3, 0
	s_cselect_b64 s[4:5], -1, 0
	v_cmp_eq_f32_e64 s[10:11], s8, 1.0
	v_cmp_eq_f32_e64 s[14:15], s9, 0
	s_and_b64 s[10:11], s[10:11], s[14:15]
	s_and_b64 s[10:11], s[4:5], s[10:11]
	s_and_b64 vcc, exec, s[10:11]
	s_cbranch_vccnz .LBB35_17
; %bb.1:
	s_load_dwordx4 s[16:19], s[0:1], 0x28
	s_load_dword s3, s[0:1], 0x38
	s_load_dword s14, s[0:1], 0x0
	s_lshl_b64 s[10:11], s[12:13], 3
	v_lshl_or_b32 v0, s2, 6, v0
	s_waitcnt lgkmcnt(0)
	s_add_u32 s10, s16, s10
	s_addc_u32 s11, s17, s11
	s_load_dwordx2 s[10:11], s[10:11], 0x0
	s_lshl_b64 s[18:19], s[18:19], 3
	s_mov_b64 s[16:17], -1
	s_waitcnt lgkmcnt(0)
	s_add_u32 s10, s10, s18
	s_addc_u32 s11, s11, s19
	s_andn2_b64 vcc, exec, s[4:5]
	v_cmp_gt_i32_e64 s[4:5], s14, v0
	s_cbranch_vccnz .LBB35_7
; %bb.2:
	s_and_saveexec_b64 s[16:17], s[4:5]
	s_cbranch_execz .LBB35_6
; %bb.3:
	v_cmp_neq_f32_e64 s[4:5], s8, 0
	v_cmp_neq_f32_e64 s[18:19], s9, 0
	v_mul_lo_u32 v2, v0, s3
	v_ashrrev_i32_e32 v3, 31, v2
	s_or_b64 s[4:5], s[4:5], s[18:19]
	s_andn2_b64 vcc, exec, s[4:5]
	v_mov_b32_e32 v4, 0
	v_lshl_add_u64 v[2:3], v[2:3], 3, s[10:11]
	v_mov_b32_e32 v5, 0
	s_cbranch_vccnz .LBB35_5
; %bb.4:
	global_load_dwordx2 v[6:7], v[2:3], off
	s_waitcnt vmcnt(0)
	v_pk_mul_f32 v[8:9], v[6:7], s[8:9] op_sel:[1,0]
	s_nop 0
	v_pk_fma_f32 v[4:5], v[6:7], s[8:9], v[8:9] op_sel:[0,0,1] op_sel_hi:[1,1,0] neg_lo:[0,0,1] neg_hi:[0,0,1]
	v_pk_fma_f32 v[6:7], v[6:7], s[8:9], v[8:9] op_sel:[0,0,1] op_sel_hi:[0,1,0]
	v_mov_b32_e32 v5, v7
.LBB35_5:
	global_store_dwordx2 v[2:3], v[4:5], off
.LBB35_6:
	s_or_b64 exec, exec, s[16:17]
	s_mov_b64 s[16:17], 0
.LBB35_7:
	s_andn2_b64 vcc, exec, s[16:17]
	s_cbranch_vccnz .LBB35_17
; %bb.8:
	v_cmp_gt_i32_e32 vcc, s14, v0
	s_and_saveexec_b64 s[4:5], vcc
	s_cbranch_execz .LBB35_17
; %bb.9:
	v_mov_b32_e32 v3, 0
	s_cmp_lt_i32 s2, 0
	v_mov_b32_e32 v2, v3
	s_cbranch_scc1 .LBB35_12
; %bb.10:
	s_load_dwordx2 s[4:5], s[0:1], 0x48
	s_load_dword s13, s[0:1], 0x58
	s_ashr_i32 s15, s14, 31
	s_mul_hi_u32 s0, s14, s12
	s_mul_i32 s1, s15, s12
	s_add_i32 s0, s0, s1
	s_mul_i32 s12, s14, s12
	s_waitcnt lgkmcnt(0)
	s_mul_i32 s0, s0, s13
	s_mul_hi_u32 s1, s12, s13
	s_add_i32 s1, s1, s0
	s_mul_i32 s0, s12, s13
	s_lshl_b64 s[0:1], s[0:1], 3
	s_add_u32 s0, s4, s0
	s_addc_u32 s1, s5, s1
	v_mov_b32_e32 v1, 0
	v_lshl_add_u64 v[4:5], v[0:1], 3, s[0:1]
	s_add_i32 s2, s2, 1
	s_lshl_b64 s[0:1], s[14:15], 3
	v_mov_b32_e32 v2, v1
	v_mov_b32_e32 v3, v1
.LBB35_11:                              ; =>This Inner Loop Header: Depth=1
	global_load_dwordx2 v[6:7], v[4:5], off
	s_add_i32 s2, s2, -1
	v_lshl_add_u64 v[4:5], v[4:5], 0, s[0:1]
	s_cmp_eq_u32 s2, 0
	s_waitcnt vmcnt(0)
	v_pk_add_f32 v[2:3], v[2:3], v[6:7]
	s_cbranch_scc0 .LBB35_11
.LBB35_12:
	v_cmp_neq_f32_e64 s[0:1], s8, 0
	v_cmp_neq_f32_e64 s[4:5], s9, 0
	s_or_b64 s[0:1], s[0:1], s[4:5]
	v_pk_mul_f32 v[6:7], v[2:3], s[6:7] op_sel:[1,0]
	v_mul_lo_u32 v4, v0, s3
	s_andn2_b64 vcc, exec, s[0:1]
	v_pk_fma_f32 v[0:1], v[2:3], s[6:7], v[6:7] op_sel:[0,0,1] op_sel_hi:[0,1,0]
	v_ashrrev_i32_e32 v5, 31, v4
	s_cbranch_vccz .LBB35_14
; %bb.13:
	v_pk_mul_f32 v[8:9], v[2:3], s[6:7] op_sel_hi:[0,1]
	v_sub_f32_e32 v0, v8, v7
	s_cbranch_execz .LBB35_15
	s_branch .LBB35_16
.LBB35_14:
.LBB35_15:
	v_lshl_add_u64 v[8:9], v[4:5], 3, s[10:11]
	global_load_dwordx2 v[8:9], v[8:9], off
	v_pk_fma_f32 v[2:3], v[2:3], s[6:7], v[6:7] op_sel:[0,0,1] op_sel_hi:[1,1,0] neg_lo:[0,0,1] neg_hi:[0,0,1]
	s_waitcnt vmcnt(0)
	v_pk_mul_f32 v[6:7], v[8:9], s[8:9] op_sel:[1,0]
	s_nop 0
	v_pk_fma_f32 v[10:11], v[8:9], s[8:9], v[6:7] op_sel:[0,0,1] op_sel_hi:[1,1,0] neg_lo:[0,0,1] neg_hi:[0,0,1]
	v_pk_fma_f32 v[6:7], v[8:9], s[8:9], v[6:7] op_sel:[0,0,1] op_sel_hi:[0,1,0]
	v_mov_b32_e32 v11, v7
	v_mov_b32_e32 v3, v1
	v_pk_add_f32 v[0:1], v[2:3], v[10:11]
.LBB35_16:
	v_lshl_add_u64 v[2:3], v[4:5], 3, s[10:11]
	global_store_dwordx2 v[2:3], v[0:1], off
.LBB35_17:
	s_endpgm
	.section	.rodata,"a",@progbits
	.p2align	6, 0x0
	.amdhsa_kernel _ZL36rocblas_hemvn_kernel_upper_block_sumILi64EiPK19rocblas_complex_numIfEPKPS1_S1_EviT1_lS7_lT2_lT0_lPT3_i
		.amdhsa_group_segment_fixed_size 0
		.amdhsa_private_segment_fixed_size 0
		.amdhsa_kernarg_size 344
		.amdhsa_user_sgpr_count 2
		.amdhsa_user_sgpr_dispatch_ptr 0
		.amdhsa_user_sgpr_queue_ptr 0
		.amdhsa_user_sgpr_kernarg_segment_ptr 1
		.amdhsa_user_sgpr_dispatch_id 0
		.amdhsa_user_sgpr_kernarg_preload_length 0
		.amdhsa_user_sgpr_kernarg_preload_offset 0
		.amdhsa_user_sgpr_private_segment_size 0
		.amdhsa_uses_dynamic_stack 0
		.amdhsa_enable_private_segment 0
		.amdhsa_system_sgpr_workgroup_id_x 1
		.amdhsa_system_sgpr_workgroup_id_y 0
		.amdhsa_system_sgpr_workgroup_id_z 1
		.amdhsa_system_sgpr_workgroup_info 0
		.amdhsa_system_vgpr_workitem_id 0
		.amdhsa_next_free_vgpr 12
		.amdhsa_next_free_sgpr 20
		.amdhsa_accum_offset 12
		.amdhsa_reserve_vcc 1
		.amdhsa_float_round_mode_32 0
		.amdhsa_float_round_mode_16_64 0
		.amdhsa_float_denorm_mode_32 3
		.amdhsa_float_denorm_mode_16_64 3
		.amdhsa_dx10_clamp 1
		.amdhsa_ieee_mode 1
		.amdhsa_fp16_overflow 0
		.amdhsa_tg_split 0
		.amdhsa_exception_fp_ieee_invalid_op 0
		.amdhsa_exception_fp_denorm_src 0
		.amdhsa_exception_fp_ieee_div_zero 0
		.amdhsa_exception_fp_ieee_overflow 0
		.amdhsa_exception_fp_ieee_underflow 0
		.amdhsa_exception_fp_ieee_inexact 0
		.amdhsa_exception_int_div_zero 0
	.end_amdhsa_kernel
	.section	.text._ZL36rocblas_hemvn_kernel_upper_block_sumILi64EiPK19rocblas_complex_numIfEPKPS1_S1_EviT1_lS7_lT2_lT0_lPT3_i,"axG",@progbits,_ZL36rocblas_hemvn_kernel_upper_block_sumILi64EiPK19rocblas_complex_numIfEPKPS1_S1_EviT1_lS7_lT2_lT0_lPT3_i,comdat
.Lfunc_end35:
	.size	_ZL36rocblas_hemvn_kernel_upper_block_sumILi64EiPK19rocblas_complex_numIfEPKPS1_S1_EviT1_lS7_lT2_lT0_lPT3_i, .Lfunc_end35-_ZL36rocblas_hemvn_kernel_upper_block_sumILi64EiPK19rocblas_complex_numIfEPKPS1_S1_EviT1_lS7_lT2_lT0_lPT3_i
                                        ; -- End function
	.section	.AMDGPU.csdata,"",@progbits
; Kernel info:
; codeLenInByte = 700
; NumSgprs: 26
; NumVgprs: 12
; NumAgprs: 0
; TotalNumVgprs: 12
; ScratchSize: 0
; MemoryBound: 0
; FloatMode: 240
; IeeeMode: 1
; LDSByteSize: 0 bytes/workgroup (compile time only)
; SGPRBlocks: 3
; VGPRBlocks: 1
; NumSGPRsForWavesPerEU: 26
; NumVGPRsForWavesPerEU: 12
; AccumOffset: 12
; Occupancy: 8
; WaveLimiterHint : 1
; COMPUTE_PGM_RSRC2:SCRATCH_EN: 0
; COMPUTE_PGM_RSRC2:USER_SGPR: 2
; COMPUTE_PGM_RSRC2:TRAP_HANDLER: 0
; COMPUTE_PGM_RSRC2:TGID_X_EN: 1
; COMPUTE_PGM_RSRC2:TGID_Y_EN: 0
; COMPUTE_PGM_RSRC2:TGID_Z_EN: 1
; COMPUTE_PGM_RSRC2:TIDIG_COMP_CNT: 0
; COMPUTE_PGM_RSRC3_GFX90A:ACCUM_OFFSET: 2
; COMPUTE_PGM_RSRC3_GFX90A:TG_SPLIT: 0
	.section	.text._ZL26rocblas_hemvn_kernel_upperILb1ELi64ELi4ELi33ELi32ELi16El19rocblas_complex_numIfEPKPKS1_PS1_EviT6_lT7_lT5_lS8_lS9_lS7_lT8_i,"axG",@progbits,_ZL26rocblas_hemvn_kernel_upperILb1ELi64ELi4ELi33ELi32ELi16El19rocblas_complex_numIfEPKPKS1_PS1_EviT6_lT7_lT5_lS8_lS9_lS7_lT8_i,comdat
	.globl	_ZL26rocblas_hemvn_kernel_upperILb1ELi64ELi4ELi33ELi32ELi16El19rocblas_complex_numIfEPKPKS1_PS1_EviT6_lT7_lT5_lS8_lS9_lS7_lT8_i ; -- Begin function _ZL26rocblas_hemvn_kernel_upperILb1ELi64ELi4ELi33ELi32ELi16El19rocblas_complex_numIfEPKPKS1_PS1_EviT6_lT7_lT5_lS8_lS9_lS7_lT8_i
	.p2align	8
	.type	_ZL26rocblas_hemvn_kernel_upperILb1ELi64ELi4ELi33ELi32ELi16El19rocblas_complex_numIfEPKPKS1_PS1_EviT6_lT7_lT5_lS8_lS9_lS7_lT8_i,@function
_ZL26rocblas_hemvn_kernel_upperILb1ELi64ELi4ELi33ELi32ELi16El19rocblas_complex_numIfEPKPKS1_PS1_EviT6_lT7_lT5_lS8_lS9_lS7_lT8_i: ; @_ZL26rocblas_hemvn_kernel_upperILb1ELi64ELi4ELi33ELi32ELi16El19rocblas_complex_numIfEPKPKS1_PS1_EviT6_lT7_lT5_lS8_lS9_lS7_lT8_i
; %bb.0:
	s_load_dwordx2 s[4:5], s[0:1], 0x84
	s_add_u32 s14, s0, 0x78
	s_mov_b32 s26, s3
	s_addc_u32 s15, s1, 0
	s_waitcnt lgkmcnt(0)
	s_and_b32 s3, s5, 0xffff
	s_lshr_b32 s5, s4, 16
	s_and_b32 s4, s4, 0xffff
	s_mul_i32 s4, s5, s4
	s_mul_i32 s4, s4, s3
	s_cmpk_lg_i32 s4, 0x100
	s_cbranch_scc1 .LBB36_186
; %bb.1:
	s_load_dwordx2 s[8:9], s[0:1], 0x4
	s_load_dwordx4 s[4:7], s[0:1], 0x18
	s_load_dwordx2 s[24:25], s[0:1], 0x28
	s_waitcnt lgkmcnt(0)
	s_or_b32 s3, s8, s9
	s_bitset0_b32 s3, 31
	s_cmp_lg_u32 s3, 0
	s_cselect_b64 s[16:17], -1, 0
	s_and_b64 vcc, exec, s[16:17]
	s_cbranch_vccnz .LBB36_4
; %bb.2:
	s_load_dwordx2 s[8:9], s[0:1], 0x58
                                        ; implicit-def: $sgpr12_sgpr13
	s_waitcnt lgkmcnt(0)
	v_cmp_eq_f32_e64 s[10:11], s8, 1.0
	v_cmp_eq_f32_e64 s[8:9], s9, 0
	s_and_b64 s[8:9], s[10:11], s[8:9]
	s_mov_b64 s[10:11], 0
	s_andn2_b64 vcc, exec, s[8:9]
	s_mov_b64 s[8:9], 0
	s_cbranch_vccz .LBB36_5
; %bb.3:
	s_mov_b64 s[8:9], -1
	s_mov_b64 s[12:13], 0
	s_branch .LBB36_5
.LBB36_4:
	s_mov_b64 s[10:11], -1
	s_mov_b64 s[8:9], 0
                                        ; implicit-def: $sgpr12_sgpr13
.LBB36_5:
	s_and_b64 vcc, exec, s[10:11]
	s_cbranch_vccz .LBB36_7
; %bb.6:
	s_mov_b32 s27, 0
	s_lshl_b64 s[8:9], s[26:27], 3
	s_add_u32 s4, s4, s8
	s_addc_u32 s5, s5, s9
	s_load_dwordx2 s[4:5], s[4:5], 0x0
	s_lshl_b64 s[6:7], s[6:7], 3
	s_mov_b64 s[8:9], -1
	s_waitcnt lgkmcnt(0)
	s_add_u32 s12, s4, s6
	s_addc_u32 s13, s5, s7
.LBB36_7:
	s_andn2_b64 vcc, exec, s[8:9]
	s_cbranch_vccnz .LBB36_186
; %bb.8:
	s_load_dwordx4 s[8:11], s[0:1], 0x38
	s_load_dwordx2 s[18:19], s[0:1], 0x48
	v_cndmask_b32_e64 v1, 0, 1, s[16:17]
	v_cmp_ne_u32_e64 s[4:5], 1, v1
	s_andn2_b64 vcc, exec, s[16:17]
	s_mov_b64 s[6:7], 0
	s_cbranch_vccnz .LBB36_10
; %bb.9:
	s_mov_b32 s27, 0
	s_lshl_b64 s[6:7], s[26:27], 3
	s_waitcnt lgkmcnt(0)
	s_add_u32 s6, s8, s6
	s_addc_u32 s7, s9, s7
	s_load_dwordx2 s[6:7], s[6:7], 0x0
	s_lshl_b64 s[8:9], s[10:11], 3
	s_waitcnt lgkmcnt(0)
	s_add_u32 s6, s6, s8
	s_addc_u32 s7, s7, s9
.LBB36_10:
	s_and_b64 vcc, exec, s[4:5]
	s_cbranch_vccnz .LBB36_186
; %bb.11:
	s_load_dword s3, s[14:15], 0x0
	s_load_dword s33, s[0:1], 0x0
	v_and_b32_e32 v111, 0x3ff, v0
	s_lshl_b32 s28, s2, 6
	v_add_u32_e32 v28, s28, v111
	s_waitcnt lgkmcnt(0)
	s_add_i32 s4, s3, -1
	s_ashr_i32 s36, s33, 31
	s_lshr_b32 s5, s36, 26
	s_add_i32 s5, s33, s5
	s_andn2_b32 s5, s5, 63
	s_sub_i32 s27, s33, s5
	v_ashrrev_i32_e32 v29, 31, v28
	v_bfe_u32 v125, v0, 10, 10
	s_cmp_eq_u32 s2, s4
	v_mul_lo_u32 v2, v29, s18
	v_mul_lo_u32 v3, v28, s19
	v_mad_u64_u32 v[0:1], s[4:5], v28, s18, 0
	v_add3_u32 v1, v1, v3, v2
	s_cselect_b32 s20, s27, 0
	v_lshl_add_u64 v[12:13], v[0:1], 3, s[6:7]
	v_cmp_eq_u32_e64 s[14:15], 0, v125
	s_and_saveexec_b64 s[4:5], s[14:15]
	s_cbranch_execz .LBB36_16
; %bb.12:
	s_cmp_lg_u32 s20, 0
	s_cselect_b64 s[6:7], -1, 0
	v_cmp_le_i32_e32 vcc, s20, v111
	v_mov_b32_e32 v0, 0x2380
	s_and_b64 s[6:7], s[6:7], vcc
	v_lshl_add_u32 v0, v111, 3, v0
	s_and_saveexec_b64 s[8:9], s[6:7]
	s_xor_b64 s[6:7], exec, s[8:9]
	s_cbranch_execz .LBB36_14
; %bb.13:
	v_mov_b32_e32 v2, 0
	v_mov_b32_e32 v3, v2
	ds_write_b64 v0, v[2:3]
                                        ; implicit-def: $vgpr0
.LBB36_14:
	s_andn2_saveexec_b64 s[6:7], s[6:7]
	s_cbranch_execz .LBB36_16
; %bb.15:
	flat_load_dwordx2 v[2:3], v[12:13]
	s_waitcnt vmcnt(0) lgkmcnt(0)
	ds_write_b64 v0, v[2:3]
.LBB36_16:
	s_or_b64 exec, exec, s[4:5]
	s_ashr_i32 s29, s28, 31
	v_lshl_add_u32 v22, v125, 6, v111
	s_lshl_b64 s[4:5], s[28:29], 3
	v_and_b32_e32 v0, 31, v111
	v_lshrrev_b32_e32 v18, 5, v22
	s_add_u32 s6, s12, s4
	v_mov_b32_e32 v1, 0
	s_addc_u32 s7, s13, s5
	v_mad_u64_u32 v[14:15], s[4:5], v18, s24, v[0:1]
	v_mov_b32_e32 v2, v15
	v_mad_u64_u32 v[2:3], s[4:5], v18, s25, v[2:3]
	s_mul_i32 s4, s28, s25
	s_mul_hi_u32 s5, s28, s24
	s_add_i32 s4, s5, s4
	s_mul_i32 s5, s29, s24
	s_add_i32 s5, s4, s5
	s_mul_i32 s4, s28, s24
	s_lshl_b64 s[4:5], s[4:5], 3
	s_add_u32 s4, s4, s6
	s_addc_u32 s5, s5, s7
	s_cmp_eq_u32 s20, 0
	s_cselect_b64 s[22:23], -1, 0
	s_cmp_lg_u32 s20, 0
	v_mov_b32_e32 v15, v2
	s_cselect_b64 s[30:31], -1, 0
	v_lshl_add_u64 v[6:7], v[14:15], 3, s[4:5]
	s_and_b64 vcc, exec, s[30:31]
	v_cmp_gt_i32_e64 s[4:5], s20, v0
	v_lshlrev_b32_e32 v2, 3, v0
	s_mul_i32 s37, s25, 0xc0
	s_cbranch_vccz .LBB36_32
; %bb.17:
	v_sub_co_u32_e32 v4, vcc, v6, v2
	s_ashr_i32 s21, s20, 31
	s_nop 0
	v_subbrev_co_u32_e32 v5, vcc, 0, v7, vcc
	v_lshl_add_u64 v[4:5], s[20:21], 3, v[4:5]
	v_lshl_add_u64 v[4:5], v[4:5], 0, -8
	v_cndmask_b32_e64 v5, v5, v7, s[4:5]
	v_cndmask_b32_e64 v4, v4, v6, s[4:5]
	v_cmp_gt_i32_e32 vcc, s20, v18
	v_mov_b32_e32 v9, 0
	s_and_saveexec_b64 s[6:7], vcc
	s_cbranch_execz .LBB36_19
; %bb.18:
	flat_load_dwordx2 v[8:9], v[4:5]
	s_waitcnt vmcnt(0) lgkmcnt(0)
	v_mov_b32_e32 v1, v8
.LBB36_19:
	s_or_b64 exec, exec, s[6:7]
	v_mul_u32_u24_e32 v3, 33, v18
	v_mov_b32_e32 v8, v1
	v_add_u32_e32 v1, 8, v18
	v_add_lshl_u32 v3, v3, v0, 3
	v_cmp_le_i32_e32 vcc, s20, v1
	ds_write_b64 v3, v[8:9]
	s_and_saveexec_b64 s[6:7], vcc
	s_xor_b64 s[6:7], exec, s[6:7]
	s_cbranch_execz .LBB36_21
; %bb.20:
	v_mul_u32_u24_e32 v1, 33, v1
	v_mov_b32_e32 v8, 0
	v_add_lshl_u32 v1, v1, v0, 3
	v_mov_b32_e32 v9, v8
	ds_write_b64 v1, v[8:9]
.LBB36_21:
	s_andn2_saveexec_b64 s[6:7], s[6:7]
	s_cbranch_execz .LBB36_23
; %bb.22:
	s_lshl_b64 s[8:9], s[24:25], 6
	v_lshl_add_u64 v[8:9], v[4:5], 0, s[8:9]
	flat_load_dwordx2 v[8:9], v[8:9]
	s_waitcnt vmcnt(0) lgkmcnt(0)
	ds_write_b64 v3, v[8:9] offset:2112
.LBB36_23:
	s_or_b64 exec, exec, s[6:7]
	v_add_u32_e32 v1, 16, v18
	v_cmp_le_i32_e32 vcc, s20, v1
	s_and_saveexec_b64 s[6:7], vcc
	s_xor_b64 s[6:7], exec, s[6:7]
	s_cbranch_execz .LBB36_25
; %bb.24:
	v_mov_b32_e32 v8, 0
	v_mov_b32_e32 v9, v8
	ds_write_b64 v3, v[8:9] offset:4224
.LBB36_25:
	s_andn2_saveexec_b64 s[6:7], s[6:7]
	s_cbranch_execz .LBB36_27
; %bb.26:
	s_lshl_b64 s[8:9], s[24:25], 7
	v_lshl_add_u64 v[8:9], v[4:5], 0, s[8:9]
	flat_load_dwordx2 v[8:9], v[8:9]
	s_waitcnt vmcnt(0) lgkmcnt(0)
	ds_write_b64 v3, v[8:9] offset:4224
.LBB36_27:
	s_or_b64 exec, exec, s[6:7]
	v_add_u32_e32 v1, 24, v18
	v_cmp_le_i32_e32 vcc, s20, v1
	s_and_saveexec_b64 s[6:7], vcc
	s_xor_b64 s[6:7], exec, s[6:7]
	s_cbranch_execz .LBB36_29
; %bb.28:
	v_mov_b32_e32 v8, 0
	v_mov_b32_e32 v9, v8
	ds_write_b64 v3, v[8:9] offset:6336
                                        ; implicit-def: $vgpr3
.LBB36_29:
	s_andn2_saveexec_b64 s[6:7], s[6:7]
	s_cbranch_execz .LBB36_31
; %bb.30:
	v_mov_b32_e32 v1, 0xc0
	v_mad_u64_u32 v[8:9], s[8:9], s24, v1, v[4:5]
	v_add_u32_e32 v9, s37, v9
	flat_load_dwordx2 v[8:9], v[8:9]
	s_waitcnt vmcnt(0) lgkmcnt(0)
	ds_write_b64 v3, v[8:9] offset:6336
.LBB36_31:
	s_or_b64 exec, exec, s[6:7]
	v_mov_b32_e32 v3, 0
	v_lshl_add_u64 v[4:5], v[4:5], 0, v[2:3]
	s_lshl_b64 s[6:7], s[20:21], 3
	v_mov_b32_e32 v1, s7
	v_subrev_co_u32_e32 v4, vcc, s6, v4
	s_nop 1
	v_subb_co_u32_e32 v5, vcc, v5, v1, vcc
	v_lshl_add_u64 v[4:5], v[4:5], 0, 8
	v_cndmask_b32_e64 v5, v5, v7, s[4:5]
	v_cndmask_b32_e64 v4, v4, v6, s[4:5]
	v_mul_u32_u24_e32 v1, 33, v18
	s_branch .LBB36_34
.LBB36_32:
                                        ; implicit-def: $vgpr4_vgpr5
	v_mul_u32_u24_e32 v1, 33, v18
	s_cbranch_execz .LBB36_34
; %bb.33:
	flat_load_dwordx2 v[4:5], v[6:7]
	v_add_lshl_u32 v3, v1, v0, 3
	s_lshl_b64 s[4:5], s[24:25], 6
	v_lshl_add_u64 v[8:9], v[6:7], 0, s[4:5]
	s_waitcnt vmcnt(0) lgkmcnt(0)
	ds_write_b64 v3, v[4:5]
	flat_load_dwordx2 v[4:5], v[8:9]
	v_lshl_add_u64 v[8:9], v[8:9], 0, s[4:5]
	s_waitcnt vmcnt(0) lgkmcnt(0)
	ds_write_b64 v3, v[4:5] offset:2112
	flat_load_dwordx2 v[4:5], v[8:9]
	v_mov_b32_e32 v8, 0xc0
	v_mad_u64_u32 v[8:9], s[4:5], s24, v8, v[6:7]
	v_add_u32_e32 v9, s37, v9
	s_waitcnt vmcnt(0) lgkmcnt(0)
	ds_write_b64 v3, v[4:5] offset:4224
	flat_load_dwordx2 v[4:5], v[8:9]
	s_waitcnt vmcnt(0) lgkmcnt(0)
	ds_write_b64 v3, v[4:5] offset:6336
	v_mov_b64_e32 v[4:5], v[6:7]
.LBB36_34:
	v_lshlrev_b32_e32 v21, 2, v18
	v_cmp_le_u32_e64 s[6:7], v21, v0
	s_waitcnt lgkmcnt(0)
	s_barrier
	s_and_saveexec_b64 s[4:5], s[6:7]
	s_xor_b64 s[4:5], exec, s[4:5]
	s_cbranch_execz .LBB36_38
; %bb.35:
	v_cmp_eq_u32_e32 vcc, v21, v0
	s_and_saveexec_b64 s[8:9], vcc
	s_cbranch_execz .LBB36_37
; %bb.36:
	v_mul_u32_u24_e32 v3, 34, v0
	v_lshlrev_b32_e32 v3, 3, v3
	v_mov_b32_e32 v6, 0
	ds_write_b32 v3, v6 offset:4
.LBB36_37:
	s_or_b64 exec, exec, s[8:9]
.LBB36_38:
	s_or_saveexec_b64 s[4:5], s[4:5]
	v_mul_u32_u24_e32 v19, 33, v0
	v_add_lshl_u32 v16, v21, v19, 3
	s_xor_b64 exec, exec, s[4:5]
	s_cbranch_execz .LBB36_40
; %bb.39:
	v_mul_u32_u24_e32 v3, 0x84, v18
	v_add_lshl_u32 v3, v3, v0, 3
	ds_read_b64 v[6:7], v3
	s_waitcnt lgkmcnt(0)
	v_xor_b32_e32 v7, 0x80000000, v7
	ds_write_b64 v16, v[6:7]
.LBB36_40:
	s_or_b64 exec, exec, s[4:5]
	v_or_b32_e32 v17, 1, v21
	v_cmp_ge_u32_e64 s[8:9], v21, v0
	v_mul_u32_u24_e32 v3, 33, v17
	s_and_saveexec_b64 s[4:5], s[8:9]
	s_xor_b64 s[4:5], exec, s[4:5]
	s_cbranch_execz .LBB36_42
; %bb.41:
	v_add_lshl_u32 v6, v3, v0, 3
	ds_read_b64 v[6:7], v6
	s_waitcnt lgkmcnt(0)
	v_xor_b32_e32 v7, 0x80000000, v7
	ds_write_b64 v16, v[6:7] offset:8
.LBB36_42:
	s_andn2_saveexec_b64 s[4:5], s[4:5]
	s_cbranch_execz .LBB36_46
; %bb.43:
	v_cmp_eq_u32_e32 vcc, v17, v0
	s_and_saveexec_b64 s[10:11], vcc
	s_cbranch_execz .LBB36_45
; %bb.44:
	v_mul_u32_u24_e32 v6, 34, v0
	v_lshlrev_b32_e32 v6, 3, v6
	v_mov_b32_e32 v7, 0
	ds_write_b32 v6, v7 offset:4
.LBB36_45:
	s_or_b64 exec, exec, s[10:11]
.LBB36_46:
	s_or_b64 exec, exec, s[4:5]
	v_or_b32_e32 v26, 2, v21
	v_cmp_le_u32_e64 s[10:11], v26, v0
	s_and_saveexec_b64 s[4:5], s[10:11]
	s_xor_b64 s[4:5], exec, s[4:5]
	s_cbranch_execz .LBB36_50
; %bb.47:
	v_cmp_eq_u32_e32 vcc, v26, v0
	s_and_saveexec_b64 s[12:13], vcc
	s_cbranch_execz .LBB36_49
; %bb.48:
	v_mul_u32_u24_e32 v6, 34, v0
	v_lshlrev_b32_e32 v6, 3, v6
	v_mov_b32_e32 v7, 0
	ds_write_b32 v6, v7 offset:4
.LBB36_49:
	s_or_b64 exec, exec, s[12:13]
.LBB36_50:
	s_andn2_saveexec_b64 s[4:5], s[4:5]
	s_cbranch_execz .LBB36_52
; %bb.51:
	v_mul_u32_u24_e32 v6, 33, v26
	v_add_lshl_u32 v6, v6, v0, 3
	ds_read_b64 v[6:7], v6
	s_waitcnt lgkmcnt(0)
	v_xor_b32_e32 v7, 0x80000000, v7
	ds_write_b64 v16, v[6:7] offset:16
.LBB36_52:
	s_or_b64 exec, exec, s[4:5]
	v_or_b32_e32 v27, 3, v21
	v_cmp_le_u32_e64 s[12:13], v27, v0
	s_and_saveexec_b64 s[4:5], s[12:13]
	s_xor_b64 s[4:5], exec, s[4:5]
	s_cbranch_execz .LBB36_56
; %bb.53:
	v_cmp_eq_u32_e32 vcc, v27, v0
	s_and_saveexec_b64 s[16:17], vcc
	s_cbranch_execz .LBB36_55
; %bb.54:
	v_mul_u32_u24_e32 v6, 34, v0
	v_lshlrev_b32_e32 v6, 3, v6
	v_mov_b32_e32 v7, 0
	ds_write_b32 v6, v7 offset:4
.LBB36_55:
	s_or_b64 exec, exec, s[16:17]
.LBB36_56:
	s_andn2_saveexec_b64 s[4:5], s[4:5]
	s_cbranch_execz .LBB36_58
; %bb.57:
	v_mul_u32_u24_e32 v6, 33, v27
	v_add_lshl_u32 v6, v6, v0, 3
	ds_read_b64 v[6:7], v6
	s_waitcnt lgkmcnt(0)
	v_xor_b32_e32 v7, 0x80000000, v7
	ds_write_b64 v16, v[6:7] offset:24
.LBB36_58:
	s_or_b64 exec, exec, s[4:5]
	v_mul_u32_u24_e32 v6, 0x84, v18
	v_lshlrev_b32_e32 v32, 3, v21
	s_waitcnt lgkmcnt(0)
	s_barrier
	v_add_lshl_u32 v20, v6, v0, 3
	v_add_lshl_u32 v25, v3, v0, 3
	ds_read_b128 v[6:9], v32 offset:9088
	ds_read_b64 v[10:11], v20
	ds_read2_b64 v[34:37], v25 offset1:33
	ds_read_b64 v[30:31], v25 offset:528
	ds_read_b128 v[38:41], v32 offset:9104
	s_mov_b32 s16, 0
	s_waitcnt lgkmcnt(3)
	v_pk_mul_f32 v[42:43], v[6:7], v[10:11] op_sel:[0,1]
	s_mov_b32 s17, s16
	v_pk_fma_f32 v[44:45], v[6:7], v[10:11], v[42:43] op_sel:[0,0,1] op_sel_hi:[1,1,0] neg_lo:[0,0,1] neg_hi:[0,0,1]
	v_pk_fma_f32 v[6:7], v[6:7], v[10:11], v[42:43] op_sel:[0,0,1] op_sel_hi:[1,0,0]
	s_waitcnt lgkmcnt(2)
	v_pk_mul_f32 v[10:11], v[8:9], v[34:35] op_sel:[0,1]
	v_mov_b32_e32 v45, v7
	v_pk_fma_f32 v[42:43], v[8:9], v[34:35], v[10:11] op_sel:[0,0,1] op_sel_hi:[1,1,0] neg_lo:[0,0,1] neg_hi:[0,0,1]
	v_pk_fma_f32 v[8:9], v[8:9], v[34:35], v[10:11] op_sel:[0,0,1] op_sel_hi:[1,0,0]
	v_pk_add_f32 v[6:7], v[44:45], 0 op_sel_hi:[1,0]
	v_mov_b32_e32 v43, v9
	s_waitcnt lgkmcnt(0)
	v_pk_mul_f32 v[8:9], v[38:39], v[36:37] op_sel:[0,1]
	v_pk_add_f32 v[6:7], v[6:7], v[42:43]
	v_pk_fma_f32 v[10:11], v[38:39], v[36:37], v[8:9] op_sel:[0,0,1] op_sel_hi:[1,1,0] neg_lo:[0,0,1] neg_hi:[0,0,1]
	v_pk_fma_f32 v[8:9], v[38:39], v[36:37], v[8:9] op_sel:[0,0,1] op_sel_hi:[1,0,0]
	v_add_lshl_u32 v23, v18, v19, 3
	v_mov_b32_e32 v11, v9
	v_pk_mul_f32 v[8:9], v[40:41], v[30:31] op_sel:[0,1]
	v_pk_add_f32 v[6:7], v[6:7], v[10:11]
	v_pk_fma_f32 v[10:11], v[40:41], v[30:31], v[8:9] op_sel:[0,0,1] op_sel_hi:[1,1,0] neg_lo:[0,0,1] neg_hi:[0,0,1]
	v_pk_fma_f32 v[8:9], v[40:41], v[30:31], v[8:9] op_sel:[0,0,1] op_sel_hi:[1,0,0]
	v_cmp_gt_u32_e64 s[4:5], 32, v22
	v_mov_b32_e32 v11, v9
	v_pk_add_f32 v[6:7], v[6:7], v[10:11]
	v_mov_b64_e32 v[30:31], s[16:17]
	v_lshlrev_b32_e32 v24, 3, v19
	s_barrier
	ds_write_b64 v23, v[6:7]
	s_waitcnt lgkmcnt(0)
	s_barrier
	s_and_saveexec_b64 s[16:17], s[4:5]
	s_cbranch_execz .LBB36_60
; %bb.59:
	ds_read2_b64 v[6:9], v24 offset1:7
	ds_read2_b64 v[34:37], v24 offset0:1 offset1:2
	ds_read2_b64 v[38:41], v24 offset0:3 offset1:4
	s_waitcnt lgkmcnt(1)
	v_add_f32_e32 v3, v34, v6
	v_add_f32_e32 v6, v35, v7
	;; [unrolled: 1-line block ×4, first 2 shown]
	ds_read2_b64 v[34:37], v24 offset0:5 offset1:6
	s_waitcnt lgkmcnt(1)
	v_add_f32_e32 v3, v3, v38
	v_add_f32_e32 v6, v6, v39
	;; [unrolled: 1-line block ×4, first 2 shown]
	s_waitcnt lgkmcnt(0)
	v_add_f32_e32 v3, v3, v34
	v_add_f32_e32 v7, v6, v35
	;; [unrolled: 1-line block ×4, first 2 shown]
	v_pk_add_f32 v[30:31], v[6:7], v[8:9]
.LBB36_60:
	s_or_b64 exec, exec, s[16:17]
	s_lshl_b64 s[16:17], s[24:25], 8
	v_lshl_add_u64 v[8:9], v[4:5], 0, s[16:17]
	s_mov_b64 s[16:17], 0x100
	v_lshl_add_u64 v[6:7], v[8:9], 0, s[16:17]
	s_and_b64 vcc, exec, s[30:31]
	s_barrier
	s_cbranch_vccz .LBB36_76
; %bb.61:
	v_or_b32_e32 v3, 32, v0
	v_lshlrev_b32_e32 v4, 3, v3
	v_sub_co_u32_e32 v4, vcc, v6, v4
	s_ashr_i32 s21, s20, 31
	s_nop 0
	v_subbrev_co_u32_e32 v5, vcc, 0, v7, vcc
	v_lshl_add_u64 v[4:5], s[20:21], 3, v[4:5]
	v_lshl_add_u64 v[4:5], v[4:5], 0, -8
	v_cmp_gt_i32_e32 vcc, s20, v3
	s_sub_i32 s38, s20, 32
	v_mov_b32_e32 v10, 0
	v_cndmask_b32_e32 v5, v5, v7, vcc
	v_cndmask_b32_e32 v4, v4, v6, vcc
	v_cmp_gt_i32_e64 s[16:17], s38, v18
	v_mov_b32_e32 v11, v10
	s_and_saveexec_b64 s[34:35], s[16:17]
	s_cbranch_execz .LBB36_63
; %bb.62:
	flat_load_dwordx2 v[10:11], v[4:5]
.LBB36_63:
	s_or_b64 exec, exec, s[34:35]
	v_add_lshl_u32 v3, v1, v0, 3
	s_waitcnt vmcnt(0) lgkmcnt(0)
	ds_write_b64 v3, v[10:11]
	v_add_u32_e32 v10, 8, v18
	v_cmp_le_i32_e64 s[16:17], s38, v10
	s_and_saveexec_b64 s[34:35], s[16:17]
	s_xor_b64 s[16:17], exec, s[34:35]
	s_cbranch_execz .LBB36_65
; %bb.64:
	v_mul_u32_u24_e32 v10, 33, v10
	v_add_lshl_u32 v33, v10, v0, 3
	v_mov_b32_e32 v10, 0
	v_mov_b32_e32 v11, v10
	ds_write_b64 v33, v[10:11]
.LBB36_65:
	s_andn2_saveexec_b64 s[16:17], s[16:17]
	s_cbranch_execz .LBB36_67
; %bb.66:
	s_lshl_b64 s[34:35], s[24:25], 6
	v_lshl_add_u64 v[10:11], v[4:5], 0, s[34:35]
	flat_load_dwordx2 v[10:11], v[10:11]
	s_waitcnt vmcnt(0) lgkmcnt(0)
	ds_write_b64 v3, v[10:11] offset:2112
.LBB36_67:
	s_or_b64 exec, exec, s[16:17]
	v_add_u32_e32 v10, 16, v18
	v_cmp_le_i32_e64 s[16:17], s38, v10
	s_and_saveexec_b64 s[34:35], s[16:17]
	s_xor_b64 s[16:17], exec, s[34:35]
	s_cbranch_execz .LBB36_69
; %bb.68:
	v_mov_b32_e32 v10, 0
	v_mov_b32_e32 v11, v10
	ds_write_b64 v3, v[10:11] offset:4224
.LBB36_69:
	s_andn2_saveexec_b64 s[16:17], s[16:17]
	s_cbranch_execz .LBB36_71
; %bb.70:
	s_lshl_b64 s[34:35], s[24:25], 7
	v_lshl_add_u64 v[10:11], v[4:5], 0, s[34:35]
	flat_load_dwordx2 v[10:11], v[10:11]
	s_waitcnt vmcnt(0) lgkmcnt(0)
	ds_write_b64 v3, v[10:11] offset:4224
.LBB36_71:
	s_or_b64 exec, exec, s[16:17]
	v_add_u32_e32 v10, 24, v18
	v_cmp_le_i32_e64 s[16:17], s38, v10
	s_and_saveexec_b64 s[34:35], s[16:17]
	s_xor_b64 s[16:17], exec, s[34:35]
	s_cbranch_execz .LBB36_73
; %bb.72:
	v_mov_b32_e32 v10, 0
	v_mov_b32_e32 v11, v10
	ds_write_b64 v3, v[10:11] offset:6336
                                        ; implicit-def: $vgpr3
.LBB36_73:
	s_andn2_saveexec_b64 s[16:17], s[16:17]
	s_cbranch_execz .LBB36_75
; %bb.74:
	v_mov_b32_e32 v10, 0xc0
	v_mad_u64_u32 v[10:11], s[34:35], s24, v10, v[4:5]
	v_add_u32_e32 v11, s37, v11
	flat_load_dwordx2 v[10:11], v[10:11]
	s_waitcnt vmcnt(0) lgkmcnt(0)
	ds_write_b64 v3, v[10:11] offset:6336
.LBB36_75:
	s_or_b64 exec, exec, s[16:17]
	v_mov_b32_e32 v3, 0
	v_lshl_add_u64 v[4:5], v[4:5], 0, v[2:3]
	s_lshl_b64 s[16:17], s[20:21], 3
	v_mov_b32_e32 v3, s17
	v_subrev_co_u32_e64 v4, s[16:17], s16, v4
	s_nop 1
	v_subb_co_u32_e64 v5, s[16:17], v5, v3, s[16:17]
	s_mov_b64 s[16:17], 0x108
	s_nop 0
	v_lshl_add_u64 v[4:5], v[4:5], 0, s[16:17]
	v_cndmask_b32_e32 v5, v5, v7, vcc
	v_cndmask_b32_e32 v4, v4, v6, vcc
	s_branch .LBB36_78
.LBB36_76:
                                        ; implicit-def: $vgpr4_vgpr5
	s_cbranch_execz .LBB36_78
; %bb.77:
	flat_load_dwordx2 v[4:5], v[8:9] offset:256
	v_add_lshl_u32 v3, v1, v0, 3
	s_lshl_b64 s[16:17], s[24:25], 6
	v_lshl_add_u64 v[10:11], v[8:9], 0, s[16:17]
	s_waitcnt vmcnt(0) lgkmcnt(0)
	ds_write_b64 v3, v[4:5]
	flat_load_dwordx2 v[4:5], v[10:11] offset:256
	v_lshl_add_u64 v[10:11], v[10:11], 0, s[16:17]
	s_waitcnt vmcnt(0) lgkmcnt(0)
	ds_write_b64 v3, v[4:5] offset:2112
	flat_load_dwordx2 v[4:5], v[10:11] offset:256
	v_mov_b32_e32 v10, 0xc0
	v_mad_u64_u32 v[8:9], s[16:17], s24, v10, v[8:9]
	v_add_u32_e32 v9, s37, v9
	s_waitcnt vmcnt(0) lgkmcnt(0)
	ds_write_b64 v3, v[4:5] offset:4224
	flat_load_dwordx2 v[4:5], v[8:9] offset:256
	s_waitcnt vmcnt(0) lgkmcnt(0)
	ds_write_b64 v3, v[4:5] offset:6336
	v_mov_b64_e32 v[4:5], v[6:7]
.LBB36_78:
	s_waitcnt lgkmcnt(0)
	s_barrier
	s_and_saveexec_b64 s[16:17], s[6:7]
	s_xor_b64 s[6:7], exec, s[16:17]
	s_cbranch_execnz .LBB36_105
; %bb.79:
	s_andn2_saveexec_b64 s[6:7], s[6:7]
	s_cbranch_execnz .LBB36_108
.LBB36_80:
	s_or_b64 exec, exec, s[6:7]
	s_and_saveexec_b64 s[6:7], s[8:9]
	s_xor_b64 s[6:7], exec, s[6:7]
	s_cbranch_execnz .LBB36_109
.LBB36_81:
	s_andn2_saveexec_b64 s[6:7], s[6:7]
	s_cbranch_execnz .LBB36_110
.LBB36_82:
	s_or_b64 exec, exec, s[6:7]
	s_and_saveexec_b64 s[6:7], s[10:11]
	s_xor_b64 s[6:7], exec, s[6:7]
	s_cbranch_execnz .LBB36_113
.LBB36_83:
	s_andn2_saveexec_b64 s[6:7], s[6:7]
	s_cbranch_execnz .LBB36_116
.LBB36_84:
	s_or_b64 exec, exec, s[6:7]
	s_and_saveexec_b64 s[6:7], s[12:13]
	s_xor_b64 s[6:7], exec, s[6:7]
	s_cbranch_execnz .LBB36_117
.LBB36_85:
	s_or_saveexec_b64 s[6:7], s[6:7]
	v_add_u32_e32 v26, 0x2380, v32
	s_xor_b64 exec, exec, s[6:7]
	s_cbranch_execz .LBB36_87
.LBB36_86:
	ds_read_b64 v[6:7], v25 offset:528
	s_waitcnt lgkmcnt(0)
	v_xor_b32_e32 v7, 0x80000000, v7
	ds_write_b64 v16, v[6:7] offset:24
.LBB36_87:
	s_or_b64 exec, exec, s[6:7]
	s_waitcnt lgkmcnt(0)
	s_barrier
	ds_read_b64 v[10:11], v20
	ds_read_b128 v[6:9], v26 offset:256
	ds_read2_b64 v[32:35], v25 offset1:33
	ds_read_b64 v[16:17], v25 offset:528
	ds_read_b128 v[36:39], v26 offset:272
	v_cmp_eq_u32_e64 s[6:7], 1, v18
	s_waitcnt lgkmcnt(3)
	v_pk_mul_f32 v[40:41], v[6:7], v[10:11] op_sel:[0,1]
	s_waitcnt lgkmcnt(0)
	v_pk_fma_f32 v[42:43], v[6:7], v[10:11], v[40:41] op_sel:[0,0,1] op_sel_hi:[1,1,0] neg_lo:[0,0,1] neg_hi:[0,0,1]
	v_pk_fma_f32 v[6:7], v[6:7], v[10:11], v[40:41] op_sel:[0,0,1] op_sel_hi:[1,0,0]
	v_pk_mul_f32 v[10:11], v[8:9], v[32:33] op_sel:[0,1]
	v_mov_b32_e32 v43, v7
	v_pk_fma_f32 v[40:41], v[8:9], v[32:33], v[10:11] op_sel:[0,0,1] op_sel_hi:[1,1,0] neg_lo:[0,0,1] neg_hi:[0,0,1]
	v_pk_fma_f32 v[8:9], v[8:9], v[32:33], v[10:11] op_sel:[0,0,1] op_sel_hi:[1,0,0]
	v_pk_add_f32 v[6:7], v[42:43], 0 op_sel_hi:[1,0]
	v_mov_b32_e32 v41, v9
	v_pk_mul_f32 v[8:9], v[36:37], v[34:35] op_sel:[0,1]
	v_pk_add_f32 v[6:7], v[6:7], v[40:41]
	v_pk_fma_f32 v[10:11], v[36:37], v[34:35], v[8:9] op_sel:[0,0,1] op_sel_hi:[1,1,0] neg_lo:[0,0,1] neg_hi:[0,0,1]
	v_pk_fma_f32 v[8:9], v[36:37], v[34:35], v[8:9] op_sel:[0,0,1] op_sel_hi:[1,0,0]
	s_barrier
	v_mov_b32_e32 v11, v9
	v_pk_mul_f32 v[8:9], v[38:39], v[16:17] op_sel:[0,1]
	v_pk_add_f32 v[6:7], v[6:7], v[10:11]
	v_pk_fma_f32 v[10:11], v[38:39], v[16:17], v[8:9] op_sel:[0,0,1] op_sel_hi:[1,1,0] neg_lo:[0,0,1] neg_hi:[0,0,1]
	v_pk_fma_f32 v[8:9], v[38:39], v[16:17], v[8:9] op_sel:[0,0,1] op_sel_hi:[1,0,0]
	s_nop 0
	v_mov_b32_e32 v11, v9
	v_pk_add_f32 v[6:7], v[6:7], v[10:11]
	ds_write_b64 v23, v[6:7]
	s_waitcnt lgkmcnt(0)
	s_barrier
	s_and_saveexec_b64 s[8:9], s[6:7]
	s_cbranch_execz .LBB36_89
; %bb.88:
	ds_read2_b64 v[6:9], v24 offset1:7
	ds_read2_b64 v[30:33], v24 offset0:1 offset1:2
	ds_read2_b64 v[34:37], v24 offset0:3 offset1:4
	s_waitcnt lgkmcnt(1)
	v_add_f32_e32 v3, v30, v6
	v_add_f32_e32 v6, v31, v7
	v_add_f32_e32 v3, v3, v32
	v_add_f32_e32 v6, v6, v33
	ds_read2_b64 v[30:33], v24 offset0:5 offset1:6
	s_waitcnt lgkmcnt(1)
	v_add_f32_e32 v3, v3, v34
	v_add_f32_e32 v6, v6, v35
	;; [unrolled: 1-line block ×4, first 2 shown]
	s_waitcnt lgkmcnt(0)
	v_add_f32_e32 v6, v3, v30
	v_add_f32_e32 v7, v7, v31
	v_pk_add_f32 v[6:7], v[6:7], v[32:33]
	s_nop 0
	v_pk_add_f32 v[30:31], v[6:7], v[8:9]
.LBB36_89:
	s_or_b64 exec, exec, s[8:9]
	s_movk_i32 s8, 0xff00
	s_mov_b32 s9, -1
	v_lshl_add_u64 v[4:5], v[4:5], 0, s[8:9]
	s_and_b64 vcc, exec, s[30:31]
	s_barrier
	s_cbranch_vccz .LBB36_120
; %bb.90:
	v_sub_co_u32_e32 v6, vcc, v4, v2
	s_ashr_i32 s21, s20, 31
	s_nop 0
	v_subbrev_co_u32_e32 v7, vcc, 0, v5, vcc
	v_lshl_add_u64 v[6:7], s[20:21], 3, v[6:7]
	v_lshl_add_u64 v[6:7], v[6:7], 0, -8
	v_cmp_gt_i32_e32 vcc, s20, v0
	s_sub_i32 s12, s20, 32
	v_mov_b32_e32 v8, 0
	v_cndmask_b32_e32 v7, v7, v5, vcc
	v_cndmask_b32_e32 v6, v6, v4, vcc
	v_cmp_gt_i32_e64 s[8:9], s12, v18
	v_mov_b32_e32 v9, v8
	s_and_saveexec_b64 s[10:11], s[8:9]
	s_cbranch_execz .LBB36_92
; %bb.91:
	flat_load_dwordx2 v[8:9], v[6:7]
.LBB36_92:
	s_or_b64 exec, exec, s[10:11]
	v_add_lshl_u32 v3, v1, v0, 3
	s_waitcnt vmcnt(0) lgkmcnt(0)
	ds_write_b64 v3, v[8:9]
	v_add_u32_e32 v8, 8, v18
	v_cmp_le_i32_e64 s[8:9], s12, v8
	s_and_saveexec_b64 s[10:11], s[8:9]
	s_xor_b64 s[8:9], exec, s[10:11]
	s_cbranch_execz .LBB36_94
; %bb.93:
	v_mul_u32_u24_e32 v9, 33, v8
	v_mov_b32_e32 v10, 0
	v_add_lshl_u32 v9, v9, v0, 3
	v_mov_b32_e32 v11, v10
	ds_write_b64 v9, v[10:11]
.LBB36_94:
	s_andn2_saveexec_b64 s[8:9], s[8:9]
	s_cbranch_execz .LBB36_96
; %bb.95:
	s_lshl_b64 s[10:11], s[24:25], 6
	v_lshl_add_u64 v[10:11], v[6:7], 0, s[10:11]
	flat_load_dwordx2 v[10:11], v[10:11]
	s_waitcnt vmcnt(0) lgkmcnt(0)
	ds_write_b64 v3, v[10:11] offset:2112
.LBB36_96:
	s_or_b64 exec, exec, s[8:9]
	v_add_u32_e32 v9, 16, v18
	v_cmp_le_i32_e64 s[8:9], s12, v9
	s_and_saveexec_b64 s[10:11], s[8:9]
	s_xor_b64 s[8:9], exec, s[10:11]
	s_cbranch_execz .LBB36_98
; %bb.97:
	v_mov_b32_e32 v10, 0
	v_mov_b32_e32 v11, v10
	ds_write_b64 v3, v[10:11] offset:4224
.LBB36_98:
	s_andn2_saveexec_b64 s[8:9], s[8:9]
	s_cbranch_execz .LBB36_100
; %bb.99:
	s_lshl_b64 s[10:11], s[24:25], 7
	v_lshl_add_u64 v[10:11], v[6:7], 0, s[10:11]
	flat_load_dwordx2 v[10:11], v[10:11]
	s_waitcnt vmcnt(0) lgkmcnt(0)
	ds_write_b64 v3, v[10:11] offset:4224
.LBB36_100:
	s_or_b64 exec, exec, s[8:9]
	v_add_u32_e32 v10, 24, v18
	v_cmp_le_i32_e64 s[8:9], s12, v10
	s_and_saveexec_b64 s[10:11], s[8:9]
	s_xor_b64 s[8:9], exec, s[10:11]
	s_cbranch_execz .LBB36_102
; %bb.101:
	v_mov_b32_e32 v16, 0
	v_mov_b32_e32 v17, v16
	ds_write_b64 v3, v[16:17] offset:6336
                                        ; implicit-def: $vgpr3
.LBB36_102:
	s_andn2_saveexec_b64 s[8:9], s[8:9]
	s_cbranch_execz .LBB36_104
; %bb.103:
	v_mov_b32_e32 v11, 0xc0
	v_mad_u64_u32 v[16:17], s[10:11], s24, v11, v[6:7]
	v_add_u32_e32 v17, s37, v17
	flat_load_dwordx2 v[16:17], v[16:17]
	s_waitcnt vmcnt(0) lgkmcnt(0)
	ds_write_b64 v3, v[16:17] offset:6336
.LBB36_104:
	s_or_b64 exec, exec, s[8:9]
	v_mov_b32_e32 v3, 0
	v_lshl_add_u64 v[2:3], v[6:7], 0, v[2:3]
	s_lshl_b64 s[8:9], s[20:21], 3
	v_mov_b32_e32 v6, s9
	v_subrev_co_u32_e64 v2, s[8:9], s8, v2
	s_nop 1
	v_subb_co_u32_e64 v3, s[8:9], v3, v6, s[8:9]
	v_lshl_add_u64 v[2:3], v[2:3], 0, 8
	v_cndmask_b32_e32 v17, v3, v5, vcc
	v_cndmask_b32_e32 v16, v2, v4, vcc
	s_branch .LBB36_122
.LBB36_105:
	v_cmp_eq_u32_e32 vcc, v21, v0
	s_and_saveexec_b64 s[16:17], vcc
	s_cbranch_execz .LBB36_107
; %bb.106:
	v_mul_u32_u24_e32 v3, 34, v0
	v_lshlrev_b32_e32 v3, 3, v3
	v_mov_b32_e32 v6, 0
	ds_write_b32 v3, v6 offset:4
.LBB36_107:
	s_or_b64 exec, exec, s[16:17]
	s_andn2_saveexec_b64 s[6:7], s[6:7]
	s_cbranch_execz .LBB36_80
.LBB36_108:
	ds_read_b64 v[6:7], v20
	s_waitcnt lgkmcnt(0)
	v_xor_b32_e32 v7, 0x80000000, v7
	ds_write_b64 v16, v[6:7]
	s_or_b64 exec, exec, s[6:7]
	s_and_saveexec_b64 s[6:7], s[8:9]
	s_xor_b64 s[6:7], exec, s[6:7]
	s_cbranch_execz .LBB36_81
.LBB36_109:
	ds_read_b64 v[6:7], v25
                                        ; implicit-def: $vgpr17
	s_waitcnt lgkmcnt(0)
	v_xor_b32_e32 v7, 0x80000000, v7
	ds_write_b64 v16, v[6:7] offset:8
	s_andn2_saveexec_b64 s[6:7], s[6:7]
	s_cbranch_execz .LBB36_82
.LBB36_110:
	v_cmp_eq_u32_e32 vcc, v17, v0
	s_and_saveexec_b64 s[8:9], vcc
	s_cbranch_execz .LBB36_112
; %bb.111:
	v_mul_u32_u24_e32 v3, 34, v0
	v_lshlrev_b32_e32 v3, 3, v3
	v_mov_b32_e32 v6, 0
	ds_write_b32 v3, v6 offset:4
.LBB36_112:
	s_or_b64 exec, exec, s[8:9]
	s_or_b64 exec, exec, s[6:7]
	s_and_saveexec_b64 s[6:7], s[10:11]
	s_xor_b64 s[6:7], exec, s[6:7]
	s_cbranch_execz .LBB36_83
.LBB36_113:
	v_cmp_eq_u32_e32 vcc, v26, v0
	s_and_saveexec_b64 s[8:9], vcc
	s_cbranch_execz .LBB36_115
; %bb.114:
	v_mul_u32_u24_e32 v3, 34, v0
	v_lshlrev_b32_e32 v3, 3, v3
	v_mov_b32_e32 v6, 0
	ds_write_b32 v3, v6 offset:4
.LBB36_115:
	s_or_b64 exec, exec, s[8:9]
	s_andn2_saveexec_b64 s[6:7], s[6:7]
	s_cbranch_execz .LBB36_84
.LBB36_116:
	ds_read_b64 v[6:7], v25 offset:264
	s_waitcnt lgkmcnt(0)
	v_xor_b32_e32 v7, 0x80000000, v7
	ds_write_b64 v16, v[6:7] offset:16
	s_or_b64 exec, exec, s[6:7]
	s_and_saveexec_b64 s[6:7], s[12:13]
	s_xor_b64 s[6:7], exec, s[6:7]
	s_cbranch_execz .LBB36_85
.LBB36_117:
	v_cmp_eq_u32_e32 vcc, v27, v0
	s_and_saveexec_b64 s[8:9], vcc
	s_cbranch_execz .LBB36_119
; %bb.118:
	v_mul_u32_u24_e32 v3, 34, v0
	v_lshlrev_b32_e32 v3, 3, v3
	v_mov_b32_e32 v6, 0
	ds_write_b32 v3, v6 offset:4
.LBB36_119:
	s_or_b64 exec, exec, s[8:9]
                                        ; implicit-def: $vgpr16
	s_or_saveexec_b64 s[6:7], s[6:7]
	v_add_u32_e32 v26, 0x2380, v32
	s_xor_b64 exec, exec, s[6:7]
	s_cbranch_execnz .LBB36_86
	s_branch .LBB36_87
.LBB36_120:
                                        ; implicit-def: $vgpr16_vgpr17
                                        ; implicit-def: $vgpr8
                                        ; implicit-def: $vgpr9
                                        ; implicit-def: $vgpr10
	s_cbranch_execz .LBB36_122
; %bb.121:
	flat_load_dwordx2 v[2:3], v[4:5]
	v_add_lshl_u32 v6, v1, v0, 3
	s_lshl_b64 s[8:9], s[24:25], 6
	v_lshl_add_u64 v[0:1], v[4:5], 0, s[8:9]
	v_add_u32_e32 v8, 8, v18
	v_add_u32_e32 v9, 16, v18
	;; [unrolled: 1-line block ×3, first 2 shown]
	v_mov_b64_e32 v[16:17], v[4:5]
	s_waitcnt vmcnt(0) lgkmcnt(0)
	ds_write_b64 v6, v[2:3]
	flat_load_dwordx2 v[2:3], v[0:1]
	v_lshl_add_u64 v[0:1], v[0:1], 0, s[8:9]
	s_waitcnt vmcnt(0) lgkmcnt(0)
	ds_write_b64 v6, v[2:3] offset:2112
	flat_load_dwordx2 v[0:1], v[0:1]
	v_mov_b32_e32 v2, 0xc0
	v_mad_u64_u32 v[2:3], s[8:9], s24, v2, v[4:5]
	v_add_u32_e32 v3, s37, v3
	s_waitcnt vmcnt(0) lgkmcnt(0)
	ds_write_b64 v6, v[0:1] offset:4224
	flat_load_dwordx2 v[0:1], v[2:3]
	s_waitcnt vmcnt(0) lgkmcnt(0)
	ds_write_b64 v6, v[0:1] offset:6336
.LBB36_122:
	s_waitcnt lgkmcnt(0)
	s_barrier
	ds_read_b64 v[32:33], v23
	v_add_lshl_u32 v0, v9, v19, 3
	ds_read_b64 v[34:35], v0
	v_lshlrev_b32_e32 v4, 3, v18
	v_add_lshl_u32 v5, v8, v19, 3
	v_lshlrev_b32_e32 v6, 3, v8
	v_lshlrev_b32_e32 v7, 3, v9
	v_add_lshl_u32 v18, v10, v19, 3
	v_lshlrev_b32_e32 v19, 3, v10
	ds_read2_b64 v[0:3], v25 offset1:33
	ds_read_b64 v[20:21], v20
	ds_read_b128 v[8:11], v26 offset:256
	ds_read_b64 v[36:37], v6 offset:9088
	ds_read_b64 v[38:39], v5
	ds_read_b64 v[40:41], v4 offset:9088
	ds_read_b64 v[42:43], v19 offset:9088
	ds_read_b64 v[44:45], v18
	ds_read_b64 v[46:47], v7 offset:9088
	ds_read_b64 v[18:19], v25 offset:528
	ds_read_b128 v[4:7], v26 offset:272
	s_waitcnt lgkmcnt(5)
	v_pk_mul_f32 v[26:27], v[32:33], v[40:41] op_sel:[1,0]
	v_pk_mul_f32 v[48:49], v[38:39], v[36:37] op_sel:[1,0]
	v_pk_fma_f32 v[54:55], v[32:33], v[40:41], v[26:27] op_sel:[0,0,1] op_sel_hi:[1,1,0]
	v_pk_fma_f32 v[26:27], v[32:33], v[40:41], v[26:27] op_sel:[0,0,1] op_sel_hi:[0,1,0] neg_lo:[0,0,1] neg_hi:[0,0,1]
	v_mov_b32_e32 v55, v27
	v_pk_fma_f32 v[32:33], v[38:39], v[36:37], v[48:49] op_sel:[0,0,1] op_sel_hi:[1,1,0]
	v_pk_fma_f32 v[36:37], v[38:39], v[36:37], v[48:49] op_sel:[0,0,1] op_sel_hi:[0,1,0] neg_lo:[0,0,1] neg_hi:[0,0,1]
	s_waitcnt lgkmcnt(2)
	v_pk_mul_f32 v[50:51], v[34:35], v[46:47] op_sel:[1,0]
	v_pk_add_f32 v[26:27], v[54:55], 0 op_sel_hi:[1,0]
	v_mov_b32_e32 v33, v37
	v_pk_add_f32 v[26:27], v[26:27], v[32:33]
	v_pk_fma_f32 v[32:33], v[34:35], v[46:47], v[50:51] op_sel:[0,0,1] op_sel_hi:[1,1,0]
	v_pk_fma_f32 v[34:35], v[34:35], v[46:47], v[50:51] op_sel:[0,0,1] op_sel_hi:[0,1,0] neg_lo:[0,0,1] neg_hi:[0,0,1]
	v_pk_mul_f32 v[52:53], v[44:45], v[42:43] op_sel:[1,0]
	v_mov_b32_e32 v33, v35
	v_pk_add_f32 v[26:27], v[26:27], v[32:33]
	v_pk_fma_f32 v[32:33], v[44:45], v[42:43], v[52:53] op_sel:[0,0,1] op_sel_hi:[1,1,0]
	v_pk_fma_f32 v[34:35], v[44:45], v[42:43], v[52:53] op_sel:[0,0,1] op_sel_hi:[0,1,0] neg_lo:[0,0,1] neg_hi:[0,0,1]
	v_mov_b32_e32 v33, v35
	v_pk_add_f32 v[26:27], v[26:27], v[32:33]
	s_waitcnt lgkmcnt(0)
	s_barrier
	ds_write_b64 v23, v[26:27]
	s_waitcnt lgkmcnt(0)
	s_barrier
	s_and_saveexec_b64 s[8:9], s[6:7]
	s_cbranch_execz .LBB36_124
; %bb.123:
	ds_read2_b64 v[32:35], v24 offset1:1
	ds_read2_b64 v[36:39], v24 offset0:2 offset1:3
	ds_read2_b64 v[40:43], v24 offset0:6 offset1:7
	s_waitcnt lgkmcnt(2)
	v_pk_add_f32 v[26:27], v[30:31], v[32:33]
	ds_read2_b64 v[30:33], v24 offset0:4 offset1:5
	v_pk_add_f32 v[26:27], v[26:27], v[34:35]
	s_waitcnt lgkmcnt(2)
	v_pk_add_f32 v[26:27], v[26:27], v[36:37]
	s_nop 0
	v_pk_add_f32 v[26:27], v[26:27], v[38:39]
	s_waitcnt lgkmcnt(0)
	v_pk_add_f32 v[26:27], v[26:27], v[30:31]
	s_nop 0
	v_pk_add_f32 v[26:27], v[26:27], v[32:33]
	s_nop 0
	;; [unrolled: 2-line block ×3, first 2 shown]
	v_pk_add_f32 v[30:31], v[26:27], v[42:43]
.LBB36_124:
	s_or_b64 exec, exec, s[8:9]
	v_pk_mul_f32 v[26:27], v[8:9], v[20:21] op_sel:[0,1]
	s_nop 0
	v_pk_fma_f32 v[32:33], v[8:9], v[20:21], v[26:27] op_sel:[0,0,1] op_sel_hi:[1,1,0] neg_lo:[0,0,1] neg_hi:[0,0,1]
	v_pk_fma_f32 v[8:9], v[8:9], v[20:21], v[26:27] op_sel:[0,0,1] op_sel_hi:[1,0,0]
	v_pk_mul_f32 v[20:21], v[10:11], v[0:1] op_sel:[0,1]
	v_mov_b32_e32 v33, v9
	v_pk_fma_f32 v[26:27], v[10:11], v[0:1], v[20:21] op_sel:[0,0,1] op_sel_hi:[1,1,0] neg_lo:[0,0,1] neg_hi:[0,0,1]
	v_pk_fma_f32 v[0:1], v[10:11], v[0:1], v[20:21] op_sel:[0,0,1] op_sel_hi:[1,0,0]
	v_pk_add_f32 v[8:9], v[32:33], 0 op_sel_hi:[1,0]
	v_mov_b32_e32 v27, v1
	v_pk_add_f32 v[0:1], v[8:9], v[26:27]
	v_pk_mul_f32 v[8:9], v[4:5], v[2:3] op_sel:[0,1]
	s_barrier
	v_pk_fma_f32 v[10:11], v[4:5], v[2:3], v[8:9] op_sel:[0,0,1] op_sel_hi:[1,1,0] neg_lo:[0,0,1] neg_hi:[0,0,1]
	v_pk_fma_f32 v[2:3], v[4:5], v[2:3], v[8:9] op_sel:[0,0,1] op_sel_hi:[1,0,0]
	s_nop 0
	v_mov_b32_e32 v11, v3
	v_pk_mul_f32 v[2:3], v[6:7], v[18:19] op_sel:[0,1]
	v_pk_add_f32 v[0:1], v[0:1], v[10:11]
	v_pk_fma_f32 v[4:5], v[6:7], v[18:19], v[2:3] op_sel:[0,0,1] op_sel_hi:[1,1,0] neg_lo:[0,0,1] neg_hi:[0,0,1]
	v_pk_fma_f32 v[2:3], v[6:7], v[18:19], v[2:3] op_sel:[0,0,1] op_sel_hi:[1,0,0]
	s_nop 0
	v_mov_b32_e32 v5, v3
	v_pk_add_f32 v[0:1], v[0:1], v[4:5]
	ds_write_b64 v23, v[0:1]
	s_waitcnt lgkmcnt(0)
	s_barrier
	s_and_saveexec_b64 s[6:7], s[4:5]
	s_cbranch_execz .LBB36_126
; %bb.125:
	ds_read2_b64 v[0:3], v24 offset1:1
	ds_read2_b64 v[4:7], v24 offset0:2 offset1:3
	ds_read2_b64 v[8:11], v24 offset0:4 offset1:5
	s_waitcnt lgkmcnt(2)
	v_pk_add_f32 v[0:1], v[30:31], v[0:1]
	s_nop 0
	v_pk_add_f32 v[18:19], v[0:1], v[2:3]
	ds_read2_b64 v[0:3], v24 offset0:6 offset1:7
	s_waitcnt lgkmcnt(2)
	v_pk_add_f32 v[4:5], v[18:19], v[4:5]
	s_nop 0
	v_pk_add_f32 v[4:5], v[4:5], v[6:7]
	s_waitcnt lgkmcnt(1)
	v_pk_add_f32 v[4:5], v[4:5], v[8:9]
	s_nop 0
	v_pk_add_f32 v[4:5], v[4:5], v[10:11]
	s_waitcnt lgkmcnt(0)
	v_pk_add_f32 v[0:1], v[4:5], v[0:1]
	s_nop 0
	v_pk_add_f32 v[30:31], v[0:1], v[2:3]
.LBB36_126:
	s_or_b64 exec, exec, s[6:7]
	s_load_dwordx2 s[0:1], s[0:1], 0x68
	s_mul_hi_u32 s4, s33, s26
	s_mul_i32 s36, s36, s26
	s_add_i32 s4, s4, s36
	s_mul_i32 s6, s33, s26
	s_mul_i32 s4, s4, s3
	s_mul_hi_u32 s5, s6, s3
	s_add_i32 s5, s5, s4
	s_mul_i32 s4, s6, s3
	s_lshl_b64 s[4:5], s[4:5], 3
	s_waitcnt lgkmcnt(0)
	s_add_u32 s4, s0, s4
	s_addc_u32 s5, s1, s5
	s_mul_hi_i32 s1, s33, s2
	s_mul_i32 s0, s33, s2
	s_lshl_b64 s[0:1], s[0:1], 3
	s_add_u32 s6, s4, s0
	s_addc_u32 s7, s5, s1
	s_add_i32 s0, s2, 1
	s_cmp_ge_u32 s0, s3
	v_lshlrev_b32_e32 v32, 3, v111
	s_barrier
	s_cbranch_scc1 .LBB36_184
; %bb.127:
	s_mul_i32 s0, s28, s19
	s_mul_hi_u32 s1, s28, s18
	s_add_i32 s0, s1, s0
	s_mul_i32 s1, s29, s18
	s_add_i32 s1, s0, s1
	s_mul_i32 s0, s28, s18
	s_lshl_b64 s[0:1], s[0:1], 3
	v_mov_b32_e32 v0, s1
	v_subrev_co_u32_e32 v34, vcc, s0, v12
	v_and_b32_e32 v2, 48, v111
	s_nop 0
	v_subb_co_u32_e32 v35, vcc, v13, v0, vcc
	v_and_b32_e32 v0, 15, v111
	v_lshlrev_b32_e32 v3, 3, v2
	s_movk_i32 s4, 0x218
	v_lshrrev_b32_e32 v1, 4, v22
	v_mad_u32_u24 v129, v0, s4, v3
	v_or_b32_e32 v3, 0x78, v32
	v_mad_u32_u24 v130, v0, s4, v3
	v_lshlrev_b32_e32 v3, 5, v1
	v_lshlrev_b32_e32 v6, 5, v125
	v_mad_u32_u24 v131, v0, s4, v3
	s_movk_i32 s4, 0x860
	v_add_u32_e32 v3, 0x100, v6
	v_mad_u32_u24 v136, v125, s4, v32
	v_mul_i32_i24_e32 v7, 0xffffffe8, v1
	v_or_b32_e32 v149, v2, v0
	v_mad_u64_u32 v[0:1], s[4:5], s24, v3, 0
	v_mov_b32_e32 v2, v1
	v_mad_u64_u32 v[2:3], s[4:5], s25, v3, v[2:3]
	v_mov_b32_e32 v1, v2
	v_lshlrev_b64 v[2:3], 3, v[14:15]
	v_sub_co_u32_e32 v0, vcc, v0, v2
	v_add_u32_e32 v5, 0x110, v6
	s_nop 0
	v_subb_co_u32_e32 v1, vcc, v1, v3, vcc
	v_lshl_add_u64 v[38:39], v[16:17], 0, v[0:1]
	v_mad_u64_u32 v[0:1], s[4:5], s24, v5, 0
	v_mov_b32_e32 v4, v1
	v_mad_u64_u32 v[4:5], s[4:5], s25, v5, v[4:5]
	v_mov_b32_e32 v1, v4
	v_sub_co_u32_e32 v0, vcc, v0, v2
	v_add_u32_e32 v5, 0x108, v6
	s_nop 0
	v_subb_co_u32_e32 v1, vcc, v1, v3, vcc
	v_lshl_add_u64 v[40:41], v[16:17], 0, v[0:1]
	v_mad_u64_u32 v[0:1], s[4:5], s24, v5, 0
	v_mov_b32_e32 v4, v1
	v_mad_u64_u32 v[4:5], s[4:5], s25, v5, v[4:5]
	v_mov_b32_e32 v1, v4
	;; [unrolled: 9-line block ×15, first 2 shown]
	v_sub_co_u32_e32 v0, vcc, v0, v2
	v_lshlrev_b32_e32 v126, 2, v125
	v_mov_b32_e32 v36, 0
	v_subb_co_u32_e32 v1, vcc, v1, v3, vcc
	s_add_i32 s21, s3, -2
	v_add_u32_e32 v127, 0x2180, v32
	v_add_u32_e32 v128, 0x2380, v32
	v_cmp_gt_u32_e64 s[0:1], 64, v22
	v_or_b32_e32 v132, 1, v126
	v_or_b32_e32 v133, 2, v126
	;; [unrolled: 1-line block ×3, first 2 shown]
	v_add_u32_e32 v135, 0x2180, v6
	v_add_u32_e32 v137, 16, v126
	;; [unrolled: 1-line block ×13, first 2 shown]
	s_add_i32 s26, s28, 64
	v_mov_b32_e32 v33, v36
	s_lshl_b64 s[8:9], s[24:25], 9
	v_lshl_add_u64 v[68:69], v[16:17], 0, v[0:1]
	s_mov_b32 s10, 0
	v_add_u32_e32 v150, v131, v7
	s_branch .LBB36_129
.LBB36_128:                             ;   in Loop: Header=BB36_129 Depth=1
	s_or_b64 exec, exec, s[4:5]
	v_mul_f32_e32 v0, v71, v79
	v_fma_f32 v0, v70, v78, -v0
	v_mul_f32_e32 v2, v73, v81
	v_add_f32_e32 v0, v30, v0
	v_fma_f32 v2, v72, v80, -v2
	v_add_f32_e32 v0, v0, v2
	v_mul_f32_e32 v2, v75, v83
	v_fma_f32 v2, v74, v82, -v2
	v_mul_f32_e32 v1, v70, v79
	v_add_f32_e32 v0, v0, v2
	v_mul_f32_e32 v2, v77, v85
	v_mul_f32_e32 v3, v72, v81
	v_fma_f32 v2, v76, v84, -v2
	v_fmac_f32_e32 v1, v71, v78
	v_mul_f32_e32 v4, v74, v83
	v_add_f32_e32 v0, v0, v2
	v_add_f32_e32 v1, v31, v1
	v_fmac_f32_e32 v3, v73, v80
	v_mul_f32_e32 v2, v87, v95
	v_mul_f32_e32 v5, v76, v85
	v_add_f32_e32 v1, v1, v3
	v_fmac_f32_e32 v4, v75, v82
	v_fma_f32 v2, v86, v94, -v2
	v_add_f32_e32 v1, v1, v4
	v_fmac_f32_e32 v5, v77, v84
	v_mul_f32_e32 v6, v86, v95
	v_add_f32_e32 v0, v0, v2
	v_mul_f32_e32 v2, v89, v97
	v_add_f32_e32 v1, v1, v5
	v_fma_f32 v2, v88, v96, -v2
	v_mul_f32_e32 v7, v88, v97
	v_fmac_f32_e32 v6, v87, v94
	v_add_f32_e32 v0, v0, v2
	v_mul_f32_e32 v2, v91, v99
	v_mul_f32_e32 v3, v90, v99
	v_add_f32_e32 v1, v1, v6
	v_fmac_f32_e32 v7, v89, v96
	v_fma_f32 v2, v90, v98, -v2
	v_mul_f32_e32 v4, v93, v101
	v_mul_f32_e32 v5, v92, v101
	v_add_f32_e32 v1, v1, v7
	v_fmac_f32_e32 v3, v91, v98
	v_fma_f32 v4, v92, v100, -v4
	v_pk_add_f32 v[0:1], v[0:1], v[2:3]
	v_fmac_f32_e32 v5, v93, v100
	v_pk_mul_f32 v[2:3], v[102:103], v[112:113] op_sel:[1,0]
	v_pk_add_f32 v[0:1], v[0:1], v[4:5]
	v_pk_fma_f32 v[4:5], v[102:103], v[112:113], v[2:3] op_sel:[0,0,1] op_sel_hi:[1,1,0] neg_lo:[0,0,1] neg_hi:[0,0,1]
	v_pk_fma_f32 v[2:3], v[102:103], v[112:113], v[2:3] op_sel:[0,0,1] op_sel_hi:[0,1,0]
	v_mov_b32_e32 v5, v3
	v_pk_mul_f32 v[2:3], v[104:105], v[8:9] op_sel:[1,0]
	v_pk_add_f32 v[0:1], v[0:1], v[4:5]
	v_pk_fma_f32 v[4:5], v[104:105], v[8:9], v[2:3] op_sel:[0,0,1] op_sel_hi:[1,1,0] neg_lo:[0,0,1] neg_hi:[0,0,1]
	v_pk_fma_f32 v[2:3], v[104:105], v[8:9], v[2:3] op_sel:[0,0,1] op_sel_hi:[0,1,0]
	v_mov_b32_e32 v5, v3
	;; [unrolled: 5-line block ×3, first 2 shown]
	v_pk_mul_f32 v[2:3], v[110:111], v[114:115] op_sel_hi:[0,1]
	v_pk_add_f32 v[0:1], v[0:1], v[4:5]
	v_pk_fma_f32 v[4:5], v[108:109], v[114:115], v[2:3] op_sel:[0,0,1] op_sel_hi:[1,1,0] neg_lo:[0,0,1] neg_hi:[0,0,1]
	v_pk_fma_f32 v[2:3], v[108:109], v[114:115], v[2:3] op_sel:[0,0,1] op_sel_hi:[0,1,0]
	v_mov_b32_e32 v5, v3
	v_pk_mul_f32 v[2:3], v[116:117], v[16:17] op_sel:[1,0]
	v_pk_add_f32 v[0:1], v[0:1], v[4:5]
	v_pk_fma_f32 v[4:5], v[116:117], v[16:17], v[2:3] op_sel:[0,0,1] op_sel_hi:[1,1,0] neg_lo:[0,0,1] neg_hi:[0,0,1]
	v_pk_fma_f32 v[2:3], v[116:117], v[16:17], v[2:3] op_sel:[0,0,1] op_sel_hi:[0,1,0]
	v_mov_b32_e32 v5, v3
	v_pk_mul_f32 v[2:3], v[118:119], v[18:19] op_sel:[1,0]
	;; [unrolled: 5-line block ×3, first 2 shown]
	v_pk_add_f32 v[0:1], v[0:1], v[6:7]
	v_pk_fma_f32 v[8:9], v[120:121], v[12:13], v[2:3] op_sel:[0,0,1] op_sel_hi:[1,1,0] neg_lo:[0,0,1] neg_hi:[0,0,1]
	v_pk_fma_f32 v[2:3], v[120:121], v[12:13], v[2:3] op_sel:[0,0,1] op_sel_hi:[0,1,0]
	v_mov_b32_e32 v9, v3
	v_pk_mul_f32 v[2:3], v[124:125], v[14:15] op_sel_hi:[0,1]
	v_pk_fma_f32 v[10:11], v[122:123], v[14:15], v[2:3] op_sel:[0,0,1] op_sel_hi:[1,1,0] neg_lo:[0,0,1] neg_hi:[0,0,1]
	v_pk_fma_f32 v[2:3], v[122:123], v[14:15], v[2:3] op_sel:[0,0,1] op_sel_hi:[0,1,0]
	v_mov_b32_e32 v11, v3
	v_pk_add_f32 v[0:1], v[0:1], v[8:9]
	s_add_i32 s4, s2, 1
	s_add_i32 s26, s26, 64
	;; [unrolled: 1-line block ×3, first 2 shown]
	v_pk_add_f32 v[30:31], v[0:1], v[10:11]
	v_lshl_add_u64 v[38:39], v[38:39], 0, s[8:9]
	v_lshl_add_u64 v[40:41], v[40:41], 0, s[8:9]
	;; [unrolled: 1-line block ×16, first 2 shown]
	s_cmp_ge_u32 s2, s3
	s_mov_b32 s2, s4
	s_barrier
	s_cbranch_scc1 .LBB36_184
.LBB36_129:                             ; =>This Inner Loop Header: Depth=1
	s_cmp_eq_u32 s21, s2
	s_cselect_b32 s28, s27, 0
	s_and_saveexec_b64 s[4:5], s[14:15]
	s_cbranch_execz .LBB36_134
; %bb.130:                              ;   in Loop: Header=BB36_129 Depth=1
	s_cmp_lg_u32 s28, 0
	s_cselect_b64 s[12:13], -1, 0
	v_cmp_le_i32_e32 vcc, s28, v111
	s_and_b64 s[12:13], s[12:13], vcc
	s_and_saveexec_b64 s[16:17], s[12:13]
	s_xor_b64 s[12:13], exec, s[16:17]
	s_cbranch_execz .LBB36_132
; %bb.131:                              ;   in Loop: Header=BB36_129 Depth=1
	v_mov_b32_e32 v37, v36
	ds_write_b64 v127, v[36:37]
.LBB36_132:                             ;   in Loop: Header=BB36_129 Depth=1
	s_andn2_saveexec_b64 s[12:13], s[12:13]
	s_cbranch_execz .LBB36_134
; %bb.133:                              ;   in Loop: Header=BB36_129 Depth=1
	s_ashr_i32 s11, s26, 31
	s_mul_i32 s12, s26, s19
	s_mul_hi_u32 s13, s26, s18
	s_add_i32 s12, s13, s12
	s_mul_i32 s11, s11, s18
	s_add_i32 s13, s12, s11
	s_mul_i32 s12, s26, s18
	v_lshl_add_u64 v[0:1], s[12:13], 3, v[34:35]
	flat_load_dwordx2 v[0:1], v[0:1]
	s_waitcnt vmcnt(0) lgkmcnt(0)
	ds_write_b64 v127, v[0:1]
.LBB36_134:                             ;   in Loop: Header=BB36_129 Depth=1
	s_or_b64 exec, exec, s[4:5]
	s_cmp_eq_u32 s28, 0
	s_cselect_b64 s[12:13], -1, 0
	s_cmp_lg_u32 s28, 0
	s_cselect_b64 s[16:17], -1, 0
	v_lshl_add_u64 v[0:1], v[38:39], 0, v[32:33]
	s_and_b64 vcc, exec, s[16:17]
	s_waitcnt lgkmcnt(0)
	s_barrier
	s_cbranch_vccz .LBB36_142
; %bb.135:                              ;   in Loop: Header=BB36_129 Depth=1
	s_mov_b32 s11, s10
	v_cmp_gt_i32_e32 vcc, s28, v126
	v_mov_b64_e32 v[70:71], s[10:11]
	s_and_saveexec_b64 s[4:5], vcc
	s_cbranch_execz .LBB36_137
; %bb.136:                              ;   in Loop: Header=BB36_129 Depth=1
	flat_load_dwordx2 v[70:71], v[0:1]
.LBB36_137:                             ;   in Loop: Header=BB36_129 Depth=1
	s_or_b64 exec, exec, s[4:5]
	v_cmp_gt_i32_e32 vcc, s28, v132
	v_mov_b64_e32 v[72:73], s[10:11]
	s_and_saveexec_b64 s[4:5], vcc
	s_cbranch_execz .LBB36_139
; %bb.138:                              ;   in Loop: Header=BB36_129 Depth=1
	v_lshl_add_u64 v[2:3], v[42:43], 0, v[32:33]
	flat_load_dwordx2 v[72:73], v[2:3]
.LBB36_139:                             ;   in Loop: Header=BB36_129 Depth=1
	s_or_b64 exec, exec, s[4:5]
	s_mov_b32 s11, s10
	v_cmp_gt_i32_e32 vcc, s28, v133
	v_mov_b64_e32 v[74:75], s[10:11]
	s_and_saveexec_b64 s[4:5], vcc
	s_cbranch_execz .LBB36_141
; %bb.140:                              ;   in Loop: Header=BB36_129 Depth=1
	v_lshl_add_u64 v[2:3], v[40:41], 0, v[32:33]
	flat_load_dwordx2 v[74:75], v[2:3]
.LBB36_141:                             ;   in Loop: Header=BB36_129 Depth=1
	s_or_b64 exec, exec, s[4:5]
	v_cmp_gt_i32_e64 s[4:5], s28, v134
	s_mov_b32 s11, 0
	s_branch .LBB36_144
.LBB36_142:                             ;   in Loop: Header=BB36_129 Depth=1
	s_mov_b64 s[4:5], 0
                                        ; implicit-def: $sgpr11
                                        ; implicit-def: $vgpr74_vgpr75
                                        ; implicit-def: $vgpr72_vgpr73
                                        ; implicit-def: $vgpr70_vgpr71
	s_cbranch_execz .LBB36_144
; %bb.143:                              ;   in Loop: Header=BB36_129 Depth=1
	s_waitcnt vmcnt(0) lgkmcnt(0)
	flat_load_dwordx2 v[70:71], v[0:1]
	v_lshl_add_u64 v[0:1], v[42:43], 0, v[32:33]
	flat_load_dwordx2 v[72:73], v[0:1]
	v_lshl_add_u64 v[0:1], v[40:41], 0, v[32:33]
	flat_load_dwordx2 v[74:75], v[0:1]
	s_or_b64 s[4:5], s[4:5], exec
                                        ; implicit-def: $sgpr11
.LBB36_144:                             ;   in Loop: Header=BB36_129 Depth=1
	v_mov_b32_e32 v76, s11
	v_mov_b32_e32 v77, s11
	s_and_saveexec_b64 s[24:25], s[4:5]
	s_cbranch_execz .LBB36_146
; %bb.145:                              ;   in Loop: Header=BB36_129 Depth=1
	v_lshl_add_u64 v[0:1], v[44:45], 0, v[32:33]
	flat_load_dwordx2 v[76:77], v[0:1]
.LBB36_146:                             ;   in Loop: Header=BB36_129 Depth=1
	s_or_b64 exec, exec, s[24:25]
	ds_read_b64 v[0:1], v128
	ds_read_b64 v[78:79], v135
	v_cndmask_b32_e64 v8, 0, 1, s[16:17]
	v_cmp_ne_u32_e64 s[4:5], 1, v8
	s_andn2_b64 vcc, exec, s[16:17]
	s_waitcnt vmcnt(0) lgkmcnt(0)
	v_mul_f32_e32 v2, v71, v1
	v_mul_f32_e32 v3, v71, v0
	v_fmac_f32_e32 v2, v70, v0
	v_fma_f32 v3, v70, v1, -v3
	v_mul_f32_e32 v4, v73, v1
	ds_write_b64 v136, v[2:3]
	v_mul_f32_e32 v2, v73, v0
	v_fmac_f32_e32 v4, v72, v0
	v_fma_f32 v5, v72, v1, -v2
	v_mul_f32_e32 v2, v75, v1
	v_mul_f32_e32 v3, v75, v0
	ds_read_b64 v[80:81], v135 offset:8
	ds_write_b64 v136, v[4:5] offset:536
	v_fmac_f32_e32 v2, v74, v0
	v_fma_f32 v3, v74, v1, -v3
	ds_read_b64 v[82:83], v135 offset:16
	ds_write_b64 v136, v[2:3] offset:1072
	v_mul_f32_e32 v2, v77, v1
	v_fmac_f32_e32 v2, v76, v0
	v_mul_f32_e32 v0, v77, v0
	v_fma_f32 v3, v76, v1, -v0
	ds_read_b64 v[84:85], v135 offset:24
	ds_write_b64 v136, v[2:3] offset:1608
	s_waitcnt lgkmcnt(0)
	s_barrier
	ds_read2_b64 v[4:7], v131 offset1:1
	ds_read2_b64 v[0:3], v131 offset0:2 offset1:3
	v_lshl_add_u64 v[8:9], v[46:47], 0, v[32:33]
	s_waitcnt lgkmcnt(0)
	s_barrier
	s_cbranch_vccnz .LBB36_154
; %bb.147:                              ;   in Loop: Header=BB36_129 Depth=1
	s_mov_b32 s11, s10
	v_cmp_gt_i32_e32 vcc, s28, v137
	v_mov_b64_e32 v[86:87], s[10:11]
	s_and_saveexec_b64 s[16:17], vcc
	s_cbranch_execz .LBB36_149
; %bb.148:                              ;   in Loop: Header=BB36_129 Depth=1
	flat_load_dwordx2 v[86:87], v[8:9]
.LBB36_149:                             ;   in Loop: Header=BB36_129 Depth=1
	s_or_b64 exec, exec, s[16:17]
	v_cmp_gt_i32_e32 vcc, s28, v138
	v_mov_b64_e32 v[88:89], s[10:11]
	s_and_saveexec_b64 s[16:17], vcc
	s_cbranch_execz .LBB36_151
; %bb.150:                              ;   in Loop: Header=BB36_129 Depth=1
	v_lshl_add_u64 v[10:11], v[50:51], 0, v[32:33]
	flat_load_dwordx2 v[88:89], v[10:11]
.LBB36_151:                             ;   in Loop: Header=BB36_129 Depth=1
	s_or_b64 exec, exec, s[16:17]
	s_mov_b32 s11, s10
	v_cmp_gt_i32_e32 vcc, s28, v139
	v_mov_b64_e32 v[90:91], s[10:11]
	s_and_saveexec_b64 s[16:17], vcc
	s_cbranch_execz .LBB36_153
; %bb.152:                              ;   in Loop: Header=BB36_129 Depth=1
	v_lshl_add_u64 v[10:11], v[48:49], 0, v[32:33]
	flat_load_dwordx2 v[90:91], v[10:11]
.LBB36_153:                             ;   in Loop: Header=BB36_129 Depth=1
	s_or_b64 exec, exec, s[16:17]
	v_cmp_gt_i32_e64 s[16:17], s28, v140
	s_mov_b32 s11, 0
	s_branch .LBB36_156
.LBB36_154:                             ;   in Loop: Header=BB36_129 Depth=1
	s_mov_b64 s[16:17], 0
                                        ; implicit-def: $sgpr11
                                        ; implicit-def: $vgpr90_vgpr91
                                        ; implicit-def: $vgpr88_vgpr89
                                        ; implicit-def: $vgpr86_vgpr87
	s_cbranch_execz .LBB36_156
; %bb.155:                              ;   in Loop: Header=BB36_129 Depth=1
	s_waitcnt vmcnt(0) lgkmcnt(0)
	flat_load_dwordx2 v[86:87], v[8:9]
	v_lshl_add_u64 v[8:9], v[50:51], 0, v[32:33]
	flat_load_dwordx2 v[88:89], v[8:9]
	v_lshl_add_u64 v[8:9], v[48:49], 0, v[32:33]
	flat_load_dwordx2 v[90:91], v[8:9]
	s_or_b64 s[16:17], s[16:17], exec
                                        ; implicit-def: $sgpr11
.LBB36_156:                             ;   in Loop: Header=BB36_129 Depth=1
	v_mov_b32_e32 v92, s11
	v_mov_b32_e32 v93, s11
	s_and_saveexec_b64 s[24:25], s[16:17]
	s_cbranch_execz .LBB36_158
; %bb.157:                              ;   in Loop: Header=BB36_129 Depth=1
	v_lshl_add_u64 v[8:9], v[52:53], 0, v[32:33]
	flat_load_dwordx2 v[92:93], v[8:9]
.LBB36_158:                             ;   in Loop: Header=BB36_129 Depth=1
	s_or_b64 exec, exec, s[24:25]
	ds_read_b64 v[8:9], v128
	ds_read_b64 v[94:95], v135 offset:128
	s_and_b64 vcc, exec, s[4:5]
	s_waitcnt vmcnt(0) lgkmcnt(0)
	v_mul_f32_e32 v10, v87, v9
	v_mul_f32_e32 v11, v87, v8
	v_fmac_f32_e32 v10, v86, v8
	v_fma_f32 v11, v86, v9, -v11
	v_mul_f32_e32 v12, v89, v9
	ds_write_b64 v136, v[10:11]
	v_mul_f32_e32 v10, v89, v8
	v_fmac_f32_e32 v12, v88, v8
	v_fma_f32 v13, v88, v9, -v10
	v_mul_f32_e32 v10, v91, v9
	v_mul_f32_e32 v11, v91, v8
	ds_read_b64 v[96:97], v135 offset:136
	ds_write_b64 v136, v[12:13] offset:536
	v_fmac_f32_e32 v10, v90, v8
	v_fma_f32 v11, v90, v9, -v11
	ds_read_b64 v[98:99], v135 offset:144
	ds_write_b64 v136, v[10:11] offset:1072
	v_mul_f32_e32 v10, v93, v9
	v_fmac_f32_e32 v10, v92, v8
	v_mul_f32_e32 v8, v93, v8
	v_fma_f32 v11, v92, v9, -v8
	ds_read_b64 v[100:101], v135 offset:152
	ds_write_b64 v136, v[10:11] offset:1608
	s_waitcnt lgkmcnt(0)
	s_barrier
	ds_read2_b64 v[16:19], v131 offset1:1
	ds_read2_b64 v[12:15], v131 offset0:2 offset1:3
	v_lshl_add_u64 v[8:9], v[54:55], 0, v[32:33]
	s_waitcnt lgkmcnt(0)
	s_barrier
	s_cbranch_vccnz .LBB36_166
; %bb.159:                              ;   in Loop: Header=BB36_129 Depth=1
	s_mov_b32 s11, s10
	v_cmp_gt_i32_e32 vcc, s28, v141
	v_mov_b64_e32 v[102:103], s[10:11]
	s_and_saveexec_b64 s[16:17], vcc
	s_cbranch_execz .LBB36_161
; %bb.160:                              ;   in Loop: Header=BB36_129 Depth=1
	flat_load_dwordx2 v[102:103], v[8:9]
.LBB36_161:                             ;   in Loop: Header=BB36_129 Depth=1
	s_or_b64 exec, exec, s[16:17]
	v_cmp_gt_i32_e32 vcc, s28, v142
	v_mov_b64_e32 v[104:105], s[10:11]
	s_and_saveexec_b64 s[16:17], vcc
	s_cbranch_execz .LBB36_163
; %bb.162:                              ;   in Loop: Header=BB36_129 Depth=1
	v_lshl_add_u64 v[10:11], v[58:59], 0, v[32:33]
	flat_load_dwordx2 v[104:105], v[10:11]
.LBB36_163:                             ;   in Loop: Header=BB36_129 Depth=1
	s_or_b64 exec, exec, s[16:17]
	s_mov_b32 s11, s10
	v_cmp_gt_i32_e32 vcc, s28, v143
	v_mov_b64_e32 v[106:107], s[10:11]
	s_and_saveexec_b64 s[16:17], vcc
	s_cbranch_execz .LBB36_165
; %bb.164:                              ;   in Loop: Header=BB36_129 Depth=1
	v_lshl_add_u64 v[10:11], v[56:57], 0, v[32:33]
	flat_load_dwordx2 v[106:107], v[10:11]
.LBB36_165:                             ;   in Loop: Header=BB36_129 Depth=1
	s_or_b64 exec, exec, s[16:17]
	v_cmp_gt_i32_e64 s[16:17], s28, v144
	s_mov_b32 s11, 0
	s_branch .LBB36_168
.LBB36_166:                             ;   in Loop: Header=BB36_129 Depth=1
	s_mov_b64 s[16:17], 0
                                        ; implicit-def: $sgpr11
                                        ; implicit-def: $vgpr106_vgpr107
                                        ; implicit-def: $vgpr104_vgpr105
                                        ; implicit-def: $vgpr102_vgpr103
	s_cbranch_execz .LBB36_168
; %bb.167:                              ;   in Loop: Header=BB36_129 Depth=1
	s_waitcnt vmcnt(0) lgkmcnt(0)
	flat_load_dwordx2 v[102:103], v[8:9]
	v_lshl_add_u64 v[8:9], v[58:59], 0, v[32:33]
	flat_load_dwordx2 v[104:105], v[8:9]
	v_lshl_add_u64 v[8:9], v[56:57], 0, v[32:33]
	flat_load_dwordx2 v[106:107], v[8:9]
	s_or_b64 s[16:17], s[16:17], exec
                                        ; implicit-def: $sgpr11
.LBB36_168:                             ;   in Loop: Header=BB36_129 Depth=1
	v_mov_b32_e32 v108, s11
	v_mov_b32_e32 v110, s11
	s_and_saveexec_b64 s[24:25], s[16:17]
	s_cbranch_execz .LBB36_170
; %bb.169:                              ;   in Loop: Header=BB36_129 Depth=1
	v_lshl_add_u64 v[8:9], v[60:61], 0, v[32:33]
	flat_load_dwordx2 v[108:109], v[8:9]
	s_waitcnt vmcnt(0) lgkmcnt(0)
	v_mov_b32_e32 v110, v109
.LBB36_170:                             ;   in Loop: Header=BB36_129 Depth=1
	s_or_b64 exec, exec, s[24:25]
	ds_read_b64 v[8:9], v128
	ds_read_b64 v[112:113], v135 offset:256
	s_and_b64 vcc, exec, s[4:5]
	v_lshl_add_u64 v[122:123], v[62:63], 0, v[32:33]
	s_waitcnt vmcnt(0) lgkmcnt(0)
	v_mul_f32_e32 v10, v103, v9
	v_mul_f32_e32 v11, v103, v8
	;; [unrolled: 1-line block ×4, first 2 shown]
	v_fmac_f32_e32 v10, v102, v8
	v_fma_f32 v11, v102, v9, -v11
	v_fmac_f32_e32 v20, v104, v8
	v_fma_f32 v21, v104, v9, -v21
	ds_write2_b64 v136, v[10:11], v[20:21] offset1:67
	v_mul_f32_e32 v10, v107, v9
	v_mul_f32_e32 v20, v110, v9
	v_fmac_f32_e32 v10, v106, v8
	v_mul_f32_e32 v11, v107, v8
	v_fmac_f32_e32 v20, v108, v8
	v_mul_f32_e32 v8, v110, v8
	v_fma_f32 v11, v106, v9, -v11
	v_fma_f32 v21, v108, v9, -v8
	ds_write2_b64 v136, v[10:11], v[20:21] offset0:134 offset1:201
	ds_read2_b64 v[8:11], v135 offset0:33 offset1:34
	ds_read_b64 v[114:115], v135 offset:280
	s_waitcnt lgkmcnt(0)
	s_barrier
	ds_read2_b64 v[24:27], v131 offset1:1
	ds_read2_b64 v[20:23], v131 offset0:2 offset1:3
	s_waitcnt lgkmcnt(0)
	s_barrier
	s_cbranch_vccnz .LBB36_178
; %bb.171:                              ;   in Loop: Header=BB36_129 Depth=1
	s_mov_b32 s11, s10
	v_cmp_gt_i32_e32 vcc, s28, v145
	v_mov_b64_e32 v[116:117], s[10:11]
	s_and_saveexec_b64 s[4:5], vcc
	s_cbranch_execz .LBB36_173
; %bb.172:                              ;   in Loop: Header=BB36_129 Depth=1
	flat_load_dwordx2 v[116:117], v[122:123]
.LBB36_173:                             ;   in Loop: Header=BB36_129 Depth=1
	s_or_b64 exec, exec, s[4:5]
	v_cmp_gt_i32_e32 vcc, s28, v146
	v_mov_b64_e32 v[118:119], s[10:11]
	s_and_saveexec_b64 s[4:5], vcc
	s_cbranch_execz .LBB36_175
; %bb.174:                              ;   in Loop: Header=BB36_129 Depth=1
	v_lshl_add_u64 v[118:119], v[66:67], 0, v[32:33]
	flat_load_dwordx2 v[118:119], v[118:119]
.LBB36_175:                             ;   in Loop: Header=BB36_129 Depth=1
	s_or_b64 exec, exec, s[4:5]
	s_mov_b32 s11, s10
	v_cmp_gt_i32_e32 vcc, s28, v147
	v_mov_b64_e32 v[120:121], s[10:11]
	s_and_saveexec_b64 s[4:5], vcc
	s_cbranch_execz .LBB36_177
; %bb.176:                              ;   in Loop: Header=BB36_129 Depth=1
	v_lshl_add_u64 v[120:121], v[64:65], 0, v[32:33]
	flat_load_dwordx2 v[120:121], v[120:121]
.LBB36_177:                             ;   in Loop: Header=BB36_129 Depth=1
	s_or_b64 exec, exec, s[4:5]
	v_cmp_gt_i32_e64 s[4:5], s28, v148
	s_mov_b32 s11, 0
	s_branch .LBB36_180
.LBB36_178:                             ;   in Loop: Header=BB36_129 Depth=1
	s_mov_b64 s[4:5], 0
                                        ; implicit-def: $sgpr11
                                        ; implicit-def: $vgpr120_vgpr121
                                        ; implicit-def: $vgpr118_vgpr119
                                        ; implicit-def: $vgpr116_vgpr117
	s_cbranch_execz .LBB36_180
; %bb.179:                              ;   in Loop: Header=BB36_129 Depth=1
	s_waitcnt vmcnt(0) lgkmcnt(0)
	v_lshl_add_u64 v[118:119], v[66:67], 0, v[32:33]
	v_lshl_add_u64 v[120:121], v[64:65], 0, v[32:33]
	flat_load_dwordx2 v[116:117], v[122:123]
	s_or_b64 s[4:5], s[4:5], exec
	flat_load_dwordx2 v[118:119], v[118:119]
                                        ; implicit-def: $sgpr11
	s_nop 0
	flat_load_dwordx2 v[120:121], v[120:121]
.LBB36_180:                             ;   in Loop: Header=BB36_129 Depth=1
	v_mov_b32_e32 v122, s11
	v_mov_b32_e32 v124, s11
	s_and_saveexec_b64 s[16:17], s[4:5]
	s_cbranch_execz .LBB36_182
; %bb.181:                              ;   in Loop: Header=BB36_129 Depth=1
	v_lshl_add_u64 v[122:123], v[68:69], 0, v[32:33]
	flat_load_dwordx2 v[122:123], v[122:123]
	s_waitcnt vmcnt(0) lgkmcnt(0)
	v_mov_b32_e32 v124, v123
.LBB36_182:                             ;   in Loop: Header=BB36_129 Depth=1
	s_or_b64 exec, exec, s[16:17]
	v_pk_add_f32 v[24:25], v[24:25], 0 op_sel_hi:[1,0]
	v_pk_add_f32 v[16:17], v[16:17], 0 op_sel_hi:[1,0]
	v_pk_add_f32 v[24:25], v[24:25], v[26:27]
	v_pk_add_f32 v[16:17], v[16:17], v[18:19]
	;; [unrolled: 1-line block ×5, first 2 shown]
	ds_read_b64 v[20:21], v128
	v_pk_add_f32 v[26:27], v[12:13], v[14:15]
	v_pk_add_f32 v[4:5], v[4:5], 0 op_sel_hi:[1,0]
	v_cmp_gt_i32_e32 vcc, s28, v111
	v_pk_add_f32 v[152:153], v[4:5], v[6:7]
	s_waitcnt vmcnt(0) lgkmcnt(0)
	v_mul_f32_e32 v12, v117, v21
	v_mul_f32_e32 v13, v117, v20
	;; [unrolled: 1-line block ×4, first 2 shown]
	v_fmac_f32_e32 v12, v116, v20
	v_fma_f32 v13, v116, v21, -v13
	v_fmac_f32_e32 v14, v118, v20
	v_fma_f32 v15, v118, v21, -v15
	ds_write2_b64 v136, v[12:13], v[14:15] offset1:67
	v_mul_f32_e32 v12, v121, v21
	v_mul_f32_e32 v13, v121, v20
	;; [unrolled: 1-line block ×4, first 2 shown]
	v_fmac_f32_e32 v12, v120, v20
	v_fma_f32 v13, v120, v21, -v13
	v_fmac_f32_e32 v14, v122, v20
	v_fma_f32 v15, v122, v21, -v15
	ds_write2_b64 v136, v[12:13], v[14:15] offset0:134 offset1:201
	ds_read_b128 v[16:19], v135 offset:384
	ds_read_b128 v[12:15], v135 offset:400
	s_waitcnt lgkmcnt(0)
	s_barrier
	ds_read2_b64 v[20:23], v131 offset1:1
	ds_read2_b64 v[4:7], v131 offset0:2 offset1:3
	v_pk_add_f32 v[0:1], v[152:153], v[0:1]
	s_or_b64 s[4:5], s[12:13], vcc
	v_pk_add_f32 v[0:1], v[0:1], v[2:3]
	s_waitcnt lgkmcnt(1)
	v_pk_add_f32 v[2:3], v[20:21], 0 op_sel_hi:[1,0]
	s_and_b64 s[12:13], s[0:1], s[4:5]
	v_pk_add_f32 v[2:3], v[2:3], v[22:23]
	s_waitcnt lgkmcnt(0)
	v_pk_add_f32 v[2:3], v[2:3], v[4:5]
	s_barrier
	v_pk_add_f32 v[2:3], v[2:3], v[6:7]
	ds_write2_b64 v150, v[0:1], v[26:27] offset1:16
	ds_write2_b64 v150, v[24:25], v[2:3] offset0:32 offset1:48
	s_waitcnt lgkmcnt(0)
	s_barrier
	s_and_saveexec_b64 s[4:5], s[12:13]
	s_cbranch_execz .LBB36_128
; %bb.183:                              ;   in Loop: Header=BB36_129 Depth=1
	ds_read_b64 v[20:21], v129
	ds_read2_b64 v[0:3], v129 offset0:1 offset1:2
	ds_read2_b64 v[4:7], v129 offset0:3 offset1:4
	v_add_u32_e32 v22, s26, v149
	v_ashrrev_i32_e32 v23, 31, v22
	v_lshl_add_u64 v[24:25], v[22:23], 3, s[6:7]
	s_waitcnt lgkmcnt(1)
	v_add_f32_e32 v0, v0, v20
	v_add_f32_e32 v1, v1, v21
	;; [unrolled: 1-line block ×4, first 2 shown]
	ds_read2_b64 v[0:3], v129 offset0:5 offset1:6
	s_waitcnt lgkmcnt(1)
	v_add_f32_e32 v4, v20, v4
	v_add_f32_e32 v5, v21, v5
	;; [unrolled: 1-line block ×4, first 2 shown]
	ds_read2_b64 v[4:7], v129 offset0:7 offset1:8
	s_waitcnt lgkmcnt(1)
	v_pk_add_f32 v[0:1], v[20:21], v[0:1]
	ds_read2_b64 v[20:23], v129 offset0:9 offset1:10
	v_pk_add_f32 v[0:1], v[0:1], v[2:3]
	s_waitcnt lgkmcnt(1)
	v_pk_add_f32 v[0:1], v[0:1], v[4:5]
	s_nop 0
	v_pk_add_f32 v[4:5], v[0:1], v[6:7]
	ds_read2_b64 v[0:3], v129 offset0:11 offset1:12
	s_waitcnt lgkmcnt(1)
	v_pk_add_f32 v[20:21], v[4:5], v[20:21]
	ds_read2_b64 v[4:7], v129 offset0:13 offset1:14
	v_pk_add_f32 v[20:21], v[20:21], v[22:23]
	ds_read_b64 v[22:23], v130
	s_waitcnt lgkmcnt(2)
	v_pk_add_f32 v[0:1], v[20:21], v[0:1]
	s_nop 0
	v_pk_add_f32 v[0:1], v[0:1], v[2:3]
	s_waitcnt lgkmcnt(1)
	v_pk_add_f32 v[0:1], v[0:1], v[4:5]
	s_nop 0
	v_pk_add_f32 v[0:1], v[0:1], v[6:7]
	s_waitcnt lgkmcnt(0)
	v_pk_add_f32 v[0:1], v[0:1], v[22:23]
	global_store_dwordx2 v[24:25], v[0:1], off
	s_branch .LBB36_128
.LBB36_184:
	s_movk_i32 s0, 0x218
	v_cmp_gt_i32_e32 vcc, s20, v111
	v_mad_u32_u24 v0, v125, s0, v32
	s_or_b64 s[0:1], s[22:23], vcc
	s_and_b64 s[0:1], s[14:15], s[0:1]
	ds_write_b64 v0, v[30:31]
	s_waitcnt lgkmcnt(0)
	s_barrier
	s_and_saveexec_b64 s[2:3], s[0:1]
	s_cbranch_execz .LBB36_186
; %bb.185:
	ds_read2_b64 v[0:3], v32 offset1:67
	ds_read2_b64 v[4:7], v32 offset0:134 offset1:201
	v_lshl_add_u64 v[8:9], v[28:29], 3, s[6:7]
	s_waitcnt lgkmcnt(1)
	v_pk_add_f32 v[0:1], v[2:3], v[0:1]
	s_waitcnt lgkmcnt(0)
	v_pk_add_f32 v[0:1], v[0:1], v[4:5]
	s_nop 0
	v_pk_add_f32 v[0:1], v[0:1], v[6:7]
	global_store_dwordx2 v[8:9], v[0:1], off
.LBB36_186:
	s_endpgm
	.section	.rodata,"a",@progbits
	.p2align	6, 0x0
	.amdhsa_kernel _ZL26rocblas_hemvn_kernel_upperILb1ELi64ELi4ELi33ELi32ELi16El19rocblas_complex_numIfEPKPKS1_PS1_EviT6_lT7_lT5_lS8_lS9_lS7_lT8_i
		.amdhsa_group_segment_fixed_size 9600
		.amdhsa_private_segment_fixed_size 0
		.amdhsa_kernarg_size 376
		.amdhsa_user_sgpr_count 2
		.amdhsa_user_sgpr_dispatch_ptr 0
		.amdhsa_user_sgpr_queue_ptr 0
		.amdhsa_user_sgpr_kernarg_segment_ptr 1
		.amdhsa_user_sgpr_dispatch_id 0
		.amdhsa_user_sgpr_kernarg_preload_length 0
		.amdhsa_user_sgpr_kernarg_preload_offset 0
		.amdhsa_user_sgpr_private_segment_size 0
		.amdhsa_uses_dynamic_stack 0
		.amdhsa_enable_private_segment 0
		.amdhsa_system_sgpr_workgroup_id_x 1
		.amdhsa_system_sgpr_workgroup_id_y 0
		.amdhsa_system_sgpr_workgroup_id_z 1
		.amdhsa_system_sgpr_workgroup_info 0
		.amdhsa_system_vgpr_workitem_id 1
		.amdhsa_next_free_vgpr 154
		.amdhsa_next_free_sgpr 39
		.amdhsa_accum_offset 156
		.amdhsa_reserve_vcc 1
		.amdhsa_float_round_mode_32 0
		.amdhsa_float_round_mode_16_64 0
		.amdhsa_float_denorm_mode_32 3
		.amdhsa_float_denorm_mode_16_64 3
		.amdhsa_dx10_clamp 1
		.amdhsa_ieee_mode 1
		.amdhsa_fp16_overflow 0
		.amdhsa_tg_split 0
		.amdhsa_exception_fp_ieee_invalid_op 0
		.amdhsa_exception_fp_denorm_src 0
		.amdhsa_exception_fp_ieee_div_zero 0
		.amdhsa_exception_fp_ieee_overflow 0
		.amdhsa_exception_fp_ieee_underflow 0
		.amdhsa_exception_fp_ieee_inexact 0
		.amdhsa_exception_int_div_zero 0
	.end_amdhsa_kernel
	.section	.text._ZL26rocblas_hemvn_kernel_upperILb1ELi64ELi4ELi33ELi32ELi16El19rocblas_complex_numIfEPKPKS1_PS1_EviT6_lT7_lT5_lS8_lS9_lS7_lT8_i,"axG",@progbits,_ZL26rocblas_hemvn_kernel_upperILb1ELi64ELi4ELi33ELi32ELi16El19rocblas_complex_numIfEPKPKS1_PS1_EviT6_lT7_lT5_lS8_lS9_lS7_lT8_i,comdat
.Lfunc_end36:
	.size	_ZL26rocblas_hemvn_kernel_upperILb1ELi64ELi4ELi33ELi32ELi16El19rocblas_complex_numIfEPKPKS1_PS1_EviT6_lT7_lT5_lS8_lS9_lS7_lT8_i, .Lfunc_end36-_ZL26rocblas_hemvn_kernel_upperILb1ELi64ELi4ELi33ELi32ELi16El19rocblas_complex_numIfEPKPKS1_PS1_EviT6_lT7_lT5_lS8_lS9_lS7_lT8_i
                                        ; -- End function
	.section	.AMDGPU.csdata,"",@progbits
; Kernel info:
; codeLenInByte = 9228
; NumSgprs: 45
; NumVgprs: 154
; NumAgprs: 0
; TotalNumVgprs: 154
; ScratchSize: 0
; MemoryBound: 1
; FloatMode: 240
; IeeeMode: 1
; LDSByteSize: 9600 bytes/workgroup (compile time only)
; SGPRBlocks: 5
; VGPRBlocks: 19
; NumSGPRsForWavesPerEU: 45
; NumVGPRsForWavesPerEU: 154
; AccumOffset: 156
; Occupancy: 3
; WaveLimiterHint : 0
; COMPUTE_PGM_RSRC2:SCRATCH_EN: 0
; COMPUTE_PGM_RSRC2:USER_SGPR: 2
; COMPUTE_PGM_RSRC2:TRAP_HANDLER: 0
; COMPUTE_PGM_RSRC2:TGID_X_EN: 1
; COMPUTE_PGM_RSRC2:TGID_Y_EN: 0
; COMPUTE_PGM_RSRC2:TGID_Z_EN: 1
; COMPUTE_PGM_RSRC2:TIDIG_COMP_CNT: 1
; COMPUTE_PGM_RSRC3_GFX90A:ACCUM_OFFSET: 38
; COMPUTE_PGM_RSRC3_GFX90A:TG_SPLIT: 0
	.section	.text._ZL36rocblas_hemvn_kernel_upper_block_sumILi64El19rocblas_complex_numIfEPKPS1_S1_EviT1_lS5_lT2_lT0_lPT3_i,"axG",@progbits,_ZL36rocblas_hemvn_kernel_upper_block_sumILi64El19rocblas_complex_numIfEPKPS1_S1_EviT1_lS5_lT2_lT0_lPT3_i,comdat
	.globl	_ZL36rocblas_hemvn_kernel_upper_block_sumILi64El19rocblas_complex_numIfEPKPS1_S1_EviT1_lS5_lT2_lT0_lPT3_i ; -- Begin function _ZL36rocblas_hemvn_kernel_upper_block_sumILi64El19rocblas_complex_numIfEPKPS1_S1_EviT1_lS5_lT2_lT0_lPT3_i
	.p2align	8
	.type	_ZL36rocblas_hemvn_kernel_upper_block_sumILi64El19rocblas_complex_numIfEPKPS1_S1_EviT1_lS5_lT2_lT0_lPT3_i,@function
_ZL36rocblas_hemvn_kernel_upper_block_sumILi64El19rocblas_complex_numIfEPKPS1_S1_EviT1_lS5_lT2_lT0_lPT3_i: ; @_ZL36rocblas_hemvn_kernel_upper_block_sumILi64El19rocblas_complex_numIfEPKPS1_S1_EviT1_lS5_lT2_lT0_lPT3_i
; %bb.0:
	s_load_dwordx4 s[8:11], s[0:1], 0x0
	s_load_dwordx2 s[12:13], s[0:1], 0x18
	s_mov_b32 s16, s3
	s_mov_b32 s17, 0
	s_waitcnt lgkmcnt(0)
	s_or_b32 s3, s9, s10
	s_bitset0_b32 s3, 31
	s_cmp_eq_u32 s3, 0
	v_cmp_eq_f32_e64 s[4:5], s12, 1.0
	v_cmp_eq_f32_e64 s[6:7], s13, 0
	s_cselect_b64 s[18:19], -1, 0
	s_and_b64 s[4:5], s[4:5], s[6:7]
	s_and_b64 s[4:5], s[18:19], s[4:5]
	s_and_b64 vcc, exec, s[4:5]
	s_cbranch_vccnz .LBB37_17
; %bb.1:
	s_mov_b32 s15, s10
	s_load_dwordx2 s[10:11], s[0:1], 0x28
	s_load_dwordx4 s[4:7], s[0:1], 0x30
	s_lshl_b64 s[20:21], s[16:17], 3
	v_lshl_or_b32 v0, s2, 6, v0
	s_mov_b32 s14, s9
	s_waitcnt lgkmcnt(0)
	s_add_u32 s10, s10, s20
	s_addc_u32 s11, s11, s21
	s_load_dwordx2 s[10:11], s[10:11], 0x0
	s_lshl_b64 s[4:5], s[4:5], 3
	s_mov_b64 s[20:21], -1
	s_waitcnt lgkmcnt(0)
	s_add_u32 s10, s10, s4
	s_addc_u32 s11, s11, s5
	s_andn2_b64 vcc, exec, s[18:19]
	v_cmp_gt_i32_e64 s[4:5], s8, v0
	s_cbranch_vccnz .LBB37_7
; %bb.2:
	s_and_saveexec_b64 s[18:19], s[4:5]
	s_cbranch_execz .LBB37_6
; %bb.3:
	v_ashrrev_i32_e32 v1, 31, v0
	v_cmp_neq_f32_e64 s[4:5], s12, 0
	v_cmp_neq_f32_e64 s[20:21], s13, 0
	v_mul_lo_u32 v4, v0, s7
	v_mul_lo_u32 v1, v1, s6
	v_mad_u64_u32 v[2:3], s[22:23], v0, s6, 0
	v_add3_u32 v3, v3, v4, v1
	s_or_b64 s[4:5], s[4:5], s[20:21]
	s_andn2_b64 vcc, exec, s[4:5]
	v_mov_b32_e32 v4, 0
	v_lshl_add_u64 v[2:3], v[2:3], 3, s[10:11]
	v_mov_b32_e32 v5, 0
	s_cbranch_vccnz .LBB37_5
; %bb.4:
	global_load_dwordx2 v[6:7], v[2:3], off
	s_waitcnt vmcnt(0)
	v_pk_mul_f32 v[8:9], v[6:7], s[12:13] op_sel:[1,0]
	s_nop 0
	v_pk_fma_f32 v[4:5], v[6:7], s[12:13], v[8:9] op_sel:[0,0,1] op_sel_hi:[1,1,0] neg_lo:[0,0,1] neg_hi:[0,0,1]
	v_pk_fma_f32 v[6:7], v[6:7], s[12:13], v[8:9] op_sel:[0,0,1] op_sel_hi:[0,1,0]
	v_mov_b32_e32 v5, v7
.LBB37_5:
	global_store_dwordx2 v[2:3], v[4:5], off
.LBB37_6:
	s_or_b64 exec, exec, s[18:19]
	s_mov_b64 s[20:21], 0
.LBB37_7:
	s_andn2_b64 vcc, exec, s[20:21]
	s_cbranch_vccnz .LBB37_17
; %bb.8:
	v_cmp_gt_i32_e32 vcc, s8, v0
	s_and_saveexec_b64 s[4:5], vcc
	s_cbranch_execz .LBB37_17
; %bb.9:
	v_mov_b32_e32 v3, 0
	v_ashrrev_i32_e32 v1, 31, v0
	s_cmp_lt_i32 s2, 0
	v_mov_b32_e32 v2, v3
	s_cbranch_scc1 .LBB37_12
; %bb.10:
	s_load_dwordx2 s[4:5], s[0:1], 0x48
	s_load_dword s3, s[0:1], 0x58
	s_ashr_i32 s9, s8, 31
	s_mul_hi_u32 s0, s8, s16
	s_mul_i32 s1, s9, s16
	s_add_i32 s0, s0, s1
	s_mul_i32 s16, s8, s16
	s_waitcnt lgkmcnt(0)
	s_mul_i32 s0, s0, s3
	s_mul_hi_u32 s1, s16, s3
	s_add_i32 s1, s1, s0
	s_mul_i32 s0, s16, s3
	s_lshl_b64 s[0:1], s[0:1], 3
	s_add_u32 s0, s4, s0
	s_addc_u32 s1, s5, s1
	v_mov_b32_e32 v2, 0
	v_lshl_add_u64 v[4:5], v[0:1], 3, s[0:1]
	s_add_i32 s2, s2, 1
	s_lshl_b64 s[0:1], s[8:9], 3
	v_mov_b32_e32 v3, v2
.LBB37_11:                              ; =>This Inner Loop Header: Depth=1
	global_load_dwordx2 v[6:7], v[4:5], off
	s_add_i32 s2, s2, -1
	v_lshl_add_u64 v[4:5], v[4:5], 0, s[0:1]
	s_cmp_eq_u32 s2, 0
	s_waitcnt vmcnt(0)
	v_pk_add_f32 v[2:3], v[2:3], v[6:7]
	s_cbranch_scc0 .LBB37_11
.LBB37_12:
	v_cmp_neq_f32_e64 s[0:1], s12, 0
	v_cmp_neq_f32_e64 s[2:3], s13, 0
	s_or_b64 s[0:1], s[0:1], s[2:3]
	v_pk_mul_f32 v[8:9], v[2:3], s[14:15] op_sel:[1,0]
	s_andn2_b64 vcc, exec, s[0:1]
	v_pk_fma_f32 v[4:5], v[2:3], s[14:15], v[8:9] op_sel:[0,0,1] op_sel_hi:[0,1,0]
	v_mul_lo_u32 v1, v1, s6
	v_mul_lo_u32 v10, v0, s7
	s_cbranch_vccz .LBB37_14
; %bb.13:
	v_pk_mul_f32 v[12:13], v[2:3], s[14:15] op_sel_hi:[0,1]
	v_mad_u64_u32 v[6:7], s[0:1], v0, s6, 0
	v_add3_u32 v7, v7, v10, v1
	v_sub_f32_e32 v4, v12, v9
	s_cbranch_execz .LBB37_15
	s_branch .LBB37_16
.LBB37_14:
                                        ; implicit-def: $vgpr6_vgpr7
.LBB37_15:
	v_mad_u64_u32 v[6:7], s[0:1], v0, s6, 0
	v_add3_u32 v7, v7, v10, v1
	v_lshl_add_u64 v[0:1], v[6:7], 3, s[10:11]
	global_load_dwordx2 v[0:1], v[0:1], off
	v_pk_fma_f32 v[2:3], v[2:3], s[14:15], v[8:9] op_sel:[0,0,1] op_sel_hi:[1,1,0] neg_lo:[0,0,1] neg_hi:[0,0,1]
	s_waitcnt vmcnt(0)
	v_pk_mul_f32 v[8:9], v[0:1], s[12:13] op_sel:[1,0]
	s_nop 0
	v_pk_fma_f32 v[10:11], v[0:1], s[12:13], v[8:9] op_sel:[0,0,1] op_sel_hi:[1,1,0] neg_lo:[0,0,1] neg_hi:[0,0,1]
	v_pk_fma_f32 v[0:1], v[0:1], s[12:13], v[8:9] op_sel:[0,0,1] op_sel_hi:[0,1,0]
	v_mov_b32_e32 v11, v1
	v_mov_b32_e32 v3, v5
	v_pk_add_f32 v[4:5], v[2:3], v[10:11]
.LBB37_16:
	v_lshl_add_u64 v[0:1], v[6:7], 3, s[10:11]
	global_store_dwordx2 v[0:1], v[4:5], off
.LBB37_17:
	s_endpgm
	.section	.rodata,"a",@progbits
	.p2align	6, 0x0
	.amdhsa_kernel _ZL36rocblas_hemvn_kernel_upper_block_sumILi64El19rocblas_complex_numIfEPKPS1_S1_EviT1_lS5_lT2_lT0_lPT3_i
		.amdhsa_group_segment_fixed_size 0
		.amdhsa_private_segment_fixed_size 0
		.amdhsa_kernarg_size 344
		.amdhsa_user_sgpr_count 2
		.amdhsa_user_sgpr_dispatch_ptr 0
		.amdhsa_user_sgpr_queue_ptr 0
		.amdhsa_user_sgpr_kernarg_segment_ptr 1
		.amdhsa_user_sgpr_dispatch_id 0
		.amdhsa_user_sgpr_kernarg_preload_length 0
		.amdhsa_user_sgpr_kernarg_preload_offset 0
		.amdhsa_user_sgpr_private_segment_size 0
		.amdhsa_uses_dynamic_stack 0
		.amdhsa_enable_private_segment 0
		.amdhsa_system_sgpr_workgroup_id_x 1
		.amdhsa_system_sgpr_workgroup_id_y 0
		.amdhsa_system_sgpr_workgroup_id_z 1
		.amdhsa_system_sgpr_workgroup_info 0
		.amdhsa_system_vgpr_workitem_id 0
		.amdhsa_next_free_vgpr 14
		.amdhsa_next_free_sgpr 24
		.amdhsa_accum_offset 16
		.amdhsa_reserve_vcc 1
		.amdhsa_float_round_mode_32 0
		.amdhsa_float_round_mode_16_64 0
		.amdhsa_float_denorm_mode_32 3
		.amdhsa_float_denorm_mode_16_64 3
		.amdhsa_dx10_clamp 1
		.amdhsa_ieee_mode 1
		.amdhsa_fp16_overflow 0
		.amdhsa_tg_split 0
		.amdhsa_exception_fp_ieee_invalid_op 0
		.amdhsa_exception_fp_denorm_src 0
		.amdhsa_exception_fp_ieee_div_zero 0
		.amdhsa_exception_fp_ieee_overflow 0
		.amdhsa_exception_fp_ieee_underflow 0
		.amdhsa_exception_fp_ieee_inexact 0
		.amdhsa_exception_int_div_zero 0
	.end_amdhsa_kernel
	.section	.text._ZL36rocblas_hemvn_kernel_upper_block_sumILi64El19rocblas_complex_numIfEPKPS1_S1_EviT1_lS5_lT2_lT0_lPT3_i,"axG",@progbits,_ZL36rocblas_hemvn_kernel_upper_block_sumILi64El19rocblas_complex_numIfEPKPS1_S1_EviT1_lS5_lT2_lT0_lPT3_i,comdat
.Lfunc_end37:
	.size	_ZL36rocblas_hemvn_kernel_upper_block_sumILi64El19rocblas_complex_numIfEPKPS1_S1_EviT1_lS5_lT2_lT0_lPT3_i, .Lfunc_end37-_ZL36rocblas_hemvn_kernel_upper_block_sumILi64El19rocblas_complex_numIfEPKPS1_S1_EviT1_lS5_lT2_lT0_lPT3_i
                                        ; -- End function
	.section	.AMDGPU.csdata,"",@progbits
; Kernel info:
; codeLenInByte = 692
; NumSgprs: 30
; NumVgprs: 14
; NumAgprs: 0
; TotalNumVgprs: 14
; ScratchSize: 0
; MemoryBound: 0
; FloatMode: 240
; IeeeMode: 1
; LDSByteSize: 0 bytes/workgroup (compile time only)
; SGPRBlocks: 3
; VGPRBlocks: 1
; NumSGPRsForWavesPerEU: 30
; NumVGPRsForWavesPerEU: 14
; AccumOffset: 16
; Occupancy: 8
; WaveLimiterHint : 1
; COMPUTE_PGM_RSRC2:SCRATCH_EN: 0
; COMPUTE_PGM_RSRC2:USER_SGPR: 2
; COMPUTE_PGM_RSRC2:TRAP_HANDLER: 0
; COMPUTE_PGM_RSRC2:TGID_X_EN: 1
; COMPUTE_PGM_RSRC2:TGID_Y_EN: 0
; COMPUTE_PGM_RSRC2:TGID_Z_EN: 1
; COMPUTE_PGM_RSRC2:TIDIG_COMP_CNT: 0
; COMPUTE_PGM_RSRC3_GFX90A:ACCUM_OFFSET: 3
; COMPUTE_PGM_RSRC3_GFX90A:TG_SPLIT: 0
	.section	.text._ZL26rocblas_hemvn_kernel_upperILb1ELi64ELi4ELi33ELi32ELi16Ei19rocblas_complex_numIfEPKPKS1_PS1_EviT6_lT7_lT5_lS8_lS9_lS7_lT8_i,"axG",@progbits,_ZL26rocblas_hemvn_kernel_upperILb1ELi64ELi4ELi33ELi32ELi16Ei19rocblas_complex_numIfEPKPKS1_PS1_EviT6_lT7_lT5_lS8_lS9_lS7_lT8_i,comdat
	.globl	_ZL26rocblas_hemvn_kernel_upperILb1ELi64ELi4ELi33ELi32ELi16Ei19rocblas_complex_numIfEPKPKS1_PS1_EviT6_lT7_lT5_lS8_lS9_lS7_lT8_i ; -- Begin function _ZL26rocblas_hemvn_kernel_upperILb1ELi64ELi4ELi33ELi32ELi16Ei19rocblas_complex_numIfEPKPKS1_PS1_EviT6_lT7_lT5_lS8_lS9_lS7_lT8_i
	.p2align	8
	.type	_ZL26rocblas_hemvn_kernel_upperILb1ELi64ELi4ELi33ELi32ELi16Ei19rocblas_complex_numIfEPKPKS1_PS1_EviT6_lT7_lT5_lS8_lS9_lS7_lT8_i,@function
_ZL26rocblas_hemvn_kernel_upperILb1ELi64ELi4ELi33ELi32ELi16Ei19rocblas_complex_numIfEPKPKS1_PS1_EviT6_lT7_lT5_lS8_lS9_lS7_lT8_i: ; @_ZL26rocblas_hemvn_kernel_upperILb1ELi64ELi4ELi33ELi32ELi16Ei19rocblas_complex_numIfEPKPKS1_PS1_EviT6_lT7_lT5_lS8_lS9_lS7_lT8_i
; %bb.0:
	s_load_dwordx2 s[4:5], s[0:1], 0x84
	s_add_u32 s8, s0, 0x78
	s_mov_b32 s24, s3
	s_addc_u32 s9, s1, 0
	s_waitcnt lgkmcnt(0)
	s_and_b32 s3, s5, 0xffff
	s_lshr_b32 s5, s4, 16
	s_and_b32 s4, s4, 0xffff
	s_mul_i32 s4, s5, s4
	s_mul_i32 s4, s4, s3
	s_cmpk_lg_i32 s4, 0x100
	s_cbranch_scc1 .LBB38_186
; %bb.1:
	s_load_dwordx2 s[4:5], s[0:1], 0x4
	s_waitcnt lgkmcnt(0)
	s_or_b32 s3, s4, s5
	s_bitset0_b32 s3, 31
	s_cmp_lg_u32 s3, 0
	s_cselect_b64 s[10:11], -1, 0
	s_and_b64 vcc, exec, s[10:11]
	s_cbranch_vccnz .LBB38_4
; %bb.2:
	s_load_dwordx2 s[4:5], s[0:1], 0x58
	s_mov_b64 s[12:13], 0
	s_waitcnt lgkmcnt(0)
	v_cmp_eq_f32_e64 s[6:7], s4, 1.0
	v_cmp_eq_f32_e64 s[4:5], s5, 0
	s_and_b64 s[4:5], s[6:7], s[4:5]
	s_andn2_b64 vcc, exec, s[4:5]
	s_mov_b64 s[4:5], 0
                                        ; implicit-def: $sgpr6_sgpr7
	s_cbranch_vccz .LBB38_5
; %bb.3:
	s_mov_b64 s[4:5], -1
	s_mov_b64 s[6:7], 0
	s_branch .LBB38_5
.LBB38_4:
	s_mov_b64 s[12:13], -1
	s_mov_b64 s[4:5], 0
                                        ; implicit-def: $sgpr6_sgpr7
.LBB38_5:
	s_and_b64 vcc, exec, s[12:13]
	s_cbranch_vccz .LBB38_7
; %bb.6:
	s_load_dwordx4 s[4:7], s[0:1], 0x18
	s_mov_b32 s25, 0
	s_lshl_b64 s[12:13], s[24:25], 3
	s_waitcnt lgkmcnt(0)
	s_add_u32 s4, s4, s12
	s_addc_u32 s5, s5, s13
	s_load_dwordx2 s[4:5], s[4:5], 0x0
	s_lshl_b64 s[6:7], s[6:7], 3
	s_waitcnt lgkmcnt(0)
	s_add_u32 s6, s4, s6
	s_addc_u32 s7, s5, s7
	s_mov_b64 s[4:5], -1
.LBB38_7:
	s_andn2_b64 vcc, exec, s[4:5]
	s_cbranch_vccnz .LBB38_186
; %bb.8:
	v_cndmask_b32_e64 v1, 0, 1, s[10:11]
	v_cmp_ne_u32_e64 s[4:5], 1, v1
	s_andn2_b64 vcc, exec, s[10:11]
	s_mov_b64 s[10:11], 0
	s_cbranch_vccnz .LBB38_10
; %bb.9:
	s_load_dwordx4 s[12:15], s[0:1], 0x38
	s_mov_b32 s25, 0
	s_lshl_b64 s[10:11], s[24:25], 3
	s_waitcnt lgkmcnt(0)
	s_add_u32 s10, s12, s10
	s_addc_u32 s11, s13, s11
	s_load_dwordx2 s[10:11], s[10:11], 0x0
	s_lshl_b64 s[12:13], s[14:15], 3
	s_waitcnt lgkmcnt(0)
	s_add_u32 s10, s10, s12
	s_addc_u32 s11, s11, s13
.LBB38_10:
	s_and_b64 vcc, exec, s[4:5]
	s_cbranch_vccnz .LBB38_186
; %bb.11:
	s_load_dword s3, s[8:9], 0x0
	s_load_dword s36, s[0:1], 0x0
	;; [unrolled: 1-line block ×3, first 2 shown]
	v_and_b32_e32 v30, 0x3ff, v0
	s_lshl_b32 s26, s2, 6
	v_add_u32_e32 v28, s26, v30
	s_waitcnt lgkmcnt(0)
	s_ashr_i32 s37, s36, 31
	s_lshr_b32 s5, s37, 26
	s_add_i32 s5, s36, s5
	s_andn2_b32 s5, s5, 63
	v_bfe_u32 v29, v0, 10, 10
	s_add_i32 s4, s3, -1
	s_sub_i32 s33, s36, s5
	v_mul_lo_u32 v0, v28, s25
	s_cmp_eq_u32 s2, s4
	v_ashrrev_i32_e32 v1, 31, v0
	s_cselect_b32 s18, s33, 0
	v_lshl_add_u64 v[14:15], v[0:1], 3, s[10:11]
	v_cmp_eq_u32_e64 s[14:15], 0, v29
	s_and_saveexec_b64 s[4:5], s[14:15]
	s_cbranch_execz .LBB38_16
; %bb.12:
	s_cmp_lg_u32 s18, 0
	s_cselect_b64 s[8:9], -1, 0
	v_cmp_le_i32_e32 vcc, s18, v30
	v_mov_b32_e32 v0, 0x2380
	s_and_b64 s[8:9], s[8:9], vcc
	v_lshl_add_u32 v0, v30, 3, v0
	s_and_saveexec_b64 s[10:11], s[8:9]
	s_xor_b64 s[8:9], exec, s[10:11]
	s_cbranch_execz .LBB38_14
; %bb.13:
	v_mov_b32_e32 v2, 0
	v_mov_b32_e32 v3, v2
	ds_write_b64 v0, v[2:3]
                                        ; implicit-def: $vgpr0
.LBB38_14:
	s_andn2_saveexec_b64 s[8:9], s[8:9]
	s_cbranch_execz .LBB38_16
; %bb.15:
	flat_load_dwordx2 v[2:3], v[14:15]
	s_waitcnt vmcnt(0) lgkmcnt(0)
	ds_write_b64 v0, v[2:3]
.LBB38_16:
	s_or_b64 exec, exec, s[4:5]
	s_load_dword s22, s[0:1], 0x28
	s_ashr_i32 s27, s26, 31
	v_lshl_add_u32 v22, v29, 6, v30
	s_lshl_b64 s[4:5], s[26:27], 3
	v_and_b32_e32 v0, 31, v30
	v_lshrrev_b32_e32 v1, 5, v22
	s_add_u32 s6, s6, s4
	s_addc_u32 s7, s7, s5
	s_waitcnt lgkmcnt(0)
	v_mad_u64_u32 v[12:13], s[4:5], v1, s22, v[0:1]
	s_mul_i32 s4, s26, s22
	s_ashr_i32 s5, s4, 31
	s_lshl_b64 s[4:5], s[4:5], 3
	s_add_u32 s4, s4, s6
	s_addc_u32 s5, s5, s7
	s_cmp_eq_u32 s18, 0
	s_cselect_b64 s[20:21], -1, 0
	s_cmp_lg_u32 s18, 0
	v_ashrrev_i32_e32 v13, 31, v12
	s_cselect_b64 s[30:31], -1, 0
	v_lshl_add_u64 v[6:7], v[12:13], 3, s[4:5]
	s_and_b64 vcc, exec, s[30:31]
	v_cmp_gt_i32_e64 s[4:5], s18, v0
	v_lshlrev_b32_e32 v2, 3, v0
	s_cbranch_vccz .LBB38_32
; %bb.17:
	v_sub_co_u32_e32 v4, vcc, v6, v2
	s_ashr_i32 s19, s18, 31
	s_nop 0
	v_subbrev_co_u32_e32 v5, vcc, 0, v7, vcc
	v_lshl_add_u64 v[4:5], s[18:19], 3, v[4:5]
	v_lshl_add_u64 v[4:5], v[4:5], 0, -8
	v_mov_b32_e32 v8, 0
	v_cndmask_b32_e64 v5, v5, v7, s[4:5]
	v_cndmask_b32_e64 v4, v4, v6, s[4:5]
	v_cmp_gt_i32_e32 vcc, s18, v1
	v_mov_b32_e32 v9, v8
	s_and_saveexec_b64 s[6:7], vcc
	s_cbranch_execz .LBB38_19
; %bb.18:
	flat_load_dwordx2 v[8:9], v[4:5]
.LBB38_19:
	s_or_b64 exec, exec, s[6:7]
	v_mul_u32_u24_e32 v3, 33, v1
	v_add_lshl_u32 v3, v3, v0, 3
	s_waitcnt vmcnt(0) lgkmcnt(0)
	ds_write_b64 v3, v[8:9]
	v_add_u32_e32 v8, 8, v1
	v_cmp_le_i32_e32 vcc, s18, v8
	s_and_saveexec_b64 s[6:7], vcc
	s_xor_b64 s[6:7], exec, s[6:7]
	s_cbranch_execz .LBB38_21
; %bb.20:
	v_mul_u32_u24_e32 v8, 33, v8
	v_add_lshl_u32 v10, v8, v0, 3
	v_mov_b32_e32 v8, 0
	v_mov_b32_e32 v9, v8
	ds_write_b64 v10, v[8:9]
.LBB38_21:
	s_andn2_saveexec_b64 s[6:7], s[6:7]
	s_cbranch_execz .LBB38_23
; %bb.22:
	s_lshl_b32 s8, s22, 3
	s_ashr_i32 s9, s8, 31
	v_lshl_add_u64 v[8:9], s[8:9], 3, v[4:5]
	flat_load_dwordx2 v[8:9], v[8:9]
	s_waitcnt vmcnt(0) lgkmcnt(0)
	ds_write_b64 v3, v[8:9] offset:2112
.LBB38_23:
	s_or_b64 exec, exec, s[6:7]
	v_add_u32_e32 v8, 16, v1
	v_cmp_le_i32_e32 vcc, s18, v8
	s_and_saveexec_b64 s[6:7], vcc
	s_xor_b64 s[6:7], exec, s[6:7]
	s_cbranch_execz .LBB38_25
; %bb.24:
	v_mov_b32_e32 v8, 0
	v_mov_b32_e32 v9, v8
	ds_write_b64 v3, v[8:9] offset:4224
.LBB38_25:
	s_andn2_saveexec_b64 s[6:7], s[6:7]
	s_cbranch_execz .LBB38_27
; %bb.26:
	s_lshl_b32 s8, s22, 4
	s_ashr_i32 s9, s8, 31
	v_lshl_add_u64 v[8:9], s[8:9], 3, v[4:5]
	flat_load_dwordx2 v[8:9], v[8:9]
	s_waitcnt vmcnt(0) lgkmcnt(0)
	ds_write_b64 v3, v[8:9] offset:4224
.LBB38_27:
	s_or_b64 exec, exec, s[6:7]
	v_add_u32_e32 v8, 24, v1
	v_cmp_le_i32_e32 vcc, s18, v8
	s_and_saveexec_b64 s[6:7], vcc
	s_xor_b64 s[6:7], exec, s[6:7]
	s_cbranch_execz .LBB38_29
; %bb.28:
	v_mov_b32_e32 v8, 0
	v_mov_b32_e32 v9, v8
	ds_write_b64 v3, v[8:9] offset:6336
                                        ; implicit-def: $vgpr3
.LBB38_29:
	s_andn2_saveexec_b64 s[6:7], s[6:7]
	s_cbranch_execz .LBB38_31
; %bb.30:
	s_mul_i32 s8, s22, 24
	s_ashr_i32 s9, s8, 31
	v_lshl_add_u64 v[8:9], s[8:9], 3, v[4:5]
	flat_load_dwordx2 v[8:9], v[8:9]
	s_waitcnt vmcnt(0) lgkmcnt(0)
	ds_write_b64 v3, v[8:9] offset:6336
.LBB38_31:
	s_or_b64 exec, exec, s[6:7]
	v_mov_b32_e32 v3, 0
	v_lshl_add_u64 v[4:5], v[4:5], 0, v[2:3]
	s_lshl_b64 s[6:7], s[18:19], 3
	v_mov_b32_e32 v3, s7
	v_subrev_co_u32_e32 v4, vcc, s6, v4
	s_nop 1
	v_subb_co_u32_e32 v5, vcc, v5, v3, vcc
	v_lshl_add_u64 v[4:5], v[4:5], 0, 8
	v_cndmask_b32_e64 v5, v5, v7, s[4:5]
	v_cndmask_b32_e64 v4, v4, v6, s[4:5]
	v_mul_u32_u24_e32 v18, 33, v1
	s_branch .LBB38_34
.LBB38_32:
                                        ; implicit-def: $vgpr4_vgpr5
	v_mul_u32_u24_e32 v18, 33, v1
	s_cbranch_execz .LBB38_34
; %bb.33:
	flat_load_dwordx2 v[4:5], v[6:7]
	s_lshl_b32 s4, s22, 3
	v_add_lshl_u32 v3, v18, v0, 3
	s_ashr_i32 s5, s4, 31
	v_lshl_add_u64 v[8:9], s[4:5], 3, v[6:7]
	s_ashr_i32 s23, s22, 31
	s_lshl_b64 s[4:5], s[22:23], 6
	s_waitcnt vmcnt(0) lgkmcnt(0)
	ds_write_b64 v3, v[4:5]
	flat_load_dwordx2 v[4:5], v[8:9]
	v_lshl_add_u64 v[8:9], v[8:9], 0, s[4:5]
	s_waitcnt vmcnt(0) lgkmcnt(0)
	ds_write_b64 v3, v[4:5] offset:2112
	flat_load_dwordx2 v[4:5], v[8:9]
	v_lshl_add_u64 v[8:9], v[8:9], 0, s[4:5]
	s_waitcnt vmcnt(0) lgkmcnt(0)
	ds_write_b64 v3, v[4:5] offset:4224
	flat_load_dwordx2 v[4:5], v[8:9]
	s_waitcnt vmcnt(0) lgkmcnt(0)
	ds_write_b64 v3, v[4:5] offset:6336
	v_mov_b64_e32 v[4:5], v[6:7]
.LBB38_34:
	v_lshlrev_b32_e32 v21, 2, v1
	v_cmp_le_u32_e64 s[6:7], v21, v0
	s_waitcnt lgkmcnt(0)
	s_barrier
	s_and_saveexec_b64 s[4:5], s[6:7]
	s_xor_b64 s[4:5], exec, s[4:5]
	s_cbranch_execz .LBB38_38
; %bb.35:
	v_cmp_eq_u32_e32 vcc, v21, v0
	s_and_saveexec_b64 s[8:9], vcc
	s_cbranch_execz .LBB38_37
; %bb.36:
	v_mul_u32_u24_e32 v3, 34, v0
	v_lshlrev_b32_e32 v3, 3, v3
	v_mov_b32_e32 v6, 0
	ds_write_b32 v3, v6 offset:4
.LBB38_37:
	s_or_b64 exec, exec, s[8:9]
.LBB38_38:
	s_or_saveexec_b64 s[4:5], s[4:5]
	v_mul_u32_u24_e32 v19, 33, v0
	v_add_lshl_u32 v16, v21, v19, 3
	s_xor_b64 exec, exec, s[4:5]
	s_cbranch_execz .LBB38_40
; %bb.39:
	v_mul_u32_u24_e32 v3, 0x84, v1
	v_add_lshl_u32 v3, v3, v0, 3
	ds_read_b64 v[6:7], v3
	s_waitcnt lgkmcnt(0)
	v_xor_b32_e32 v7, 0x80000000, v7
	ds_write_b64 v16, v[6:7]
.LBB38_40:
	s_or_b64 exec, exec, s[4:5]
	v_or_b32_e32 v17, 1, v21
	v_cmp_ge_u32_e64 s[8:9], v21, v0
	v_mul_u32_u24_e32 v3, 33, v17
	s_and_saveexec_b64 s[4:5], s[8:9]
	s_xor_b64 s[4:5], exec, s[4:5]
	s_cbranch_execz .LBB38_42
; %bb.41:
	v_add_lshl_u32 v6, v3, v0, 3
	ds_read_b64 v[6:7], v6
	s_waitcnt lgkmcnt(0)
	v_xor_b32_e32 v7, 0x80000000, v7
	ds_write_b64 v16, v[6:7] offset:8
.LBB38_42:
	s_andn2_saveexec_b64 s[4:5], s[4:5]
	s_cbranch_execz .LBB38_46
; %bb.43:
	v_cmp_eq_u32_e32 vcc, v17, v0
	s_and_saveexec_b64 s[10:11], vcc
	s_cbranch_execz .LBB38_45
; %bb.44:
	v_mul_u32_u24_e32 v6, 34, v0
	v_lshlrev_b32_e32 v6, 3, v6
	v_mov_b32_e32 v7, 0
	ds_write_b32 v6, v7 offset:4
.LBB38_45:
	s_or_b64 exec, exec, s[10:11]
.LBB38_46:
	s_or_b64 exec, exec, s[4:5]
	v_or_b32_e32 v26, 2, v21
	v_cmp_le_u32_e64 s[10:11], v26, v0
	s_and_saveexec_b64 s[4:5], s[10:11]
	s_xor_b64 s[4:5], exec, s[4:5]
	s_cbranch_execz .LBB38_50
; %bb.47:
	v_cmp_eq_u32_e32 vcc, v26, v0
	s_and_saveexec_b64 s[12:13], vcc
	s_cbranch_execz .LBB38_49
; %bb.48:
	v_mul_u32_u24_e32 v6, 34, v0
	v_lshlrev_b32_e32 v6, 3, v6
	v_mov_b32_e32 v7, 0
	ds_write_b32 v6, v7 offset:4
.LBB38_49:
	s_or_b64 exec, exec, s[12:13]
.LBB38_50:
	s_andn2_saveexec_b64 s[4:5], s[4:5]
	s_cbranch_execz .LBB38_52
; %bb.51:
	v_mul_u32_u24_e32 v6, 33, v26
	v_add_lshl_u32 v6, v6, v0, 3
	ds_read_b64 v[6:7], v6
	s_waitcnt lgkmcnt(0)
	v_xor_b32_e32 v7, 0x80000000, v7
	ds_write_b64 v16, v[6:7] offset:16
.LBB38_52:
	s_or_b64 exec, exec, s[4:5]
	v_or_b32_e32 v27, 3, v21
	v_cmp_le_u32_e64 s[12:13], v27, v0
	s_and_saveexec_b64 s[4:5], s[12:13]
	s_xor_b64 s[4:5], exec, s[4:5]
	s_cbranch_execz .LBB38_56
; %bb.53:
	v_cmp_eq_u32_e32 vcc, v27, v0
	s_and_saveexec_b64 s[16:17], vcc
	s_cbranch_execz .LBB38_55
; %bb.54:
	v_mul_u32_u24_e32 v6, 34, v0
	v_lshlrev_b32_e32 v6, 3, v6
	v_mov_b32_e32 v7, 0
	ds_write_b32 v6, v7 offset:4
.LBB38_55:
	s_or_b64 exec, exec, s[16:17]
.LBB38_56:
	s_andn2_saveexec_b64 s[4:5], s[4:5]
	s_cbranch_execz .LBB38_58
; %bb.57:
	v_mul_u32_u24_e32 v6, 33, v27
	v_add_lshl_u32 v6, v6, v0, 3
	ds_read_b64 v[6:7], v6
	s_waitcnt lgkmcnt(0)
	v_xor_b32_e32 v7, 0x80000000, v7
	ds_write_b64 v16, v[6:7] offset:24
.LBB38_58:
	s_or_b64 exec, exec, s[4:5]
	v_mul_u32_u24_e32 v6, 0x84, v1
	v_lshlrev_b32_e32 v31, 3, v21
	s_waitcnt lgkmcnt(0)
	s_barrier
	v_add_lshl_u32 v20, v6, v0, 3
	v_add_lshl_u32 v25, v3, v0, 3
	ds_read_b128 v[6:9], v31 offset:9088
	ds_read_b64 v[10:11], v20
	ds_read2_b64 v[32:35], v25 offset1:33
	ds_read_b64 v[40:41], v25 offset:528
	ds_read_b128 v[36:39], v31 offset:9104
	s_mov_b32 s16, 0
	s_waitcnt lgkmcnt(3)
	v_pk_mul_f32 v[42:43], v[6:7], v[10:11] op_sel:[0,1]
	s_mov_b32 s17, s16
	v_pk_fma_f32 v[44:45], v[6:7], v[10:11], v[42:43] op_sel:[0,0,1] op_sel_hi:[1,1,0] neg_lo:[0,0,1] neg_hi:[0,0,1]
	v_pk_fma_f32 v[6:7], v[6:7], v[10:11], v[42:43] op_sel:[0,0,1] op_sel_hi:[1,0,0]
	s_waitcnt lgkmcnt(2)
	v_pk_mul_f32 v[10:11], v[8:9], v[32:33] op_sel:[0,1]
	v_mov_b32_e32 v45, v7
	v_pk_fma_f32 v[42:43], v[8:9], v[32:33], v[10:11] op_sel:[0,0,1] op_sel_hi:[1,1,0] neg_lo:[0,0,1] neg_hi:[0,0,1]
	v_pk_fma_f32 v[8:9], v[8:9], v[32:33], v[10:11] op_sel:[0,0,1] op_sel_hi:[1,0,0]
	v_pk_add_f32 v[6:7], v[44:45], 0 op_sel_hi:[1,0]
	v_mov_b32_e32 v43, v9
	s_waitcnt lgkmcnt(0)
	v_pk_mul_f32 v[8:9], v[36:37], v[34:35] op_sel:[0,1]
	v_pk_add_f32 v[6:7], v[6:7], v[42:43]
	v_pk_fma_f32 v[10:11], v[36:37], v[34:35], v[8:9] op_sel:[0,0,1] op_sel_hi:[1,1,0] neg_lo:[0,0,1] neg_hi:[0,0,1]
	v_pk_fma_f32 v[8:9], v[36:37], v[34:35], v[8:9] op_sel:[0,0,1] op_sel_hi:[1,0,0]
	v_add_lshl_u32 v23, v1, v19, 3
	v_mov_b32_e32 v11, v9
	v_pk_mul_f32 v[8:9], v[38:39], v[40:41] op_sel:[0,1]
	v_pk_add_f32 v[6:7], v[6:7], v[10:11]
	v_pk_fma_f32 v[10:11], v[38:39], v[40:41], v[8:9] op_sel:[0,0,1] op_sel_hi:[1,1,0] neg_lo:[0,0,1] neg_hi:[0,0,1]
	v_pk_fma_f32 v[8:9], v[38:39], v[40:41], v[8:9] op_sel:[0,0,1] op_sel_hi:[1,0,0]
	v_cmp_gt_u32_e64 s[4:5], 32, v22
	v_mov_b32_e32 v11, v9
	v_pk_add_f32 v[6:7], v[6:7], v[10:11]
	v_mov_b64_e32 v[32:33], s[16:17]
	v_lshlrev_b32_e32 v24, 3, v19
	s_barrier
	ds_write_b64 v23, v[6:7]
	s_waitcnt lgkmcnt(0)
	s_barrier
	s_and_saveexec_b64 s[16:17], s[4:5]
	s_cbranch_execz .LBB38_60
; %bb.59:
	ds_read2_b64 v[6:9], v24 offset1:7
	ds_read2_b64 v[32:35], v24 offset0:1 offset1:2
	ds_read2_b64 v[36:39], v24 offset0:3 offset1:4
	s_waitcnt lgkmcnt(1)
	v_add_f32_e32 v3, v32, v6
	v_add_f32_e32 v6, v33, v7
	;; [unrolled: 1-line block ×4, first 2 shown]
	ds_read2_b64 v[32:35], v24 offset0:5 offset1:6
	s_waitcnt lgkmcnt(1)
	v_add_f32_e32 v3, v3, v36
	v_add_f32_e32 v6, v6, v37
	;; [unrolled: 1-line block ×4, first 2 shown]
	s_waitcnt lgkmcnt(0)
	v_add_f32_e32 v3, v3, v32
	v_add_f32_e32 v7, v6, v33
	;; [unrolled: 1-line block ×4, first 2 shown]
	v_pk_add_f32 v[32:33], v[6:7], v[8:9]
.LBB38_60:
	s_or_b64 exec, exec, s[16:17]
	s_lshl_b32 s28, s22, 5
	s_ashr_i32 s29, s28, 31
	v_lshl_add_u64 v[8:9], s[28:29], 3, v[4:5]
	s_mov_b64 s[16:17], 0x100
	v_lshl_add_u64 v[6:7], v[8:9], 0, s[16:17]
	s_and_b64 vcc, exec, s[30:31]
	s_barrier
	s_cbranch_vccz .LBB38_76
; %bb.61:
	v_or_b32_e32 v3, 32, v0
	v_lshlrev_b32_e32 v4, 3, v3
	v_sub_co_u32_e32 v4, vcc, v6, v4
	s_ashr_i32 s19, s18, 31
	s_nop 0
	v_subbrev_co_u32_e32 v5, vcc, 0, v7, vcc
	v_lshl_add_u64 v[4:5], s[18:19], 3, v[4:5]
	v_lshl_add_u64 v[4:5], v[4:5], 0, -8
	v_cmp_gt_i32_e32 vcc, s18, v3
	s_sub_i32 s23, s18, 32
	v_mov_b32_e32 v10, 0
	v_cndmask_b32_e32 v5, v5, v7, vcc
	v_cndmask_b32_e32 v4, v4, v6, vcc
	v_cmp_gt_i32_e64 s[16:17], s23, v1
	v_mov_b32_e32 v11, v10
	s_and_saveexec_b64 s[34:35], s[16:17]
	s_cbranch_execz .LBB38_63
; %bb.62:
	flat_load_dwordx2 v[10:11], v[4:5]
.LBB38_63:
	s_or_b64 exec, exec, s[34:35]
	v_add_lshl_u32 v3, v18, v0, 3
	s_waitcnt vmcnt(0) lgkmcnt(0)
	ds_write_b64 v3, v[10:11]
	v_add_u32_e32 v10, 8, v1
	v_cmp_le_i32_e64 s[16:17], s23, v10
	s_and_saveexec_b64 s[34:35], s[16:17]
	s_xor_b64 s[16:17], exec, s[34:35]
	s_cbranch_execz .LBB38_65
; %bb.64:
	v_mul_u32_u24_e32 v10, 33, v10
	v_add_lshl_u32 v34, v10, v0, 3
	v_mov_b32_e32 v10, 0
	v_mov_b32_e32 v11, v10
	ds_write_b64 v34, v[10:11]
.LBB38_65:
	s_andn2_saveexec_b64 s[16:17], s[16:17]
	s_cbranch_execz .LBB38_67
; %bb.66:
	s_lshl_b32 s34, s22, 3
	s_ashr_i32 s35, s34, 31
	v_lshl_add_u64 v[10:11], s[34:35], 3, v[4:5]
	flat_load_dwordx2 v[10:11], v[10:11]
	s_waitcnt vmcnt(0) lgkmcnt(0)
	ds_write_b64 v3, v[10:11] offset:2112
.LBB38_67:
	s_or_b64 exec, exec, s[16:17]
	v_add_u32_e32 v10, 16, v1
	v_cmp_le_i32_e64 s[16:17], s23, v10
	s_and_saveexec_b64 s[34:35], s[16:17]
	s_xor_b64 s[16:17], exec, s[34:35]
	s_cbranch_execz .LBB38_69
; %bb.68:
	v_mul_u32_u24_e32 v10, 33, v10
	v_add_lshl_u32 v34, v10, v0, 3
	v_mov_b32_e32 v10, 0
	v_mov_b32_e32 v11, v10
	ds_write_b64 v34, v[10:11]
.LBB38_69:
	s_andn2_saveexec_b64 s[16:17], s[16:17]
	s_cbranch_execz .LBB38_71
; %bb.70:
	s_lshl_b32 s34, s22, 4
	s_ashr_i32 s35, s34, 31
	v_lshl_add_u64 v[10:11], s[34:35], 3, v[4:5]
	flat_load_dwordx2 v[10:11], v[10:11]
	s_waitcnt vmcnt(0) lgkmcnt(0)
	ds_write_b64 v3, v[10:11] offset:4224
.LBB38_71:
	s_or_b64 exec, exec, s[16:17]
	v_add_u32_e32 v10, 24, v1
	v_cmp_le_i32_e64 s[16:17], s23, v10
	s_and_saveexec_b64 s[34:35], s[16:17]
	s_xor_b64 s[16:17], exec, s[34:35]
	s_cbranch_execz .LBB38_73
; %bb.72:
	v_mov_b32_e32 v10, 0
	v_mov_b32_e32 v11, v10
	ds_write_b64 v3, v[10:11] offset:6336
                                        ; implicit-def: $vgpr3
.LBB38_73:
	s_andn2_saveexec_b64 s[16:17], s[16:17]
	s_cbranch_execz .LBB38_75
; %bb.74:
	s_mul_i32 s34, s22, 24
	s_ashr_i32 s35, s34, 31
	v_lshl_add_u64 v[10:11], s[34:35], 3, v[4:5]
	flat_load_dwordx2 v[10:11], v[10:11]
	s_waitcnt vmcnt(0) lgkmcnt(0)
	ds_write_b64 v3, v[10:11] offset:6336
.LBB38_75:
	s_or_b64 exec, exec, s[16:17]
	v_mov_b32_e32 v3, 0
	v_lshl_add_u64 v[4:5], v[4:5], 0, v[2:3]
	s_lshl_b64 s[16:17], s[18:19], 3
	v_mov_b32_e32 v3, s17
	v_subrev_co_u32_e64 v4, s[16:17], s16, v4
	s_nop 1
	v_subb_co_u32_e64 v5, s[16:17], v5, v3, s[16:17]
	s_mov_b64 s[16:17], 0x108
	s_nop 0
	v_lshl_add_u64 v[4:5], v[4:5], 0, s[16:17]
	v_cndmask_b32_e32 v5, v5, v7, vcc
	v_cndmask_b32_e32 v4, v4, v6, vcc
	s_branch .LBB38_78
.LBB38_76:
                                        ; implicit-def: $vgpr4_vgpr5
	s_cbranch_execz .LBB38_78
; %bb.77:
	flat_load_dwordx2 v[4:5], v[8:9] offset:256
	s_lshl_b32 s16, s22, 3
	v_add_lshl_u32 v3, v18, v0, 3
	s_ashr_i32 s17, s16, 31
	v_lshl_add_u64 v[8:9], s[16:17], 3, v[8:9]
	s_ashr_i32 s23, s22, 31
	s_lshl_b64 s[16:17], s[22:23], 6
	s_waitcnt vmcnt(0) lgkmcnt(0)
	ds_write_b64 v3, v[4:5]
	flat_load_dwordx2 v[4:5], v[8:9] offset:256
	v_lshl_add_u64 v[8:9], v[8:9], 0, s[16:17]
	s_waitcnt vmcnt(0) lgkmcnt(0)
	ds_write_b64 v3, v[4:5] offset:2112
	flat_load_dwordx2 v[4:5], v[8:9] offset:256
	v_lshl_add_u64 v[8:9], v[8:9], 0, s[16:17]
	s_waitcnt vmcnt(0) lgkmcnt(0)
	ds_write_b64 v3, v[4:5] offset:4224
	flat_load_dwordx2 v[4:5], v[8:9] offset:256
	s_waitcnt vmcnt(0) lgkmcnt(0)
	ds_write_b64 v3, v[4:5] offset:6336
	v_mov_b64_e32 v[4:5], v[6:7]
.LBB38_78:
	s_waitcnt lgkmcnt(0)
	s_barrier
	s_and_saveexec_b64 s[16:17], s[6:7]
	s_xor_b64 s[6:7], exec, s[16:17]
	s_cbranch_execnz .LBB38_105
; %bb.79:
	s_andn2_saveexec_b64 s[6:7], s[6:7]
	s_cbranch_execnz .LBB38_108
.LBB38_80:
	s_or_b64 exec, exec, s[6:7]
	s_and_saveexec_b64 s[6:7], s[8:9]
	s_xor_b64 s[6:7], exec, s[6:7]
	s_cbranch_execnz .LBB38_109
.LBB38_81:
	s_andn2_saveexec_b64 s[6:7], s[6:7]
	s_cbranch_execnz .LBB38_110
.LBB38_82:
	s_or_b64 exec, exec, s[6:7]
	s_and_saveexec_b64 s[6:7], s[10:11]
	s_xor_b64 s[6:7], exec, s[6:7]
	s_cbranch_execnz .LBB38_113
.LBB38_83:
	s_andn2_saveexec_b64 s[6:7], s[6:7]
	s_cbranch_execnz .LBB38_116
.LBB38_84:
	s_or_b64 exec, exec, s[6:7]
	s_and_saveexec_b64 s[6:7], s[12:13]
	s_xor_b64 s[6:7], exec, s[6:7]
	s_cbranch_execnz .LBB38_117
.LBB38_85:
	s_or_saveexec_b64 s[6:7], s[6:7]
	v_add_u32_e32 v26, 0x2380, v31
	s_xor_b64 exec, exec, s[6:7]
	s_cbranch_execz .LBB38_87
.LBB38_86:
	ds_read_b64 v[6:7], v25 offset:528
	s_waitcnt lgkmcnt(0)
	v_xor_b32_e32 v7, 0x80000000, v7
	ds_write_b64 v16, v[6:7] offset:24
.LBB38_87:
	s_or_b64 exec, exec, s[6:7]
	s_waitcnt lgkmcnt(0)
	s_barrier
	ds_read_b64 v[10:11], v20
	ds_read_b128 v[6:9], v26 offset:256
	ds_read2_b64 v[34:37], v25 offset1:33
	ds_read_b64 v[16:17], v25 offset:528
	ds_read_b128 v[38:41], v26 offset:272
	v_cmp_eq_u32_e64 s[6:7], 1, v1
	s_waitcnt lgkmcnt(3)
	v_pk_mul_f32 v[42:43], v[6:7], v[10:11] op_sel:[0,1]
	s_waitcnt lgkmcnt(0)
	v_pk_fma_f32 v[44:45], v[6:7], v[10:11], v[42:43] op_sel:[0,0,1] op_sel_hi:[1,1,0] neg_lo:[0,0,1] neg_hi:[0,0,1]
	v_pk_fma_f32 v[6:7], v[6:7], v[10:11], v[42:43] op_sel:[0,0,1] op_sel_hi:[1,0,0]
	v_pk_mul_f32 v[10:11], v[8:9], v[34:35] op_sel:[0,1]
	v_mov_b32_e32 v45, v7
	v_pk_fma_f32 v[42:43], v[8:9], v[34:35], v[10:11] op_sel:[0,0,1] op_sel_hi:[1,1,0] neg_lo:[0,0,1] neg_hi:[0,0,1]
	v_pk_fma_f32 v[8:9], v[8:9], v[34:35], v[10:11] op_sel:[0,0,1] op_sel_hi:[1,0,0]
	v_pk_add_f32 v[6:7], v[44:45], 0 op_sel_hi:[1,0]
	v_mov_b32_e32 v43, v9
	v_pk_mul_f32 v[8:9], v[38:39], v[36:37] op_sel:[0,1]
	v_pk_add_f32 v[6:7], v[6:7], v[42:43]
	v_pk_fma_f32 v[10:11], v[38:39], v[36:37], v[8:9] op_sel:[0,0,1] op_sel_hi:[1,1,0] neg_lo:[0,0,1] neg_hi:[0,0,1]
	v_pk_fma_f32 v[8:9], v[38:39], v[36:37], v[8:9] op_sel:[0,0,1] op_sel_hi:[1,0,0]
	s_barrier
	v_mov_b32_e32 v11, v9
	v_pk_mul_f32 v[8:9], v[40:41], v[16:17] op_sel:[0,1]
	v_pk_add_f32 v[6:7], v[6:7], v[10:11]
	v_pk_fma_f32 v[10:11], v[40:41], v[16:17], v[8:9] op_sel:[0,0,1] op_sel_hi:[1,1,0] neg_lo:[0,0,1] neg_hi:[0,0,1]
	v_pk_fma_f32 v[8:9], v[40:41], v[16:17], v[8:9] op_sel:[0,0,1] op_sel_hi:[1,0,0]
	s_nop 0
	v_mov_b32_e32 v11, v9
	v_pk_add_f32 v[6:7], v[6:7], v[10:11]
	ds_write_b64 v23, v[6:7]
	s_waitcnt lgkmcnt(0)
	s_barrier
	s_and_saveexec_b64 s[8:9], s[6:7]
	s_cbranch_execz .LBB38_89
; %bb.88:
	ds_read2_b64 v[6:9], v24 offset1:7
	ds_read2_b64 v[32:35], v24 offset0:1 offset1:2
	ds_read2_b64 v[36:39], v24 offset0:3 offset1:4
	s_waitcnt lgkmcnt(1)
	v_add_f32_e32 v3, v32, v6
	v_add_f32_e32 v6, v33, v7
	;; [unrolled: 1-line block ×4, first 2 shown]
	ds_read2_b64 v[32:35], v24 offset0:5 offset1:6
	s_waitcnt lgkmcnt(1)
	v_add_f32_e32 v3, v3, v36
	v_add_f32_e32 v6, v6, v37
	;; [unrolled: 1-line block ×4, first 2 shown]
	s_waitcnt lgkmcnt(0)
	v_add_f32_e32 v6, v3, v32
	v_add_f32_e32 v7, v7, v33
	v_pk_add_f32 v[6:7], v[6:7], v[34:35]
	s_nop 0
	v_pk_add_f32 v[32:33], v[6:7], v[8:9]
.LBB38_89:
	s_or_b64 exec, exec, s[8:9]
	s_movk_i32 s8, 0xff00
	s_mov_b32 s9, -1
	v_lshl_add_u64 v[4:5], v[4:5], 0, s[8:9]
	s_and_b64 vcc, exec, s[30:31]
	s_barrier
	s_cbranch_vccz .LBB38_120
; %bb.90:
	v_sub_co_u32_e32 v6, vcc, v4, v2
	s_ashr_i32 s19, s18, 31
	s_nop 0
	v_subbrev_co_u32_e32 v7, vcc, 0, v5, vcc
	v_lshl_add_u64 v[6:7], s[18:19], 3, v[6:7]
	v_lshl_add_u64 v[6:7], v[6:7], 0, -8
	v_cmp_gt_i32_e32 vcc, s18, v0
	s_sub_i32 s12, s18, 32
	v_mov_b32_e32 v8, 0
	v_cndmask_b32_e32 v7, v7, v5, vcc
	v_cndmask_b32_e32 v6, v6, v4, vcc
	v_cmp_gt_i32_e64 s[8:9], s12, v1
	v_mov_b32_e32 v9, v8
	s_and_saveexec_b64 s[10:11], s[8:9]
	s_cbranch_execz .LBB38_92
; %bb.91:
	flat_load_dwordx2 v[8:9], v[6:7]
.LBB38_92:
	s_or_b64 exec, exec, s[10:11]
	v_add_lshl_u32 v3, v18, v0, 3
	s_waitcnt vmcnt(0) lgkmcnt(0)
	ds_write_b64 v3, v[8:9]
	v_add_u32_e32 v8, 8, v1
	v_cmp_le_i32_e64 s[8:9], s12, v8
	s_and_saveexec_b64 s[10:11], s[8:9]
	s_xor_b64 s[8:9], exec, s[10:11]
	s_cbranch_execz .LBB38_94
; %bb.93:
	v_mul_u32_u24_e32 v9, 33, v8
	v_mov_b32_e32 v10, 0
	v_add_lshl_u32 v9, v9, v0, 3
	v_mov_b32_e32 v11, v10
	ds_write_b64 v9, v[10:11]
.LBB38_94:
	s_andn2_saveexec_b64 s[8:9], s[8:9]
	s_cbranch_execz .LBB38_96
; %bb.95:
	s_lshl_b32 s10, s22, 3
	s_ashr_i32 s11, s10, 31
	v_lshl_add_u64 v[10:11], s[10:11], 3, v[6:7]
	flat_load_dwordx2 v[10:11], v[10:11]
	s_waitcnt vmcnt(0) lgkmcnt(0)
	ds_write_b64 v3, v[10:11] offset:2112
.LBB38_96:
	s_or_b64 exec, exec, s[8:9]
	v_add_u32_e32 v9, 16, v1
	v_cmp_le_i32_e64 s[8:9], s12, v9
	s_and_saveexec_b64 s[10:11], s[8:9]
	s_xor_b64 s[8:9], exec, s[10:11]
	s_cbranch_execz .LBB38_98
; %bb.97:
	v_mov_b32_e32 v10, 0
	v_mov_b32_e32 v11, v10
	ds_write_b64 v3, v[10:11] offset:4224
.LBB38_98:
	s_andn2_saveexec_b64 s[8:9], s[8:9]
	s_cbranch_execz .LBB38_100
; %bb.99:
	s_lshl_b32 s10, s22, 4
	s_ashr_i32 s11, s10, 31
	v_lshl_add_u64 v[10:11], s[10:11], 3, v[6:7]
	flat_load_dwordx2 v[10:11], v[10:11]
	s_waitcnt vmcnt(0) lgkmcnt(0)
	ds_write_b64 v3, v[10:11] offset:4224
.LBB38_100:
	s_or_b64 exec, exec, s[8:9]
	v_add_u32_e32 v10, 24, v1
	v_cmp_le_i32_e64 s[8:9], s12, v10
	s_and_saveexec_b64 s[10:11], s[8:9]
	s_xor_b64 s[8:9], exec, s[10:11]
	s_cbranch_execz .LBB38_102
; %bb.101:
	v_mov_b32_e32 v16, 0
	v_mov_b32_e32 v17, v16
	ds_write_b64 v3, v[16:17] offset:6336
                                        ; implicit-def: $vgpr3
.LBB38_102:
	s_andn2_saveexec_b64 s[8:9], s[8:9]
	s_cbranch_execz .LBB38_104
; %bb.103:
	s_mul_i32 s10, s22, 24
	s_ashr_i32 s11, s10, 31
	v_lshl_add_u64 v[16:17], s[10:11], 3, v[6:7]
	flat_load_dwordx2 v[16:17], v[16:17]
	s_waitcnt vmcnt(0) lgkmcnt(0)
	ds_write_b64 v3, v[16:17] offset:6336
.LBB38_104:
	s_or_b64 exec, exec, s[8:9]
	v_mov_b32_e32 v3, 0
	v_lshl_add_u64 v[2:3], v[6:7], 0, v[2:3]
	s_lshl_b64 s[8:9], s[18:19], 3
	v_mov_b32_e32 v6, s9
	v_subrev_co_u32_e64 v2, s[8:9], s8, v2
	s_nop 1
	v_subb_co_u32_e64 v3, s[8:9], v3, v6, s[8:9]
	v_lshl_add_u64 v[2:3], v[2:3], 0, 8
	v_cndmask_b32_e32 v17, v3, v5, vcc
	v_cndmask_b32_e32 v16, v2, v4, vcc
	s_branch .LBB38_122
.LBB38_105:
	v_cmp_eq_u32_e32 vcc, v21, v0
	s_and_saveexec_b64 s[16:17], vcc
	s_cbranch_execz .LBB38_107
; %bb.106:
	v_mul_u32_u24_e32 v3, 34, v0
	v_lshlrev_b32_e32 v3, 3, v3
	v_mov_b32_e32 v6, 0
	ds_write_b32 v3, v6 offset:4
.LBB38_107:
	s_or_b64 exec, exec, s[16:17]
	s_andn2_saveexec_b64 s[6:7], s[6:7]
	s_cbranch_execz .LBB38_80
.LBB38_108:
	ds_read_b64 v[6:7], v20
	s_waitcnt lgkmcnt(0)
	v_xor_b32_e32 v7, 0x80000000, v7
	ds_write_b64 v16, v[6:7]
	s_or_b64 exec, exec, s[6:7]
	s_and_saveexec_b64 s[6:7], s[8:9]
	s_xor_b64 s[6:7], exec, s[6:7]
	s_cbranch_execz .LBB38_81
.LBB38_109:
	ds_read_b64 v[6:7], v25
                                        ; implicit-def: $vgpr17
	s_waitcnt lgkmcnt(0)
	v_xor_b32_e32 v7, 0x80000000, v7
	ds_write_b64 v16, v[6:7] offset:8
	s_andn2_saveexec_b64 s[6:7], s[6:7]
	s_cbranch_execz .LBB38_82
.LBB38_110:
	v_cmp_eq_u32_e32 vcc, v17, v0
	s_and_saveexec_b64 s[8:9], vcc
	s_cbranch_execz .LBB38_112
; %bb.111:
	v_mul_u32_u24_e32 v3, 34, v0
	v_lshlrev_b32_e32 v3, 3, v3
	v_mov_b32_e32 v6, 0
	ds_write_b32 v3, v6 offset:4
.LBB38_112:
	s_or_b64 exec, exec, s[8:9]
	s_or_b64 exec, exec, s[6:7]
	s_and_saveexec_b64 s[6:7], s[10:11]
	s_xor_b64 s[6:7], exec, s[6:7]
	s_cbranch_execz .LBB38_83
.LBB38_113:
	v_cmp_eq_u32_e32 vcc, v26, v0
	s_and_saveexec_b64 s[8:9], vcc
	s_cbranch_execz .LBB38_115
; %bb.114:
	v_mul_u32_u24_e32 v3, 34, v0
	v_lshlrev_b32_e32 v3, 3, v3
	v_mov_b32_e32 v6, 0
	ds_write_b32 v3, v6 offset:4
.LBB38_115:
	s_or_b64 exec, exec, s[8:9]
	s_andn2_saveexec_b64 s[6:7], s[6:7]
	s_cbranch_execz .LBB38_84
.LBB38_116:
	ds_read_b64 v[6:7], v25 offset:264
	s_waitcnt lgkmcnt(0)
	v_xor_b32_e32 v7, 0x80000000, v7
	ds_write_b64 v16, v[6:7] offset:16
	s_or_b64 exec, exec, s[6:7]
	s_and_saveexec_b64 s[6:7], s[12:13]
	s_xor_b64 s[6:7], exec, s[6:7]
	s_cbranch_execz .LBB38_85
.LBB38_117:
	v_cmp_eq_u32_e32 vcc, v27, v0
	s_and_saveexec_b64 s[8:9], vcc
	s_cbranch_execz .LBB38_119
; %bb.118:
	v_mul_u32_u24_e32 v3, 34, v0
	v_lshlrev_b32_e32 v3, 3, v3
	v_mov_b32_e32 v6, 0
	ds_write_b32 v3, v6 offset:4
.LBB38_119:
	s_or_b64 exec, exec, s[8:9]
                                        ; implicit-def: $vgpr16
	s_or_saveexec_b64 s[6:7], s[6:7]
	v_add_u32_e32 v26, 0x2380, v31
	s_xor_b64 exec, exec, s[6:7]
	s_cbranch_execnz .LBB38_86
	s_branch .LBB38_87
.LBB38_120:
                                        ; implicit-def: $vgpr16_vgpr17
                                        ; implicit-def: $vgpr8
                                        ; implicit-def: $vgpr9
                                        ; implicit-def: $vgpr10
	s_cbranch_execz .LBB38_122
; %bb.121:
	flat_load_dwordx2 v[2:3], v[4:5]
	s_lshl_b32 s8, s22, 3
	v_add_lshl_u32 v0, v18, v0, 3
	s_ashr_i32 s9, s8, 31
	v_lshl_add_u64 v[6:7], s[8:9], 3, v[4:5]
	s_ashr_i32 s23, s22, 31
	s_lshl_b64 s[8:9], s[22:23], 6
	v_add_u32_e32 v8, 8, v1
	v_add_u32_e32 v9, 16, v1
	;; [unrolled: 1-line block ×3, first 2 shown]
	v_mov_b64_e32 v[16:17], v[4:5]
	s_waitcnt vmcnt(0) lgkmcnt(0)
	ds_write_b64 v0, v[2:3]
	flat_load_dwordx2 v[2:3], v[6:7]
	v_lshl_add_u64 v[6:7], v[6:7], 0, s[8:9]
	s_waitcnt vmcnt(0) lgkmcnt(0)
	ds_write_b64 v0, v[2:3] offset:2112
	flat_load_dwordx2 v[2:3], v[6:7]
	v_lshl_add_u64 v[6:7], v[6:7], 0, s[8:9]
	s_waitcnt vmcnt(0) lgkmcnt(0)
	ds_write_b64 v0, v[2:3] offset:4224
	flat_load_dwordx2 v[2:3], v[6:7]
	s_waitcnt vmcnt(0) lgkmcnt(0)
	ds_write_b64 v0, v[2:3] offset:6336
.LBB38_122:
	s_waitcnt lgkmcnt(0)
	s_barrier
	ds_read_b64 v[34:35], v23
	v_add_lshl_u32 v0, v9, v19, 3
	ds_read_b64 v[36:37], v0
	v_lshlrev_b32_e32 v4, 3, v1
	v_add_lshl_u32 v5, v8, v19, 3
	v_lshlrev_b32_e32 v6, 3, v8
	v_lshlrev_b32_e32 v7, 3, v9
	v_add_lshl_u32 v18, v10, v19, 3
	v_lshlrev_b32_e32 v19, 3, v10
	ds_read2_b64 v[0:3], v25 offset1:33
	ds_read_b64 v[20:21], v20
	ds_read_b128 v[8:11], v26 offset:256
	ds_read_b64 v[38:39], v6 offset:9088
	ds_read_b64 v[40:41], v5
	ds_read_b64 v[42:43], v4 offset:9088
	ds_read_b64 v[44:45], v19 offset:9088
	ds_read_b64 v[46:47], v18
	ds_read_b64 v[48:49], v7 offset:9088
	ds_read_b64 v[18:19], v25 offset:528
	ds_read_b128 v[4:7], v26 offset:272
	s_waitcnt lgkmcnt(5)
	v_pk_mul_f32 v[26:27], v[34:35], v[42:43] op_sel:[1,0]
	v_pk_mul_f32 v[50:51], v[40:41], v[38:39] op_sel:[1,0]
	v_pk_fma_f32 v[56:57], v[34:35], v[42:43], v[26:27] op_sel:[0,0,1] op_sel_hi:[1,1,0]
	v_pk_fma_f32 v[26:27], v[34:35], v[42:43], v[26:27] op_sel:[0,0,1] op_sel_hi:[0,1,0] neg_lo:[0,0,1] neg_hi:[0,0,1]
	v_mov_b32_e32 v57, v27
	v_pk_fma_f32 v[34:35], v[40:41], v[38:39], v[50:51] op_sel:[0,0,1] op_sel_hi:[1,1,0]
	v_pk_fma_f32 v[38:39], v[40:41], v[38:39], v[50:51] op_sel:[0,0,1] op_sel_hi:[0,1,0] neg_lo:[0,0,1] neg_hi:[0,0,1]
	s_waitcnt lgkmcnt(2)
	v_pk_mul_f32 v[52:53], v[36:37], v[48:49] op_sel:[1,0]
	v_pk_add_f32 v[26:27], v[56:57], 0 op_sel_hi:[1,0]
	v_mov_b32_e32 v35, v39
	v_pk_add_f32 v[26:27], v[26:27], v[34:35]
	v_pk_fma_f32 v[34:35], v[36:37], v[48:49], v[52:53] op_sel:[0,0,1] op_sel_hi:[1,1,0]
	v_pk_fma_f32 v[36:37], v[36:37], v[48:49], v[52:53] op_sel:[0,0,1] op_sel_hi:[0,1,0] neg_lo:[0,0,1] neg_hi:[0,0,1]
	v_pk_mul_f32 v[54:55], v[46:47], v[44:45] op_sel:[1,0]
	v_mov_b32_e32 v35, v37
	v_pk_add_f32 v[26:27], v[26:27], v[34:35]
	v_pk_fma_f32 v[34:35], v[46:47], v[44:45], v[54:55] op_sel:[0,0,1] op_sel_hi:[1,1,0]
	v_pk_fma_f32 v[36:37], v[46:47], v[44:45], v[54:55] op_sel:[0,0,1] op_sel_hi:[0,1,0] neg_lo:[0,0,1] neg_hi:[0,0,1]
	v_mov_b32_e32 v35, v37
	v_pk_add_f32 v[26:27], v[26:27], v[34:35]
	s_waitcnt lgkmcnt(0)
	s_barrier
	ds_write_b64 v23, v[26:27]
	s_waitcnt lgkmcnt(0)
	s_barrier
	s_and_saveexec_b64 s[8:9], s[6:7]
	s_cbranch_execz .LBB38_124
; %bb.123:
	ds_read2_b64 v[34:37], v24 offset1:1
	ds_read2_b64 v[38:41], v24 offset0:2 offset1:3
	ds_read2_b64 v[42:45], v24 offset0:6 offset1:7
	s_waitcnt lgkmcnt(2)
	v_pk_add_f32 v[26:27], v[32:33], v[34:35]
	ds_read2_b64 v[32:35], v24 offset0:4 offset1:5
	v_pk_add_f32 v[26:27], v[26:27], v[36:37]
	s_waitcnt lgkmcnt(2)
	v_pk_add_f32 v[26:27], v[26:27], v[38:39]
	s_nop 0
	v_pk_add_f32 v[26:27], v[26:27], v[40:41]
	s_waitcnt lgkmcnt(0)
	v_pk_add_f32 v[26:27], v[26:27], v[32:33]
	s_nop 0
	v_pk_add_f32 v[26:27], v[26:27], v[34:35]
	s_nop 0
	;; [unrolled: 2-line block ×3, first 2 shown]
	v_pk_add_f32 v[32:33], v[26:27], v[44:45]
.LBB38_124:
	s_or_b64 exec, exec, s[8:9]
	v_pk_mul_f32 v[26:27], v[8:9], v[20:21] op_sel:[0,1]
	s_nop 0
	v_pk_fma_f32 v[34:35], v[8:9], v[20:21], v[26:27] op_sel:[0,0,1] op_sel_hi:[1,1,0] neg_lo:[0,0,1] neg_hi:[0,0,1]
	v_pk_fma_f32 v[8:9], v[8:9], v[20:21], v[26:27] op_sel:[0,0,1] op_sel_hi:[1,0,0]
	v_pk_mul_f32 v[20:21], v[10:11], v[0:1] op_sel:[0,1]
	v_mov_b32_e32 v35, v9
	v_pk_fma_f32 v[26:27], v[10:11], v[0:1], v[20:21] op_sel:[0,0,1] op_sel_hi:[1,1,0] neg_lo:[0,0,1] neg_hi:[0,0,1]
	v_pk_fma_f32 v[0:1], v[10:11], v[0:1], v[20:21] op_sel:[0,0,1] op_sel_hi:[1,0,0]
	v_pk_add_f32 v[8:9], v[34:35], 0 op_sel_hi:[1,0]
	v_mov_b32_e32 v27, v1
	v_pk_add_f32 v[0:1], v[8:9], v[26:27]
	v_pk_mul_f32 v[8:9], v[4:5], v[2:3] op_sel:[0,1]
	s_barrier
	v_pk_fma_f32 v[10:11], v[4:5], v[2:3], v[8:9] op_sel:[0,0,1] op_sel_hi:[1,1,0] neg_lo:[0,0,1] neg_hi:[0,0,1]
	v_pk_fma_f32 v[2:3], v[4:5], v[2:3], v[8:9] op_sel:[0,0,1] op_sel_hi:[1,0,0]
	s_nop 0
	v_mov_b32_e32 v11, v3
	v_pk_mul_f32 v[2:3], v[6:7], v[18:19] op_sel:[0,1]
	v_pk_add_f32 v[0:1], v[0:1], v[10:11]
	v_pk_fma_f32 v[4:5], v[6:7], v[18:19], v[2:3] op_sel:[0,0,1] op_sel_hi:[1,1,0] neg_lo:[0,0,1] neg_hi:[0,0,1]
	v_pk_fma_f32 v[2:3], v[6:7], v[18:19], v[2:3] op_sel:[0,0,1] op_sel_hi:[1,0,0]
	s_nop 0
	v_mov_b32_e32 v5, v3
	v_pk_add_f32 v[0:1], v[0:1], v[4:5]
	ds_write_b64 v23, v[0:1]
	s_waitcnt lgkmcnt(0)
	s_barrier
	s_and_saveexec_b64 s[6:7], s[4:5]
	s_cbranch_execz .LBB38_126
; %bb.125:
	ds_read2_b64 v[0:3], v24 offset1:1
	ds_read2_b64 v[4:7], v24 offset0:2 offset1:3
	ds_read2_b64 v[8:11], v24 offset0:4 offset1:5
	s_waitcnt lgkmcnt(2)
	v_pk_add_f32 v[0:1], v[32:33], v[0:1]
	s_nop 0
	v_pk_add_f32 v[18:19], v[0:1], v[2:3]
	ds_read2_b64 v[0:3], v24 offset0:6 offset1:7
	s_waitcnt lgkmcnt(2)
	v_pk_add_f32 v[4:5], v[18:19], v[4:5]
	s_nop 0
	v_pk_add_f32 v[4:5], v[4:5], v[6:7]
	s_waitcnt lgkmcnt(1)
	v_pk_add_f32 v[4:5], v[4:5], v[8:9]
	s_nop 0
	v_pk_add_f32 v[4:5], v[4:5], v[10:11]
	;; [unrolled: 4-line block ×3, first 2 shown]
.LBB38_126:
	s_or_b64 exec, exec, s[6:7]
	s_load_dwordx2 s[0:1], s[0:1], 0x68
	s_mul_hi_u32 s4, s36, s24
	s_mul_i32 s37, s37, s24
	s_add_i32 s4, s4, s37
	s_mul_i32 s6, s36, s24
	s_mul_i32 s4, s4, s3
	s_mul_hi_u32 s5, s6, s3
	s_add_i32 s5, s5, s4
	s_mul_i32 s4, s6, s3
	s_lshl_b64 s[4:5], s[4:5], 3
	s_waitcnt lgkmcnt(0)
	s_add_u32 s4, s0, s4
	s_addc_u32 s5, s1, s5
	s_mul_hi_i32 s1, s36, s2
	s_mul_i32 s0, s36, s2
	s_lshl_b64 s[0:1], s[0:1], 3
	s_add_u32 s6, s4, s0
	s_addc_u32 s7, s5, s1
	s_add_i32 s8, s2, 1
	s_cmp_ge_u32 s8, s3
	v_lshlrev_b32_e32 v31, 3, v30
	s_barrier
	s_cbranch_scc1 .LBB38_184
; %bb.127:
	s_mul_i32 s0, s26, s25
	v_and_b32_e32 v4, 48, v30
	s_ashr_i32 s1, s0, 31
	v_and_b32_e32 v2, 15, v30
	s_lshl_b32 s4, s22, 4
	v_lshlrev_b32_e32 v5, 3, v4
	s_movk_i32 s9, 0x218
	s_lshl_b64 s[0:1], s[0:1], 3
	v_lshrrev_b32_e32 v3, 4, v22
	s_lshl_b32 s27, s25, 6
	s_ashr_i32 s5, s4, 31
	v_mad_u32_u24 v139, v2, s9, v5
	v_or_b32_e32 v5, 0x78, v31
	s_ashr_i32 s23, s22, 31
	s_lshl_b32 s16, s22, 1
	s_mul_i32 s30, s22, 3
	s_mul_i32 s25, s25, s8
	v_lshlrev_b32_e32 v123, 2, v29
	v_mov_b32_e32 v0, s1
	v_subrev_co_u32_e32 v34, vcc, s0, v14
	s_add_i32 s19, s3, -2
	v_mad_u32_u24 v140, v2, s9, v5
	v_lshlrev_b32_e32 v5, 5, v3
	s_ashr_i32 s17, s16, 31
	v_mul_i32_i24_e32 v6, 0xffffffe8, v3
	s_ashr_i32 s31, s30, 31
	s_lshl_b64 s[12:13], s[22:23], 3
	s_lshl_b32 s8, s25, 6
	v_add_u32_e32 v3, s26, v4
	s_lshl_b64 s[24:25], s[28:29], 3
	s_lshl_b64 s[10:11], s[4:5], 5
	;; [unrolled: 1-line block ×3, first 2 shown]
	v_subb_co_u32_e32 v35, vcc, v15, v0, vcc
	v_mad_u64_u32 v[0:1], s[0:1], v123, s22, v[30:31]
	v_mad_u32_u24 v141, v2, s9, v5
	v_add3_u32 v36, v3, v2, 64
	v_lshlrev_b64 v[2:3], 3, v[12:13]
	s_add_u32 s36, s34, s24
	v_ashrrev_i32_e32 v1, 31, v0
	v_sub_co_u32_e32 v38, vcc, 0, v2
	s_addc_u32 s37, s35, s25
	v_mov_b32_e32 v5, 0x2180
	v_subb_co_u32_e32 v39, vcc, 0, v3, vcc
	v_lshlrev_b64 v[2:3], 3, v[0:1]
	s_add_u32 s38, s12, s24
	v_lshl_add_u32 v145, v29, 5, v5
	v_lshl_add_u64 v[4:5], s[24:25], 0, v[2:3]
	s_addc_u32 s39, s13, s25
	s_lshl_b64 s[16:17], s[16:17], 3
	v_lshl_add_u64 v[40:41], v[16:17], 0, v[4:5]
	v_lshl_add_u64 v[4:5], s[36:37], 0, v[2:3]
	s_add_u32 s40, s24, s16
	v_lshl_add_u64 v[42:43], v[16:17], 0, v[4:5]
	v_lshl_add_u64 v[4:5], s[38:39], 0, v[2:3]
	s_addc_u32 s41, s25, s17
	s_lshl_b64 s[30:31], s[30:31], 3
	v_lshl_add_u64 v[44:45], v[16:17], 0, v[4:5]
	v_lshl_add_u64 v[4:5], s[40:41], 0, v[2:3]
	s_add_u32 s40, s24, s30
	s_addc_u32 s41, s25, s31
	v_lshl_add_u64 v[46:47], v[16:17], 0, v[4:5]
	v_lshl_add_u64 v[4:5], s[40:41], 0, v[2:3]
	s_lshl_b64 s[40:41], s[4:5], 3
	s_add_u32 s42, s24, s40
	s_addc_u32 s43, s25, s41
	s_add_u32 s44, s36, s40
	s_addc_u32 s45, s37, s41
	v_lshl_add_u64 v[48:49], v[16:17], 0, v[4:5]
	v_lshl_add_u64 v[4:5], s[42:43], 0, v[2:3]
	s_add_u32 s38, s38, s40
	v_lshl_add_u64 v[50:51], v[16:17], 0, v[4:5]
	v_lshl_add_u64 v[4:5], s[44:45], 0, v[2:3]
	s_addc_u32 s39, s39, s41
	v_lshl_add_u64 v[52:53], v[16:17], 0, v[4:5]
	v_lshl_add_u64 v[4:5], s[38:39], 0, v[2:3]
	s_add_u32 s38, s42, s16
	s_addc_u32 s39, s43, s17
	v_lshl_add_u64 v[54:55], v[16:17], 0, v[4:5]
	v_lshl_add_u64 v[4:5], s[38:39], 0, v[2:3]
	s_add_u32 s38, s42, s30
	s_addc_u32 s39, s43, s31
	v_lshl_add_u64 v[56:57], v[16:17], 0, v[4:5]
	v_lshl_add_u64 v[4:5], s[38:39], 0, v[2:3]
	s_lshl_b64 s[38:39], s[4:5], 4
	s_add_u32 s24, s38, s24
	s_addc_u32 s25, s39, s25
	s_add_u32 s36, s36, s38
	v_lshl_add_u64 v[58:59], v[16:17], 0, v[4:5]
	v_lshl_add_u64 v[4:5], s[24:25], 0, v[2:3]
	s_addc_u32 s37, s37, s39
	v_lshl_add_u64 v[60:61], v[16:17], 0, v[4:5]
	v_lshl_add_u64 v[4:5], s[36:37], 0, v[2:3]
	s_add_u32 s36, s24, s12
	s_addc_u32 s37, s25, s13
	v_lshl_add_u64 v[62:63], v[16:17], 0, v[4:5]
	v_lshl_add_u64 v[4:5], s[36:37], 0, v[2:3]
	s_add_u32 s36, s24, s16
	s_addc_u32 s37, s25, s17
	s_add_u32 s24, s24, s30
	s_addc_u32 s25, s25, s31
	v_lshl_add_u64 v[0:1], s[28:29], 0, v[0:1]
	s_movk_i32 s9, 0x860
	v_lshl_add_u64 v[64:65], v[16:17], 0, v[4:5]
	v_lshl_add_u64 v[4:5], s[36:37], 0, v[2:3]
	;; [unrolled: 1-line block ×3, first 2 shown]
	v_lshlrev_b64 v[0:1], 3, v[0:1]
	v_mad_u32_u24 v146, v29, s9, v31
	v_lshl_add_u64 v[68:69], v[16:17], 0, v[2:3]
	s_mul_i32 s9, s22, 0x180
	s_mul_hi_i32 s22, s4, 24
	v_mad_i64_i32 v[2:3], s[4:5], s4, 24, v[0:1]
	s_add_u32 s4, s9, s34
	s_addc_u32 s5, s22, s35
	v_lshl_add_u64 v[0:1], s[4:5], 0, v[0:1]
	v_lshl_add_u64 v[72:73], v[16:17], 0, v[0:1]
	;; [unrolled: 1-line block ×7, first 2 shown]
	v_add_u32_e32 v137, 0x2180, v31
	v_add_u32_e32 v138, 0x2380, v31
	v_cmp_gt_u32_e64 s[0:1], 64, v22
	v_or_b32_e32 v142, 1, v123
	v_or_b32_e32 v143, 2, v123
	v_or_b32_e32 v144, 3, v123
	v_add_u32_e32 v147, 16, v123
	v_add_u32_e32 v148, 17, v123
	;; [unrolled: 1-line block ×12, first 2 shown]
	v_lshl_add_u64 v[66:67], v[16:17], 0, v[4:5]
	v_lshl_add_u64 v[70:71], v[16:17], 0, v[2:3]
	v_lshl_add_u64 v[78:79], v[16:17], 0, v[0:1]
	s_mov_b32 s12, 0
	v_add_u32_e32 v159, v141, v6
	v_mov_b32_e32 v80, 0
	s_branch .LBB38_129
.LBB38_128:                             ;   in Loop: Header=BB38_129 Depth=1
	s_or_b64 exec, exec, s[4:5]
	v_mul_f32_e32 v0, v83, v91
	v_fma_f32 v0, v82, v90, -v0
	v_mul_f32_e32 v2, v85, v93
	v_add_f32_e32 v0, v32, v0
	v_fma_f32 v2, v84, v92, -v2
	v_add_f32_e32 v0, v0, v2
	v_mul_f32_e32 v2, v87, v95
	v_fma_f32 v2, v86, v94, -v2
	v_mul_f32_e32 v1, v82, v91
	v_add_f32_e32 v0, v0, v2
	v_mul_f32_e32 v2, v89, v97
	v_mul_f32_e32 v3, v84, v93
	v_fma_f32 v2, v88, v96, -v2
	v_fmac_f32_e32 v1, v83, v90
	v_mul_f32_e32 v4, v86, v95
	v_add_f32_e32 v0, v0, v2
	v_add_f32_e32 v1, v33, v1
	v_fmac_f32_e32 v3, v85, v92
	v_mul_f32_e32 v2, v99, v107
	v_mul_f32_e32 v5, v88, v97
	v_add_f32_e32 v1, v1, v3
	v_fmac_f32_e32 v4, v87, v94
	v_fma_f32 v2, v98, v106, -v2
	v_add_f32_e32 v1, v1, v4
	v_fmac_f32_e32 v5, v89, v96
	v_mul_f32_e32 v6, v98, v107
	v_add_f32_e32 v0, v0, v2
	v_mul_f32_e32 v2, v101, v109
	v_add_f32_e32 v1, v1, v5
	v_fma_f32 v2, v100, v108, -v2
	v_mul_f32_e32 v7, v100, v109
	v_fmac_f32_e32 v6, v99, v106
	v_add_f32_e32 v0, v0, v2
	v_mul_f32_e32 v2, v103, v111
	v_mul_f32_e32 v3, v102, v111
	v_add_f32_e32 v1, v1, v6
	v_fmac_f32_e32 v7, v101, v108
	v_fma_f32 v2, v102, v110, -v2
	v_mul_f32_e32 v4, v105, v113
	v_mul_f32_e32 v5, v104, v113
	v_add_f32_e32 v1, v1, v7
	v_fmac_f32_e32 v3, v103, v110
	v_fma_f32 v4, v104, v112, -v4
	v_pk_add_f32 v[0:1], v[0:1], v[2:3]
	v_fmac_f32_e32 v5, v105, v112
	v_pk_mul_f32 v[2:3], v[114:115], v[124:125] op_sel:[1,0]
	v_pk_add_f32 v[0:1], v[0:1], v[4:5]
	v_pk_fma_f32 v[4:5], v[114:115], v[124:125], v[2:3] op_sel:[0,0,1] op_sel_hi:[1,1,0] neg_lo:[0,0,1] neg_hi:[0,0,1]
	v_pk_fma_f32 v[2:3], v[114:115], v[124:125], v[2:3] op_sel:[0,0,1] op_sel_hi:[0,1,0]
	v_mov_b32_e32 v5, v3
	v_pk_mul_f32 v[2:3], v[116:117], v[8:9] op_sel:[1,0]
	v_pk_add_f32 v[0:1], v[0:1], v[4:5]
	v_pk_fma_f32 v[4:5], v[116:117], v[8:9], v[2:3] op_sel:[0,0,1] op_sel_hi:[1,1,0] neg_lo:[0,0,1] neg_hi:[0,0,1]
	v_pk_fma_f32 v[2:3], v[116:117], v[8:9], v[2:3] op_sel:[0,0,1] op_sel_hi:[0,1,0]
	v_mov_b32_e32 v5, v3
	;; [unrolled: 5-line block ×3, first 2 shown]
	v_pk_mul_f32 v[2:3], v[122:123], v[126:127] op_sel_hi:[0,1]
	v_pk_add_f32 v[0:1], v[0:1], v[4:5]
	v_pk_fma_f32 v[4:5], v[120:121], v[126:127], v[2:3] op_sel:[0,0,1] op_sel_hi:[1,1,0] neg_lo:[0,0,1] neg_hi:[0,0,1]
	v_pk_fma_f32 v[2:3], v[120:121], v[126:127], v[2:3] op_sel:[0,0,1] op_sel_hi:[0,1,0]
	v_mov_b32_e32 v5, v3
	v_pk_mul_f32 v[2:3], v[128:129], v[16:17] op_sel:[1,0]
	v_pk_add_f32 v[0:1], v[0:1], v[4:5]
	v_pk_fma_f32 v[4:5], v[128:129], v[16:17], v[2:3] op_sel:[0,0,1] op_sel_hi:[1,1,0] neg_lo:[0,0,1] neg_hi:[0,0,1]
	v_pk_fma_f32 v[2:3], v[128:129], v[16:17], v[2:3] op_sel:[0,0,1] op_sel_hi:[0,1,0]
	v_mov_b32_e32 v5, v3
	v_pk_mul_f32 v[2:3], v[130:131], v[18:19] op_sel:[1,0]
	;; [unrolled: 5-line block ×3, first 2 shown]
	v_pk_add_f32 v[0:1], v[0:1], v[6:7]
	v_pk_fma_f32 v[8:9], v[132:133], v[12:13], v[2:3] op_sel:[0,0,1] op_sel_hi:[1,1,0] neg_lo:[0,0,1] neg_hi:[0,0,1]
	v_pk_fma_f32 v[2:3], v[132:133], v[12:13], v[2:3] op_sel:[0,0,1] op_sel_hi:[0,1,0]
	v_mov_b32_e32 v9, v3
	v_pk_mul_f32 v[2:3], v[136:137], v[14:15] op_sel_hi:[0,1]
	v_pk_fma_f32 v[10:11], v[134:135], v[14:15], v[2:3] op_sel:[0,0,1] op_sel_hi:[1,1,0] neg_lo:[0,0,1] neg_hi:[0,0,1]
	v_pk_fma_f32 v[2:3], v[134:135], v[14:15], v[2:3] op_sel:[0,0,1] op_sel_hi:[0,1,0]
	v_mov_b32_e32 v11, v3
	v_pk_add_f32 v[0:1], v[0:1], v[8:9]
	s_add_i32 s4, s2, 1
	s_add_i32 s8, s8, s27
	;; [unrolled: 1-line block ×3, first 2 shown]
	v_pk_add_f32 v[32:33], v[0:1], v[10:11]
	v_add_u32_e32 v36, 64, v36
	v_lshl_add_u64 v[40:41], v[40:41], 0, s[10:11]
	v_lshl_add_u64 v[42:43], v[42:43], 0, s[10:11]
	;; [unrolled: 1-line block ×20, first 2 shown]
	s_cmp_ge_u32 s2, s3
	s_mov_b32 s2, s4
	s_barrier
	s_cbranch_scc1 .LBB38_184
.LBB38_129:                             ; =>This Inner Loop Header: Depth=1
	s_cmp_eq_u32 s19, s2
	s_cselect_b32 s26, s33, 0
	s_and_saveexec_b64 s[4:5], s[14:15]
	s_cbranch_execz .LBB38_134
; %bb.130:                              ;   in Loop: Header=BB38_129 Depth=1
	s_cmp_lg_u32 s26, 0
	s_cselect_b64 s[16:17], -1, 0
	v_cmp_le_i32_e32 vcc, s26, v30
	s_and_b64 s[16:17], s[16:17], vcc
	s_and_saveexec_b64 s[22:23], s[16:17]
	s_xor_b64 s[16:17], exec, s[22:23]
	s_cbranch_execz .LBB38_132
; %bb.131:                              ;   in Loop: Header=BB38_129 Depth=1
	v_mov_b32_e32 v81, v80
	ds_write_b64 v137, v[80:81]
.LBB38_132:                             ;   in Loop: Header=BB38_129 Depth=1
	s_andn2_saveexec_b64 s[16:17], s[16:17]
	s_cbranch_execz .LBB38_134
; %bb.133:                              ;   in Loop: Header=BB38_129 Depth=1
	s_ashr_i32 s9, s8, 31
	v_lshl_add_u64 v[0:1], s[8:9], 3, v[34:35]
	flat_load_dwordx2 v[0:1], v[0:1]
	s_waitcnt vmcnt(0) lgkmcnt(0)
	ds_write_b64 v137, v[0:1]
.LBB38_134:                             ;   in Loop: Header=BB38_129 Depth=1
	s_or_b64 exec, exec, s[4:5]
	s_cmp_eq_u32 s26, 0
	s_cselect_b64 s[16:17], -1, 0
	s_cmp_lg_u32 s26, 0
	s_cselect_b64 s[22:23], -1, 0
	v_lshl_add_u64 v[0:1], v[40:41], 0, v[38:39]
	s_and_b64 vcc, exec, s[22:23]
	s_waitcnt lgkmcnt(0)
	s_barrier
	s_cbranch_vccz .LBB38_142
; %bb.135:                              ;   in Loop: Header=BB38_129 Depth=1
	s_mov_b32 s13, s12
	v_cmp_gt_i32_e32 vcc, s26, v123
	v_mov_b64_e32 v[82:83], s[12:13]
	s_and_saveexec_b64 s[4:5], vcc
	s_cbranch_execz .LBB38_137
; %bb.136:                              ;   in Loop: Header=BB38_129 Depth=1
	flat_load_dwordx2 v[82:83], v[0:1]
.LBB38_137:                             ;   in Loop: Header=BB38_129 Depth=1
	s_or_b64 exec, exec, s[4:5]
	v_cmp_gt_i32_e32 vcc, s26, v142
	v_mov_b64_e32 v[84:85], s[12:13]
	s_and_saveexec_b64 s[4:5], vcc
	s_cbranch_execz .LBB38_139
; %bb.138:                              ;   in Loop: Header=BB38_129 Depth=1
	v_lshl_add_u64 v[2:3], v[44:45], 0, v[38:39]
	flat_load_dwordx2 v[84:85], v[2:3]
.LBB38_139:                             ;   in Loop: Header=BB38_129 Depth=1
	s_or_b64 exec, exec, s[4:5]
	s_mov_b32 s13, s12
	v_cmp_gt_i32_e32 vcc, s26, v143
	v_mov_b64_e32 v[86:87], s[12:13]
	s_and_saveexec_b64 s[4:5], vcc
	s_cbranch_execz .LBB38_141
; %bb.140:                              ;   in Loop: Header=BB38_129 Depth=1
	v_lshl_add_u64 v[2:3], v[46:47], 0, v[38:39]
	flat_load_dwordx2 v[86:87], v[2:3]
.LBB38_141:                             ;   in Loop: Header=BB38_129 Depth=1
	s_or_b64 exec, exec, s[4:5]
	v_cmp_gt_i32_e64 s[4:5], s26, v144
	s_mov_b32 s9, 0
	s_branch .LBB38_144
.LBB38_142:                             ;   in Loop: Header=BB38_129 Depth=1
	s_mov_b64 s[4:5], 0
                                        ; implicit-def: $sgpr9
                                        ; implicit-def: $vgpr86_vgpr87
                                        ; implicit-def: $vgpr84_vgpr85
                                        ; implicit-def: $vgpr82_vgpr83
	s_cbranch_execz .LBB38_144
; %bb.143:                              ;   in Loop: Header=BB38_129 Depth=1
	s_waitcnt vmcnt(0) lgkmcnt(0)
	flat_load_dwordx2 v[82:83], v[0:1]
	v_lshl_add_u64 v[0:1], v[44:45], 0, v[38:39]
	flat_load_dwordx2 v[84:85], v[0:1]
	v_lshl_add_u64 v[0:1], v[42:43], 0, v[38:39]
	flat_load_dwordx2 v[86:87], v[0:1]
	s_or_b64 s[4:5], s[4:5], exec
                                        ; implicit-def: $sgpr9
.LBB38_144:                             ;   in Loop: Header=BB38_129 Depth=1
	v_mov_b32_e32 v88, s9
	v_mov_b32_e32 v89, s9
	s_and_saveexec_b64 s[24:25], s[4:5]
	s_cbranch_execz .LBB38_146
; %bb.145:                              ;   in Loop: Header=BB38_129 Depth=1
	v_lshl_add_u64 v[0:1], v[48:49], 0, v[38:39]
	flat_load_dwordx2 v[88:89], v[0:1]
.LBB38_146:                             ;   in Loop: Header=BB38_129 Depth=1
	s_or_b64 exec, exec, s[24:25]
	ds_read_b64 v[0:1], v138
	ds_read_b64 v[90:91], v145
	v_cndmask_b32_e64 v8, 0, 1, s[22:23]
	v_cmp_ne_u32_e64 s[4:5], 1, v8
	s_andn2_b64 vcc, exec, s[22:23]
	s_waitcnt vmcnt(0) lgkmcnt(0)
	v_mul_f32_e32 v2, v83, v1
	v_mul_f32_e32 v3, v83, v0
	v_fmac_f32_e32 v2, v82, v0
	v_fma_f32 v3, v82, v1, -v3
	v_mul_f32_e32 v4, v85, v1
	ds_write_b64 v146, v[2:3]
	v_mul_f32_e32 v2, v85, v0
	v_fmac_f32_e32 v4, v84, v0
	v_fma_f32 v5, v84, v1, -v2
	v_mul_f32_e32 v2, v87, v1
	v_mul_f32_e32 v3, v87, v0
	ds_read_b64 v[92:93], v145 offset:8
	ds_write_b64 v146, v[4:5] offset:536
	v_fmac_f32_e32 v2, v86, v0
	v_fma_f32 v3, v86, v1, -v3
	ds_read_b64 v[94:95], v145 offset:16
	ds_write_b64 v146, v[2:3] offset:1072
	v_mul_f32_e32 v2, v89, v1
	v_fmac_f32_e32 v2, v88, v0
	v_mul_f32_e32 v0, v89, v0
	v_fma_f32 v3, v88, v1, -v0
	ds_read_b64 v[96:97], v145 offset:24
	ds_write_b64 v146, v[2:3] offset:1608
	s_waitcnt lgkmcnt(0)
	s_barrier
	ds_read2_b64 v[4:7], v141 offset1:1
	ds_read2_b64 v[0:3], v141 offset0:2 offset1:3
	v_lshl_add_u64 v[8:9], v[50:51], 0, v[38:39]
	s_waitcnt lgkmcnt(0)
	s_barrier
	s_cbranch_vccnz .LBB38_154
; %bb.147:                              ;   in Loop: Header=BB38_129 Depth=1
	s_mov_b32 s13, s12
	v_cmp_gt_i32_e32 vcc, s26, v147
	v_mov_b64_e32 v[98:99], s[12:13]
	s_and_saveexec_b64 s[22:23], vcc
	s_cbranch_execz .LBB38_149
; %bb.148:                              ;   in Loop: Header=BB38_129 Depth=1
	flat_load_dwordx2 v[98:99], v[8:9]
.LBB38_149:                             ;   in Loop: Header=BB38_129 Depth=1
	s_or_b64 exec, exec, s[22:23]
	v_cmp_gt_i32_e32 vcc, s26, v148
	v_mov_b64_e32 v[100:101], s[12:13]
	s_and_saveexec_b64 s[22:23], vcc
	s_cbranch_execz .LBB38_151
; %bb.150:                              ;   in Loop: Header=BB38_129 Depth=1
	v_lshl_add_u64 v[10:11], v[54:55], 0, v[38:39]
	flat_load_dwordx2 v[100:101], v[10:11]
.LBB38_151:                             ;   in Loop: Header=BB38_129 Depth=1
	s_or_b64 exec, exec, s[22:23]
	s_mov_b32 s13, s12
	v_cmp_gt_i32_e32 vcc, s26, v149
	v_mov_b64_e32 v[102:103], s[12:13]
	s_and_saveexec_b64 s[22:23], vcc
	s_cbranch_execz .LBB38_153
; %bb.152:                              ;   in Loop: Header=BB38_129 Depth=1
	v_lshl_add_u64 v[10:11], v[56:57], 0, v[38:39]
	flat_load_dwordx2 v[102:103], v[10:11]
.LBB38_153:                             ;   in Loop: Header=BB38_129 Depth=1
	s_or_b64 exec, exec, s[22:23]
	v_cmp_gt_i32_e64 s[22:23], s26, v150
	s_mov_b32 s9, 0
	s_branch .LBB38_156
.LBB38_154:                             ;   in Loop: Header=BB38_129 Depth=1
	s_mov_b64 s[22:23], 0
                                        ; implicit-def: $sgpr9
                                        ; implicit-def: $vgpr102_vgpr103
                                        ; implicit-def: $vgpr100_vgpr101
                                        ; implicit-def: $vgpr98_vgpr99
	s_cbranch_execz .LBB38_156
; %bb.155:                              ;   in Loop: Header=BB38_129 Depth=1
	s_waitcnt vmcnt(0) lgkmcnt(0)
	flat_load_dwordx2 v[98:99], v[8:9]
	v_lshl_add_u64 v[8:9], v[54:55], 0, v[38:39]
	flat_load_dwordx2 v[100:101], v[8:9]
	v_lshl_add_u64 v[8:9], v[52:53], 0, v[38:39]
	flat_load_dwordx2 v[102:103], v[8:9]
	s_or_b64 s[22:23], s[22:23], exec
                                        ; implicit-def: $sgpr9
.LBB38_156:                             ;   in Loop: Header=BB38_129 Depth=1
	v_mov_b32_e32 v104, s9
	v_mov_b32_e32 v105, s9
	s_and_saveexec_b64 s[24:25], s[22:23]
	s_cbranch_execz .LBB38_158
; %bb.157:                              ;   in Loop: Header=BB38_129 Depth=1
	v_lshl_add_u64 v[8:9], v[58:59], 0, v[38:39]
	flat_load_dwordx2 v[104:105], v[8:9]
.LBB38_158:                             ;   in Loop: Header=BB38_129 Depth=1
	s_or_b64 exec, exec, s[24:25]
	ds_read_b64 v[8:9], v138
	ds_read_b64 v[106:107], v145 offset:128
	s_and_b64 vcc, exec, s[4:5]
	s_waitcnt vmcnt(0) lgkmcnt(0)
	v_mul_f32_e32 v10, v99, v9
	v_mul_f32_e32 v11, v99, v8
	v_fmac_f32_e32 v10, v98, v8
	v_fma_f32 v11, v98, v9, -v11
	v_mul_f32_e32 v12, v101, v9
	ds_write_b64 v146, v[10:11]
	v_mul_f32_e32 v10, v101, v8
	v_fmac_f32_e32 v12, v100, v8
	v_fma_f32 v13, v100, v9, -v10
	v_mul_f32_e32 v10, v103, v9
	v_mul_f32_e32 v11, v103, v8
	ds_read_b64 v[108:109], v145 offset:136
	ds_write_b64 v146, v[12:13] offset:536
	v_fmac_f32_e32 v10, v102, v8
	v_fma_f32 v11, v102, v9, -v11
	ds_read_b64 v[110:111], v145 offset:144
	ds_write_b64 v146, v[10:11] offset:1072
	v_mul_f32_e32 v10, v105, v9
	v_fmac_f32_e32 v10, v104, v8
	v_mul_f32_e32 v8, v105, v8
	v_fma_f32 v11, v104, v9, -v8
	ds_read_b64 v[112:113], v145 offset:152
	ds_write_b64 v146, v[10:11] offset:1608
	s_waitcnt lgkmcnt(0)
	s_barrier
	ds_read2_b64 v[16:19], v141 offset1:1
	ds_read2_b64 v[12:15], v141 offset0:2 offset1:3
	v_lshl_add_u64 v[8:9], v[60:61], 0, v[38:39]
	s_waitcnt lgkmcnt(0)
	s_barrier
	s_cbranch_vccnz .LBB38_166
; %bb.159:                              ;   in Loop: Header=BB38_129 Depth=1
	s_mov_b32 s13, s12
	v_cmp_gt_i32_e32 vcc, s26, v151
	v_mov_b64_e32 v[114:115], s[12:13]
	s_and_saveexec_b64 s[22:23], vcc
	s_cbranch_execz .LBB38_161
; %bb.160:                              ;   in Loop: Header=BB38_129 Depth=1
	flat_load_dwordx2 v[114:115], v[8:9]
.LBB38_161:                             ;   in Loop: Header=BB38_129 Depth=1
	s_or_b64 exec, exec, s[22:23]
	v_cmp_gt_i32_e32 vcc, s26, v152
	v_mov_b64_e32 v[116:117], s[12:13]
	s_and_saveexec_b64 s[22:23], vcc
	s_cbranch_execz .LBB38_163
; %bb.162:                              ;   in Loop: Header=BB38_129 Depth=1
	v_lshl_add_u64 v[10:11], v[64:65], 0, v[38:39]
	flat_load_dwordx2 v[116:117], v[10:11]
.LBB38_163:                             ;   in Loop: Header=BB38_129 Depth=1
	s_or_b64 exec, exec, s[22:23]
	s_mov_b32 s13, s12
	v_cmp_gt_i32_e32 vcc, s26, v153
	v_mov_b64_e32 v[118:119], s[12:13]
	s_and_saveexec_b64 s[22:23], vcc
	s_cbranch_execz .LBB38_165
; %bb.164:                              ;   in Loop: Header=BB38_129 Depth=1
	v_lshl_add_u64 v[10:11], v[66:67], 0, v[38:39]
	flat_load_dwordx2 v[118:119], v[10:11]
.LBB38_165:                             ;   in Loop: Header=BB38_129 Depth=1
	s_or_b64 exec, exec, s[22:23]
	v_cmp_gt_i32_e64 s[22:23], s26, v154
	s_mov_b32 s9, 0
	s_branch .LBB38_168
.LBB38_166:                             ;   in Loop: Header=BB38_129 Depth=1
	s_mov_b64 s[22:23], 0
                                        ; implicit-def: $sgpr9
                                        ; implicit-def: $vgpr118_vgpr119
                                        ; implicit-def: $vgpr116_vgpr117
                                        ; implicit-def: $vgpr114_vgpr115
	s_cbranch_execz .LBB38_168
; %bb.167:                              ;   in Loop: Header=BB38_129 Depth=1
	s_waitcnt vmcnt(0) lgkmcnt(0)
	flat_load_dwordx2 v[114:115], v[8:9]
	v_lshl_add_u64 v[8:9], v[64:65], 0, v[38:39]
	flat_load_dwordx2 v[116:117], v[8:9]
	v_lshl_add_u64 v[8:9], v[62:63], 0, v[38:39]
	flat_load_dwordx2 v[118:119], v[8:9]
	s_or_b64 s[22:23], s[22:23], exec
                                        ; implicit-def: $sgpr9
.LBB38_168:                             ;   in Loop: Header=BB38_129 Depth=1
	v_mov_b32_e32 v120, s9
	v_mov_b32_e32 v122, s9
	s_and_saveexec_b64 s[24:25], s[22:23]
	s_cbranch_execz .LBB38_170
; %bb.169:                              ;   in Loop: Header=BB38_129 Depth=1
	v_lshl_add_u64 v[8:9], v[68:69], 0, v[38:39]
	flat_load_dwordx2 v[120:121], v[8:9]
	s_waitcnt vmcnt(0) lgkmcnt(0)
	v_mov_b32_e32 v122, v121
.LBB38_170:                             ;   in Loop: Header=BB38_129 Depth=1
	s_or_b64 exec, exec, s[24:25]
	ds_read_b64 v[8:9], v138
	ds_read_b64 v[124:125], v145 offset:256
	s_and_b64 vcc, exec, s[4:5]
	v_lshl_add_u64 v[134:135], v[70:71], 0, v[38:39]
	s_waitcnt vmcnt(0) lgkmcnt(0)
	v_mul_f32_e32 v10, v115, v9
	v_mul_f32_e32 v11, v115, v8
	;; [unrolled: 1-line block ×4, first 2 shown]
	v_fmac_f32_e32 v10, v114, v8
	v_fma_f32 v11, v114, v9, -v11
	v_fmac_f32_e32 v20, v116, v8
	v_fma_f32 v21, v116, v9, -v21
	ds_write2_b64 v146, v[10:11], v[20:21] offset1:67
	v_mul_f32_e32 v10, v119, v9
	v_mul_f32_e32 v20, v122, v9
	v_fmac_f32_e32 v10, v118, v8
	v_mul_f32_e32 v11, v119, v8
	v_fmac_f32_e32 v20, v120, v8
	v_mul_f32_e32 v8, v122, v8
	v_fma_f32 v11, v118, v9, -v11
	v_fma_f32 v21, v120, v9, -v8
	ds_write2_b64 v146, v[10:11], v[20:21] offset0:134 offset1:201
	ds_read2_b64 v[8:11], v145 offset0:33 offset1:34
	ds_read_b64 v[126:127], v145 offset:280
	s_waitcnt lgkmcnt(0)
	s_barrier
	ds_read2_b64 v[24:27], v141 offset1:1
	ds_read2_b64 v[20:23], v141 offset0:2 offset1:3
	s_waitcnt lgkmcnt(0)
	s_barrier
	s_cbranch_vccnz .LBB38_178
; %bb.171:                              ;   in Loop: Header=BB38_129 Depth=1
	s_mov_b32 s13, s12
	v_cmp_gt_i32_e32 vcc, s26, v155
	v_mov_b64_e32 v[128:129], s[12:13]
	s_and_saveexec_b64 s[4:5], vcc
	s_cbranch_execz .LBB38_173
; %bb.172:                              ;   in Loop: Header=BB38_129 Depth=1
	flat_load_dwordx2 v[128:129], v[134:135]
.LBB38_173:                             ;   in Loop: Header=BB38_129 Depth=1
	s_or_b64 exec, exec, s[4:5]
	v_cmp_gt_i32_e32 vcc, s26, v156
	v_mov_b64_e32 v[130:131], s[12:13]
	s_and_saveexec_b64 s[4:5], vcc
	s_cbranch_execz .LBB38_175
; %bb.174:                              ;   in Loop: Header=BB38_129 Depth=1
	v_lshl_add_u64 v[130:131], v[74:75], 0, v[38:39]
	flat_load_dwordx2 v[130:131], v[130:131]
.LBB38_175:                             ;   in Loop: Header=BB38_129 Depth=1
	s_or_b64 exec, exec, s[4:5]
	s_mov_b32 s13, s12
	v_cmp_gt_i32_e32 vcc, s26, v157
	v_mov_b64_e32 v[132:133], s[12:13]
	s_and_saveexec_b64 s[4:5], vcc
	s_cbranch_execz .LBB38_177
; %bb.176:                              ;   in Loop: Header=BB38_129 Depth=1
	v_lshl_add_u64 v[132:133], v[76:77], 0, v[38:39]
	flat_load_dwordx2 v[132:133], v[132:133]
.LBB38_177:                             ;   in Loop: Header=BB38_129 Depth=1
	s_or_b64 exec, exec, s[4:5]
	v_cmp_gt_i32_e64 s[4:5], s26, v158
	s_mov_b32 s9, 0
	s_branch .LBB38_180
.LBB38_178:                             ;   in Loop: Header=BB38_129 Depth=1
	s_mov_b64 s[4:5], 0
                                        ; implicit-def: $sgpr9
                                        ; implicit-def: $vgpr132_vgpr133
                                        ; implicit-def: $vgpr130_vgpr131
                                        ; implicit-def: $vgpr128_vgpr129
	s_cbranch_execz .LBB38_180
; %bb.179:                              ;   in Loop: Header=BB38_129 Depth=1
	s_waitcnt vmcnt(0) lgkmcnt(0)
	v_lshl_add_u64 v[130:131], v[74:75], 0, v[38:39]
	v_lshl_add_u64 v[132:133], v[72:73], 0, v[38:39]
	flat_load_dwordx2 v[128:129], v[134:135]
	s_or_b64 s[4:5], s[4:5], exec
	flat_load_dwordx2 v[130:131], v[130:131]
                                        ; implicit-def: $sgpr9
	s_nop 0
	flat_load_dwordx2 v[132:133], v[132:133]
.LBB38_180:                             ;   in Loop: Header=BB38_129 Depth=1
	v_mov_b32_e32 v134, s9
	v_mov_b32_e32 v136, s9
	s_and_saveexec_b64 s[22:23], s[4:5]
	s_cbranch_execz .LBB38_182
; %bb.181:                              ;   in Loop: Header=BB38_129 Depth=1
	v_lshl_add_u64 v[134:135], v[78:79], 0, v[38:39]
	flat_load_dwordx2 v[134:135], v[134:135]
	s_waitcnt vmcnt(0) lgkmcnt(0)
	v_mov_b32_e32 v136, v135
.LBB38_182:                             ;   in Loop: Header=BB38_129 Depth=1
	s_or_b64 exec, exec, s[22:23]
	v_pk_add_f32 v[24:25], v[24:25], 0 op_sel_hi:[1,0]
	v_pk_add_f32 v[16:17], v[16:17], 0 op_sel_hi:[1,0]
	v_pk_add_f32 v[24:25], v[24:25], v[26:27]
	v_pk_add_f32 v[16:17], v[16:17], v[18:19]
	;; [unrolled: 1-line block ×5, first 2 shown]
	ds_read_b64 v[20:21], v138
	v_pk_add_f32 v[26:27], v[12:13], v[14:15]
	v_pk_add_f32 v[4:5], v[4:5], 0 op_sel_hi:[1,0]
	v_cmp_gt_i32_e32 vcc, s26, v30
	v_pk_add_f32 v[160:161], v[4:5], v[6:7]
	s_waitcnt vmcnt(0) lgkmcnt(0)
	v_mul_f32_e32 v12, v129, v21
	v_mul_f32_e32 v13, v129, v20
	;; [unrolled: 1-line block ×4, first 2 shown]
	v_fmac_f32_e32 v12, v128, v20
	v_fma_f32 v13, v128, v21, -v13
	v_fmac_f32_e32 v14, v130, v20
	v_fma_f32 v15, v130, v21, -v15
	ds_write2_b64 v146, v[12:13], v[14:15] offset1:67
	v_mul_f32_e32 v12, v133, v21
	v_mul_f32_e32 v13, v133, v20
	;; [unrolled: 1-line block ×4, first 2 shown]
	v_fmac_f32_e32 v12, v132, v20
	v_fma_f32 v13, v132, v21, -v13
	v_fmac_f32_e32 v14, v134, v20
	v_fma_f32 v15, v134, v21, -v15
	ds_write2_b64 v146, v[12:13], v[14:15] offset0:134 offset1:201
	ds_read_b128 v[16:19], v145 offset:384
	ds_read_b128 v[12:15], v145 offset:400
	s_waitcnt lgkmcnt(0)
	s_barrier
	ds_read2_b64 v[20:23], v141 offset1:1
	ds_read2_b64 v[4:7], v141 offset0:2 offset1:3
	v_pk_add_f32 v[0:1], v[160:161], v[0:1]
	s_or_b64 s[4:5], s[16:17], vcc
	v_pk_add_f32 v[0:1], v[0:1], v[2:3]
	s_waitcnt lgkmcnt(1)
	v_pk_add_f32 v[2:3], v[20:21], 0 op_sel_hi:[1,0]
	s_and_b64 s[16:17], s[0:1], s[4:5]
	v_pk_add_f32 v[2:3], v[2:3], v[22:23]
	s_waitcnt lgkmcnt(0)
	v_pk_add_f32 v[2:3], v[2:3], v[4:5]
	s_barrier
	v_pk_add_f32 v[2:3], v[2:3], v[6:7]
	ds_write2_b64 v159, v[0:1], v[26:27] offset1:16
	ds_write2_b64 v159, v[24:25], v[2:3] offset0:32 offset1:48
	s_waitcnt lgkmcnt(0)
	s_barrier
	s_and_saveexec_b64 s[4:5], s[16:17]
	s_cbranch_execz .LBB38_128
; %bb.183:                              ;   in Loop: Header=BB38_129 Depth=1
	ds_read_b64 v[20:21], v139
	ds_read2_b64 v[0:3], v139 offset0:1 offset1:2
	ds_read2_b64 v[4:7], v139 offset0:3 offset1:4
	v_ashrrev_i32_e32 v37, 31, v36
	v_lshl_add_u64 v[24:25], v[36:37], 3, s[6:7]
	s_waitcnt lgkmcnt(1)
	v_add_f32_e32 v0, v0, v20
	v_add_f32_e32 v1, v1, v21
	;; [unrolled: 1-line block ×4, first 2 shown]
	ds_read2_b64 v[0:3], v139 offset0:5 offset1:6
	s_waitcnt lgkmcnt(1)
	v_add_f32_e32 v4, v20, v4
	v_add_f32_e32 v5, v21, v5
	;; [unrolled: 1-line block ×4, first 2 shown]
	ds_read2_b64 v[4:7], v139 offset0:7 offset1:8
	s_waitcnt lgkmcnt(1)
	v_pk_add_f32 v[0:1], v[20:21], v[0:1]
	ds_read2_b64 v[20:23], v139 offset0:9 offset1:10
	v_pk_add_f32 v[0:1], v[0:1], v[2:3]
	s_waitcnt lgkmcnt(1)
	v_pk_add_f32 v[0:1], v[0:1], v[4:5]
	s_nop 0
	v_pk_add_f32 v[4:5], v[0:1], v[6:7]
	ds_read2_b64 v[0:3], v139 offset0:11 offset1:12
	s_waitcnt lgkmcnt(1)
	v_pk_add_f32 v[20:21], v[4:5], v[20:21]
	ds_read2_b64 v[4:7], v139 offset0:13 offset1:14
	v_pk_add_f32 v[20:21], v[20:21], v[22:23]
	ds_read_b64 v[22:23], v140
	s_waitcnt lgkmcnt(2)
	v_pk_add_f32 v[0:1], v[20:21], v[0:1]
	s_nop 0
	v_pk_add_f32 v[0:1], v[0:1], v[2:3]
	s_waitcnt lgkmcnt(1)
	v_pk_add_f32 v[0:1], v[0:1], v[4:5]
	s_nop 0
	v_pk_add_f32 v[0:1], v[0:1], v[6:7]
	s_waitcnt lgkmcnt(0)
	v_pk_add_f32 v[0:1], v[0:1], v[22:23]
	global_store_dwordx2 v[24:25], v[0:1], off
	s_branch .LBB38_128
.LBB38_184:
	s_movk_i32 s0, 0x218
	v_cmp_gt_i32_e32 vcc, s18, v30
	v_mad_u32_u24 v0, v29, s0, v31
	s_or_b64 s[0:1], s[20:21], vcc
	s_and_b64 s[0:1], s[14:15], s[0:1]
	ds_write_b64 v0, v[32:33]
	s_waitcnt lgkmcnt(0)
	s_barrier
	s_and_saveexec_b64 s[2:3], s[0:1]
	s_cbranch_execz .LBB38_186
; %bb.185:
	ds_read2_b64 v[0:3], v31 offset1:67
	ds_read2_b64 v[4:7], v31 offset0:134 offset1:201
	v_ashrrev_i32_e32 v29, 31, v28
	v_lshl_add_u64 v[8:9], v[28:29], 3, s[6:7]
	s_waitcnt lgkmcnt(1)
	v_pk_add_f32 v[0:1], v[2:3], v[0:1]
	s_waitcnt lgkmcnt(0)
	v_pk_add_f32 v[0:1], v[0:1], v[4:5]
	s_nop 0
	v_pk_add_f32 v[0:1], v[0:1], v[6:7]
	global_store_dwordx2 v[8:9], v[0:1], off
.LBB38_186:
	s_endpgm
	.section	.rodata,"a",@progbits
	.p2align	6, 0x0
	.amdhsa_kernel _ZL26rocblas_hemvn_kernel_upperILb1ELi64ELi4ELi33ELi32ELi16Ei19rocblas_complex_numIfEPKPKS1_PS1_EviT6_lT7_lT5_lS8_lS9_lS7_lT8_i
		.amdhsa_group_segment_fixed_size 9600
		.amdhsa_private_segment_fixed_size 0
		.amdhsa_kernarg_size 376
		.amdhsa_user_sgpr_count 2
		.amdhsa_user_sgpr_dispatch_ptr 0
		.amdhsa_user_sgpr_queue_ptr 0
		.amdhsa_user_sgpr_kernarg_segment_ptr 1
		.amdhsa_user_sgpr_dispatch_id 0
		.amdhsa_user_sgpr_kernarg_preload_length 0
		.amdhsa_user_sgpr_kernarg_preload_offset 0
		.amdhsa_user_sgpr_private_segment_size 0
		.amdhsa_uses_dynamic_stack 0
		.amdhsa_enable_private_segment 0
		.amdhsa_system_sgpr_workgroup_id_x 1
		.amdhsa_system_sgpr_workgroup_id_y 0
		.amdhsa_system_sgpr_workgroup_id_z 1
		.amdhsa_system_sgpr_workgroup_info 0
		.amdhsa_system_vgpr_workitem_id 1
		.amdhsa_next_free_vgpr 162
		.amdhsa_next_free_sgpr 46
		.amdhsa_accum_offset 164
		.amdhsa_reserve_vcc 1
		.amdhsa_float_round_mode_32 0
		.amdhsa_float_round_mode_16_64 0
		.amdhsa_float_denorm_mode_32 3
		.amdhsa_float_denorm_mode_16_64 3
		.amdhsa_dx10_clamp 1
		.amdhsa_ieee_mode 1
		.amdhsa_fp16_overflow 0
		.amdhsa_tg_split 0
		.amdhsa_exception_fp_ieee_invalid_op 0
		.amdhsa_exception_fp_denorm_src 0
		.amdhsa_exception_fp_ieee_div_zero 0
		.amdhsa_exception_fp_ieee_overflow 0
		.amdhsa_exception_fp_ieee_underflow 0
		.amdhsa_exception_fp_ieee_inexact 0
		.amdhsa_exception_int_div_zero 0
	.end_amdhsa_kernel
	.section	.text._ZL26rocblas_hemvn_kernel_upperILb1ELi64ELi4ELi33ELi32ELi16Ei19rocblas_complex_numIfEPKPKS1_PS1_EviT6_lT7_lT5_lS8_lS9_lS7_lT8_i,"axG",@progbits,_ZL26rocblas_hemvn_kernel_upperILb1ELi64ELi4ELi33ELi32ELi16Ei19rocblas_complex_numIfEPKPKS1_PS1_EviT6_lT7_lT5_lS8_lS9_lS7_lT8_i,comdat
.Lfunc_end38:
	.size	_ZL26rocblas_hemvn_kernel_upperILb1ELi64ELi4ELi33ELi32ELi16Ei19rocblas_complex_numIfEPKPKS1_PS1_EviT6_lT7_lT5_lS8_lS9_lS7_lT8_i, .Lfunc_end38-_ZL26rocblas_hemvn_kernel_upperILb1ELi64ELi4ELi33ELi32ELi16Ei19rocblas_complex_numIfEPKPKS1_PS1_EviT6_lT7_lT5_lS8_lS9_lS7_lT8_i
                                        ; -- End function
	.section	.AMDGPU.csdata,"",@progbits
; Kernel info:
; codeLenInByte = 8928
; NumSgprs: 52
; NumVgprs: 162
; NumAgprs: 0
; TotalNumVgprs: 162
; ScratchSize: 0
; MemoryBound: 1
; FloatMode: 240
; IeeeMode: 1
; LDSByteSize: 9600 bytes/workgroup (compile time only)
; SGPRBlocks: 6
; VGPRBlocks: 20
; NumSGPRsForWavesPerEU: 52
; NumVGPRsForWavesPerEU: 162
; AccumOffset: 164
; Occupancy: 3
; WaveLimiterHint : 1
; COMPUTE_PGM_RSRC2:SCRATCH_EN: 0
; COMPUTE_PGM_RSRC2:USER_SGPR: 2
; COMPUTE_PGM_RSRC2:TRAP_HANDLER: 0
; COMPUTE_PGM_RSRC2:TGID_X_EN: 1
; COMPUTE_PGM_RSRC2:TGID_Y_EN: 0
; COMPUTE_PGM_RSRC2:TGID_Z_EN: 1
; COMPUTE_PGM_RSRC2:TIDIG_COMP_CNT: 1
; COMPUTE_PGM_RSRC3_GFX90A:ACCUM_OFFSET: 40
; COMPUTE_PGM_RSRC3_GFX90A:TG_SPLIT: 0
	.section	.text._ZL36rocblas_hemvn_kernel_upper_block_sumILi64Ei19rocblas_complex_numIfEPKPS1_S1_EviT1_lS5_lT2_lT0_lPT3_i,"axG",@progbits,_ZL36rocblas_hemvn_kernel_upper_block_sumILi64Ei19rocblas_complex_numIfEPKPS1_S1_EviT1_lS5_lT2_lT0_lPT3_i,comdat
	.globl	_ZL36rocblas_hemvn_kernel_upper_block_sumILi64Ei19rocblas_complex_numIfEPKPS1_S1_EviT1_lS5_lT2_lT0_lPT3_i ; -- Begin function _ZL36rocblas_hemvn_kernel_upper_block_sumILi64Ei19rocblas_complex_numIfEPKPS1_S1_EviT1_lS5_lT2_lT0_lPT3_i
	.p2align	8
	.type	_ZL36rocblas_hemvn_kernel_upper_block_sumILi64Ei19rocblas_complex_numIfEPKPS1_S1_EviT1_lS5_lT2_lT0_lPT3_i,@function
_ZL36rocblas_hemvn_kernel_upper_block_sumILi64Ei19rocblas_complex_numIfEPKPS1_S1_EviT1_lS5_lT2_lT0_lPT3_i: ; @_ZL36rocblas_hemvn_kernel_upper_block_sumILi64Ei19rocblas_complex_numIfEPKPS1_S1_EviT1_lS5_lT2_lT0_lPT3_i
; %bb.0:
	s_load_dwordx4 s[8:11], s[0:1], 0x0
	s_load_dwordx2 s[6:7], s[0:1], 0x18
	s_mov_b32 s14, s3
	s_mov_b32 s15, 0
	s_waitcnt lgkmcnt(0)
	s_or_b32 s3, s9, s10
	s_bitset0_b32 s3, 31
	s_mov_b32 s13, s10
	s_cmp_eq_u32 s3, 0
	v_cmp_eq_f32_e64 s[10:11], s6, 1.0
	v_cmp_eq_f32_e64 s[16:17], s7, 0
	s_cselect_b64 s[4:5], -1, 0
	s_and_b64 s[10:11], s[10:11], s[16:17]
	s_and_b64 s[10:11], s[4:5], s[10:11]
	s_and_b64 vcc, exec, s[10:11]
	s_cbranch_vccnz .LBB39_17
; %bb.1:
	s_load_dwordx4 s[16:19], s[0:1], 0x28
	s_load_dword s3, s[0:1], 0x38
	s_lshl_b64 s[10:11], s[14:15], 3
	v_lshl_or_b32 v0, s2, 6, v0
	s_mov_b32 s12, s9
	s_waitcnt lgkmcnt(0)
	s_add_u32 s10, s16, s10
	s_addc_u32 s11, s17, s11
	s_load_dwordx2 s[10:11], s[10:11], 0x0
	s_lshl_b64 s[18:19], s[18:19], 3
	s_mov_b64 s[16:17], -1
	s_waitcnt lgkmcnt(0)
	s_add_u32 s10, s10, s18
	s_addc_u32 s11, s11, s19
	s_andn2_b64 vcc, exec, s[4:5]
	v_cmp_gt_i32_e64 s[4:5], s8, v0
	s_cbranch_vccnz .LBB39_7
; %bb.2:
	s_and_saveexec_b64 s[16:17], s[4:5]
	s_cbranch_execz .LBB39_6
; %bb.3:
	v_cmp_neq_f32_e64 s[4:5], s6, 0
	v_cmp_neq_f32_e64 s[18:19], s7, 0
	v_mul_lo_u32 v2, v0, s3
	v_ashrrev_i32_e32 v3, 31, v2
	s_or_b64 s[4:5], s[4:5], s[18:19]
	s_andn2_b64 vcc, exec, s[4:5]
	v_mov_b32_e32 v4, 0
	v_lshl_add_u64 v[2:3], v[2:3], 3, s[10:11]
	v_mov_b32_e32 v5, 0
	s_cbranch_vccnz .LBB39_5
; %bb.4:
	global_load_dwordx2 v[6:7], v[2:3], off
	s_waitcnt vmcnt(0)
	v_pk_mul_f32 v[8:9], v[6:7], s[6:7] op_sel:[1,0]
	s_nop 0
	v_pk_fma_f32 v[4:5], v[6:7], s[6:7], v[8:9] op_sel:[0,0,1] op_sel_hi:[1,1,0] neg_lo:[0,0,1] neg_hi:[0,0,1]
	v_pk_fma_f32 v[6:7], v[6:7], s[6:7], v[8:9] op_sel:[0,0,1] op_sel_hi:[0,1,0]
	v_mov_b32_e32 v5, v7
.LBB39_5:
	global_store_dwordx2 v[2:3], v[4:5], off
.LBB39_6:
	s_or_b64 exec, exec, s[16:17]
	s_mov_b64 s[16:17], 0
.LBB39_7:
	s_andn2_b64 vcc, exec, s[16:17]
	s_cbranch_vccnz .LBB39_17
; %bb.8:
	v_cmp_gt_i32_e32 vcc, s8, v0
	s_and_saveexec_b64 s[4:5], vcc
	s_cbranch_execz .LBB39_17
; %bb.9:
	v_mov_b32_e32 v3, 0
	s_cmp_lt_i32 s2, 0
	v_mov_b32_e32 v2, v3
	s_cbranch_scc1 .LBB39_12
; %bb.10:
	s_load_dwordx2 s[4:5], s[0:1], 0x48
	s_load_dword s15, s[0:1], 0x58
	s_ashr_i32 s9, s8, 31
	s_mul_hi_u32 s0, s8, s14
	s_mul_i32 s1, s9, s14
	s_add_i32 s0, s0, s1
	s_mul_i32 s14, s8, s14
	s_waitcnt lgkmcnt(0)
	s_mul_i32 s0, s0, s15
	s_mul_hi_u32 s1, s14, s15
	s_add_i32 s1, s1, s0
	s_mul_i32 s0, s14, s15
	s_lshl_b64 s[0:1], s[0:1], 3
	s_add_u32 s0, s4, s0
	s_addc_u32 s1, s5, s1
	v_mov_b32_e32 v1, 0
	v_lshl_add_u64 v[4:5], v[0:1], 3, s[0:1]
	s_add_i32 s2, s2, 1
	s_lshl_b64 s[0:1], s[8:9], 3
	v_mov_b32_e32 v2, v1
	v_mov_b32_e32 v3, v1
.LBB39_11:                              ; =>This Inner Loop Header: Depth=1
	global_load_dwordx2 v[6:7], v[4:5], off
	s_add_i32 s2, s2, -1
	v_lshl_add_u64 v[4:5], v[4:5], 0, s[0:1]
	s_cmp_eq_u32 s2, 0
	s_waitcnt vmcnt(0)
	v_pk_add_f32 v[2:3], v[2:3], v[6:7]
	s_cbranch_scc0 .LBB39_11
.LBB39_12:
	v_cmp_neq_f32_e64 s[0:1], s6, 0
	v_cmp_neq_f32_e64 s[4:5], s7, 0
	s_or_b64 s[0:1], s[0:1], s[4:5]
	v_pk_mul_f32 v[6:7], v[2:3], s[12:13] op_sel:[1,0]
	v_mul_lo_u32 v4, v0, s3
	s_andn2_b64 vcc, exec, s[0:1]
	v_pk_fma_f32 v[0:1], v[2:3], s[12:13], v[6:7] op_sel:[0,0,1] op_sel_hi:[0,1,0]
	v_ashrrev_i32_e32 v5, 31, v4
	s_cbranch_vccz .LBB39_14
; %bb.13:
	v_pk_mul_f32 v[8:9], v[2:3], s[12:13] op_sel_hi:[0,1]
	v_sub_f32_e32 v0, v8, v7
	s_cbranch_execz .LBB39_15
	s_branch .LBB39_16
.LBB39_14:
.LBB39_15:
	v_lshl_add_u64 v[8:9], v[4:5], 3, s[10:11]
	global_load_dwordx2 v[8:9], v[8:9], off
	v_pk_fma_f32 v[2:3], v[2:3], s[12:13], v[6:7] op_sel:[0,0,1] op_sel_hi:[1,1,0] neg_lo:[0,0,1] neg_hi:[0,0,1]
	s_waitcnt vmcnt(0)
	v_pk_mul_f32 v[6:7], v[8:9], s[6:7] op_sel:[1,0]
	s_nop 0
	v_pk_fma_f32 v[10:11], v[8:9], s[6:7], v[6:7] op_sel:[0,0,1] op_sel_hi:[1,1,0] neg_lo:[0,0,1] neg_hi:[0,0,1]
	v_pk_fma_f32 v[6:7], v[8:9], s[6:7], v[6:7] op_sel:[0,0,1] op_sel_hi:[0,1,0]
	v_mov_b32_e32 v11, v7
	v_mov_b32_e32 v3, v1
	v_pk_add_f32 v[0:1], v[2:3], v[10:11]
.LBB39_16:
	v_lshl_add_u64 v[2:3], v[4:5], 3, s[10:11]
	global_store_dwordx2 v[2:3], v[0:1], off
.LBB39_17:
	s_endpgm
	.section	.rodata,"a",@progbits
	.p2align	6, 0x0
	.amdhsa_kernel _ZL36rocblas_hemvn_kernel_upper_block_sumILi64Ei19rocblas_complex_numIfEPKPS1_S1_EviT1_lS5_lT2_lT0_lPT3_i
		.amdhsa_group_segment_fixed_size 0
		.amdhsa_private_segment_fixed_size 0
		.amdhsa_kernarg_size 344
		.amdhsa_user_sgpr_count 2
		.amdhsa_user_sgpr_dispatch_ptr 0
		.amdhsa_user_sgpr_queue_ptr 0
		.amdhsa_user_sgpr_kernarg_segment_ptr 1
		.amdhsa_user_sgpr_dispatch_id 0
		.amdhsa_user_sgpr_kernarg_preload_length 0
		.amdhsa_user_sgpr_kernarg_preload_offset 0
		.amdhsa_user_sgpr_private_segment_size 0
		.amdhsa_uses_dynamic_stack 0
		.amdhsa_enable_private_segment 0
		.amdhsa_system_sgpr_workgroup_id_x 1
		.amdhsa_system_sgpr_workgroup_id_y 0
		.amdhsa_system_sgpr_workgroup_id_z 1
		.amdhsa_system_sgpr_workgroup_info 0
		.amdhsa_system_vgpr_workitem_id 0
		.amdhsa_next_free_vgpr 12
		.amdhsa_next_free_sgpr 20
		.amdhsa_accum_offset 12
		.amdhsa_reserve_vcc 1
		.amdhsa_float_round_mode_32 0
		.amdhsa_float_round_mode_16_64 0
		.amdhsa_float_denorm_mode_32 3
		.amdhsa_float_denorm_mode_16_64 3
		.amdhsa_dx10_clamp 1
		.amdhsa_ieee_mode 1
		.amdhsa_fp16_overflow 0
		.amdhsa_tg_split 0
		.amdhsa_exception_fp_ieee_invalid_op 0
		.amdhsa_exception_fp_denorm_src 0
		.amdhsa_exception_fp_ieee_div_zero 0
		.amdhsa_exception_fp_ieee_overflow 0
		.amdhsa_exception_fp_ieee_underflow 0
		.amdhsa_exception_fp_ieee_inexact 0
		.amdhsa_exception_int_div_zero 0
	.end_amdhsa_kernel
	.section	.text._ZL36rocblas_hemvn_kernel_upper_block_sumILi64Ei19rocblas_complex_numIfEPKPS1_S1_EviT1_lS5_lT2_lT0_lPT3_i,"axG",@progbits,_ZL36rocblas_hemvn_kernel_upper_block_sumILi64Ei19rocblas_complex_numIfEPKPS1_S1_EviT1_lS5_lT2_lT0_lPT3_i,comdat
.Lfunc_end39:
	.size	_ZL36rocblas_hemvn_kernel_upper_block_sumILi64Ei19rocblas_complex_numIfEPKPS1_S1_EviT1_lS5_lT2_lT0_lPT3_i, .Lfunc_end39-_ZL36rocblas_hemvn_kernel_upper_block_sumILi64Ei19rocblas_complex_numIfEPKPS1_S1_EviT1_lS5_lT2_lT0_lPT3_i
                                        ; -- End function
	.section	.AMDGPU.csdata,"",@progbits
; Kernel info:
; codeLenInByte = 632
; NumSgprs: 26
; NumVgprs: 12
; NumAgprs: 0
; TotalNumVgprs: 12
; ScratchSize: 0
; MemoryBound: 0
; FloatMode: 240
; IeeeMode: 1
; LDSByteSize: 0 bytes/workgroup (compile time only)
; SGPRBlocks: 3
; VGPRBlocks: 1
; NumSGPRsForWavesPerEU: 26
; NumVGPRsForWavesPerEU: 12
; AccumOffset: 12
; Occupancy: 8
; WaveLimiterHint : 1
; COMPUTE_PGM_RSRC2:SCRATCH_EN: 0
; COMPUTE_PGM_RSRC2:USER_SGPR: 2
; COMPUTE_PGM_RSRC2:TRAP_HANDLER: 0
; COMPUTE_PGM_RSRC2:TGID_X_EN: 1
; COMPUTE_PGM_RSRC2:TGID_Y_EN: 0
; COMPUTE_PGM_RSRC2:TGID_Z_EN: 1
; COMPUTE_PGM_RSRC2:TIDIG_COMP_CNT: 0
; COMPUTE_PGM_RSRC3_GFX90A:ACCUM_OFFSET: 2
; COMPUTE_PGM_RSRC3_GFX90A:TG_SPLIT: 0
	.section	.text._ZL26rocblas_hemvn_kernel_lowerILb1ELi64ELi4ELi33ELi32ELi16ElPK19rocblas_complex_numIfEPKS3_PS1_EviT6_lT7_lT5_lS8_lS9_lS7_lT8_i,"axG",@progbits,_ZL26rocblas_hemvn_kernel_lowerILb1ELi64ELi4ELi33ELi32ELi16ElPK19rocblas_complex_numIfEPKS3_PS1_EviT6_lT7_lT5_lS8_lS9_lS7_lT8_i,comdat
	.globl	_ZL26rocblas_hemvn_kernel_lowerILb1ELi64ELi4ELi33ELi32ELi16ElPK19rocblas_complex_numIfEPKS3_PS1_EviT6_lT7_lT5_lS8_lS9_lS7_lT8_i ; -- Begin function _ZL26rocblas_hemvn_kernel_lowerILb1ELi64ELi4ELi33ELi32ELi16ElPK19rocblas_complex_numIfEPKS3_PS1_EviT6_lT7_lT5_lS8_lS9_lS7_lT8_i
	.p2align	8
	.type	_ZL26rocblas_hemvn_kernel_lowerILb1ELi64ELi4ELi33ELi32ELi16ElPK19rocblas_complex_numIfEPKS3_PS1_EviT6_lT7_lT5_lS8_lS9_lS7_lT8_i,@function
_ZL26rocblas_hemvn_kernel_lowerILb1ELi64ELi4ELi33ELi32ELi16ElPK19rocblas_complex_numIfEPKS3_PS1_EviT6_lT7_lT5_lS8_lS9_lS7_lT8_i: ; @_ZL26rocblas_hemvn_kernel_lowerILb1ELi64ELi4ELi33ELi32ELi16ElPK19rocblas_complex_numIfEPKS3_PS1_EviT6_lT7_lT5_lS8_lS9_lS7_lT8_i
; %bb.0:
	s_load_dwordx2 s[4:5], s[0:1], 0x84
	s_add_u32 s12, s0, 0x78
	s_mov_b32 s26, s3
	s_addc_u32 s13, s1, 0
	s_waitcnt lgkmcnt(0)
	s_and_b32 s3, s5, 0xffff
	s_lshr_b32 s5, s4, 16
	s_and_b32 s4, s4, 0xffff
	s_mul_i32 s4, s5, s4
	s_mul_i32 s4, s4, s3
	s_cmpk_lg_i32 s4, 0x100
	s_cbranch_scc1 .LBB40_135
; %bb.1:
	s_load_dwordx8 s[4:11], s[0:1], 0x8
	s_mov_b32 s27, 0
	s_waitcnt lgkmcnt(0)
	s_mul_i32 s3, s26, s7
	s_mul_hi_u32 s7, s26, s6
	s_add_i32 s7, s7, s3
	s_mul_i32 s6, s26, s6
	s_lshl_b64 s[6:7], s[6:7], 3
	s_add_u32 s14, s4, s6
	s_addc_u32 s15, s5, s7
	s_load_dwordx2 s[16:17], s[14:15], 0x0
	s_load_dwordx2 s[28:29], s[0:1], 0x68
	;; [unrolled: 1-line block ×3, first 2 shown]
	s_load_dwordx4 s[4:7], s[0:1], 0x58
	s_waitcnt lgkmcnt(0)
	s_or_b32 s3, s16, s17
	s_bitset0_b32 s3, 31
	s_cmp_lg_u32 s3, 0
	s_cselect_b64 s[14:15], -1, 0
	s_and_b64 vcc, exec, s[14:15]
	s_cbranch_vccnz .LBB40_4
; %bb.2:
	s_mul_i32 s3, s26, s7
	s_mul_hi_u32 s7, s26, s6
	s_add_i32 s7, s7, s3
	s_mul_i32 s6, s26, s6
	s_lshl_b64 s[6:7], s[6:7], 3
	s_add_u32 s4, s4, s6
	s_addc_u32 s5, s5, s7
	s_load_dwordx2 s[4:5], s[4:5], 0x0
	s_mov_b64 s[16:17], 0
	s_waitcnt lgkmcnt(0)
	v_cmp_eq_f32_e64 s[6:7], s4, 1.0
	v_cmp_eq_f32_e64 s[4:5], s5, 0
	s_and_b64 s[4:5], s[6:7], s[4:5]
	s_andn2_b64 vcc, exec, s[4:5]
	s_mov_b64 s[4:5], 0
                                        ; implicit-def: $sgpr6_sgpr7
	s_cbranch_vccz .LBB40_5
; %bb.3:
	s_mov_b64 s[4:5], -1
	s_mov_b64 s[6:7], 0
	s_branch .LBB40_5
.LBB40_4:
	s_mov_b64 s[16:17], -1
	s_mov_b64 s[4:5], 0
                                        ; implicit-def: $sgpr6_sgpr7
.LBB40_5:
	s_and_b64 vcc, exec, s[16:17]
	s_cbranch_vccz .LBB40_7
; %bb.6:
	s_lshl_b64 s[4:5], s[26:27], 3
	s_add_u32 s4, s8, s4
	s_addc_u32 s5, s9, s5
	s_load_dwordx2 s[4:5], s[4:5], 0x0
	s_lshl_b64 s[6:7], s[10:11], 3
	s_waitcnt lgkmcnt(0)
	s_add_u32 s6, s4, s6
	s_addc_u32 s7, s5, s7
	s_mov_b64 s[4:5], -1
.LBB40_7:
	s_andn2_b64 vcc, exec, s[4:5]
	s_cbranch_vccnz .LBB40_135
; %bb.8:
	s_load_dwordx4 s[8:11], s[0:1], 0x38
	s_load_dwordx2 s[20:21], s[0:1], 0x48
	v_cndmask_b32_e64 v1, 0, 1, s[14:15]
	v_cmp_ne_u32_e64 s[4:5], 1, v1
	s_andn2_b64 vcc, exec, s[14:15]
	s_mov_b64 s[14:15], 0
	s_cbranch_vccnz .LBB40_10
; %bb.9:
	s_lshl_b64 s[14:15], s[26:27], 3
	s_waitcnt lgkmcnt(0)
	s_add_u32 s8, s8, s14
	s_addc_u32 s9, s9, s15
	s_load_dwordx2 s[8:9], s[8:9], 0x0
	s_lshl_b64 s[10:11], s[10:11], 3
	s_waitcnt lgkmcnt(0)
	s_add_u32 s14, s8, s10
	s_addc_u32 s15, s9, s11
.LBB40_10:
	s_and_b64 vcc, exec, s[4:5]
	s_cbranch_vccnz .LBB40_135
; %bb.11:
	s_load_dword s27, s[12:13], 0x0
	s_load_dword s3, s[0:1], 0x0
	v_and_b32_e32 v26, 0x3ff, v0
	s_lshl_b32 s34, s2, 6
	v_add_u32_e32 v16, s34, v26
	s_waitcnt lgkmcnt(0)
	s_add_i32 s0, s27, -1
	s_ashr_i32 s33, s3, 31
	s_lshr_b32 s1, s33, 26
	s_add_i32 s1, s3, s1
	s_andn2_b32 s1, s1, 63
	s_sub_i32 s1, s3, s1
	s_cmp_eq_u32 s2, s0
	v_ashrrev_i32_e32 v17, 31, v16
	v_bfe_u32 v76, v0, 10, 10
	s_cselect_b32 s30, s1, 0
	v_mul_lo_u32 v2, v17, s20
	v_mul_lo_u32 v3, v16, s21
	v_mad_u64_u32 v[0:1], s[0:1], v16, s20, 0
	v_add3_u32 v1, v1, v3, v2
	v_lshl_add_u64 v[20:21], v[0:1], 3, s[14:15]
	v_cmp_ne_u32_e64 s[0:1], 0, v76
	v_cmp_eq_u32_e64 s[16:17], 0, v76
	s_and_saveexec_b64 s[4:5], s[16:17]
	s_cbranch_execz .LBB40_16
; %bb.12:
	s_cmp_lg_u32 s30, 0
	s_cselect_b64 s[8:9], -1, 0
	v_cmp_le_i32_e32 vcc, s30, v26
	v_mov_b32_e32 v0, 0x2380
	s_and_b64 s[8:9], s[8:9], vcc
	v_lshl_add_u32 v0, v26, 3, v0
	s_and_saveexec_b64 s[10:11], s[8:9]
	s_xor_b64 s[8:9], exec, s[10:11]
	s_cbranch_execz .LBB40_14
; %bb.13:
	v_mov_b32_e32 v2, 0
	v_mov_b32_e32 v3, v2
	ds_write_b64 v0, v[2:3]
                                        ; implicit-def: $vgpr0
.LBB40_14:
	s_andn2_saveexec_b64 s[8:9], s[8:9]
	s_cbranch_execz .LBB40_16
; %bb.15:
	flat_load_dwordx2 v[2:3], v[20:21]
	s_waitcnt vmcnt(0) lgkmcnt(0)
	ds_write_b64 v0, v[2:3]
.LBB40_16:
	s_or_b64 exec, exec, s[4:5]
	s_ashr_i32 s35, s34, 31
	v_lshl_add_u32 v27, v76, 6, v26
	s_lshl_b64 s[4:5], s[34:35], 3
	v_and_b32_e32 v0, 31, v26
	v_lshrrev_b32_e32 v10, 5, v27
	s_add_u32 s6, s6, s4
	v_mov_b32_e32 v1, 0
	s_addc_u32 s7, s7, s5
	v_mad_u64_u32 v[22:23], s[4:5], v10, s22, v[0:1]
	v_mov_b32_e32 v2, v23
	v_mad_u64_u32 v[2:3], s[4:5], v10, s23, v[2:3]
	s_mul_i32 s4, s34, s23
	s_mul_hi_u32 s5, s34, s22
	s_add_i32 s4, s5, s4
	s_mul_i32 s5, s35, s22
	s_add_i32 s5, s4, s5
	s_mul_i32 s4, s34, s22
	s_lshl_b64 s[36:37], s[4:5], 3
	s_add_u32 s4, s36, s6
	s_addc_u32 s5, s37, s7
	s_cmp_lg_u32 s30, 0
	v_mov_b32_e32 v23, v2
	s_cselect_b64 s[38:39], -1, 0
	s_cmp_eq_u32 s30, 0
	v_lshl_add_u64 v[2:3], v[22:23], 3, s[4:5]
	s_cselect_b64 s[18:19], -1, 0
	s_and_b64 vcc, exec, s[38:39]
	s_cbranch_vccnz .LBB40_18
; %bb.17:
	flat_load_dwordx2 v[4:5], v[2:3]
	v_mul_u32_u24_e32 v1, 33, v10
	s_lshl_b64 s[4:5], s[22:23], 6
	v_add_lshl_u32 v1, v1, v0, 3
	v_lshl_add_u64 v[6:7], v[2:3], 0, s[4:5]
	s_mul_i32 s6, s23, 0xc0
	s_waitcnt vmcnt(0) lgkmcnt(0)
	ds_write_b64 v1, v[4:5]
	flat_load_dwordx2 v[4:5], v[6:7]
	v_lshl_add_u64 v[6:7], v[6:7], 0, s[4:5]
	s_waitcnt vmcnt(0) lgkmcnt(0)
	ds_write_b64 v1, v[4:5] offset:2112
	flat_load_dwordx2 v[4:5], v[6:7]
	v_mov_b32_e32 v6, 0xc0
	v_mad_u64_u32 v[6:7], s[4:5], s22, v6, v[2:3]
	v_add_u32_e32 v7, s6, v7
	s_waitcnt vmcnt(0) lgkmcnt(0)
	ds_write_b64 v1, v[4:5] offset:4224
	flat_load_dwordx2 v[4:5], v[6:7]
	s_waitcnt vmcnt(0) lgkmcnt(0)
	ds_write_b64 v1, v[4:5] offset:6336
	s_cbranch_execz .LBB40_19
	s_branch .LBB40_34
.LBB40_18:
.LBB40_19:
	v_lshlrev_b32_e32 v4, 3, v0
	v_sub_co_u32_e32 v6, vcc, v2, v4
	s_ashr_i32 s31, s30, 31
	s_nop 0
	v_subbrev_co_u32_e32 v7, vcc, 0, v3, vcc
	v_lshl_add_u64 v[6:7], s[30:31], 3, v[6:7]
	v_lshl_add_u64 v[6:7], v[6:7], 0, -8
	v_cmp_gt_i32_e32 vcc, s30, v0
	v_mov_b32_e32 v8, 0
	v_cmp_gt_i32_e64 s[4:5], s30, v10
	v_cndmask_b32_e32 v7, v7, v3, vcc
	v_cndmask_b32_e32 v6, v6, v2, vcc
	v_mov_b32_e32 v9, v8
	s_and_saveexec_b64 s[6:7], s[4:5]
	s_cbranch_execz .LBB40_21
; %bb.20:
	flat_load_dwordx2 v[8:9], v[6:7]
.LBB40_21:
	s_or_b64 exec, exec, s[6:7]
	v_mul_u32_u24_e32 v1, 33, v10
	v_add_u32_e32 v5, 8, v10
	v_add_lshl_u32 v1, v1, v0, 3
	v_cmp_le_i32_e64 s[4:5], s30, v5
	s_waitcnt vmcnt(0) lgkmcnt(0)
	ds_write_b64 v1, v[8:9]
	s_and_saveexec_b64 s[6:7], s[4:5]
	s_xor_b64 s[4:5], exec, s[6:7]
	s_cbranch_execz .LBB40_23
; %bb.22:
	v_mul_u32_u24_e32 v5, 33, v5
	v_mov_b32_e32 v8, 0
	v_add_lshl_u32 v5, v5, v0, 3
	v_mov_b32_e32 v9, v8
	ds_write_b64 v5, v[8:9]
.LBB40_23:
	s_andn2_saveexec_b64 s[4:5], s[4:5]
	s_cbranch_execz .LBB40_25
; %bb.24:
	s_lshl_b64 s[6:7], s[22:23], 6
	v_lshl_add_u64 v[8:9], v[6:7], 0, s[6:7]
	flat_load_dwordx2 v[8:9], v[8:9]
	s_waitcnt vmcnt(0) lgkmcnt(0)
	ds_write_b64 v1, v[8:9] offset:2112
.LBB40_25:
	s_or_b64 exec, exec, s[4:5]
	v_add_u32_e32 v5, 16, v10
	v_cmp_le_i32_e64 s[4:5], s30, v5
	s_and_saveexec_b64 s[6:7], s[4:5]
	s_xor_b64 s[4:5], exec, s[6:7]
	s_cbranch_execz .LBB40_27
; %bb.26:
	v_mov_b32_e32 v8, 0
	v_mov_b32_e32 v9, v8
	ds_write_b64 v1, v[8:9] offset:4224
.LBB40_27:
	s_andn2_saveexec_b64 s[4:5], s[4:5]
	s_cbranch_execz .LBB40_29
; %bb.28:
	s_lshl_b64 s[6:7], s[22:23], 7
	v_lshl_add_u64 v[8:9], v[6:7], 0, s[6:7]
	flat_load_dwordx2 v[8:9], v[8:9]
	s_waitcnt vmcnt(0) lgkmcnt(0)
	ds_write_b64 v1, v[8:9] offset:4224
.LBB40_29:
	s_or_b64 exec, exec, s[4:5]
	v_add_u32_e32 v5, 24, v10
	v_cmp_le_i32_e64 s[4:5], s30, v5
	s_and_saveexec_b64 s[6:7], s[4:5]
	s_xor_b64 s[4:5], exec, s[6:7]
	s_cbranch_execz .LBB40_31
; %bb.30:
	v_mov_b32_e32 v8, 0
	v_mov_b32_e32 v9, v8
	ds_write_b64 v1, v[8:9] offset:6336
                                        ; implicit-def: $vgpr1
.LBB40_31:
	s_andn2_saveexec_b64 s[4:5], s[4:5]
	s_cbranch_execz .LBB40_33
; %bb.32:
	v_mov_b32_e32 v5, 0xc0
	v_mad_u64_u32 v[8:9], s[6:7], s22, v5, v[6:7]
	s_mul_i32 s6, s23, 0xc0
	s_nop 0
	v_add_u32_e32 v9, s6, v9
	flat_load_dwordx2 v[8:9], v[8:9]
	s_waitcnt vmcnt(0) lgkmcnt(0)
	ds_write_b64 v1, v[8:9] offset:6336
.LBB40_33:
	s_or_b64 exec, exec, s[4:5]
	v_mov_b32_e32 v5, 0
	v_lshl_add_u64 v[4:5], v[6:7], 0, v[4:5]
	s_lshl_b64 s[4:5], s[30:31], 3
	v_mov_b32_e32 v1, s5
	v_subrev_co_u32_e64 v4, s[4:5], s4, v4
	s_nop 1
	v_subb_co_u32_e64 v5, s[4:5], v5, v1, s[4:5]
	v_lshl_add_u64 v[4:5], v[4:5], 0, 8
	v_cndmask_b32_e32 v3, v5, v3, vcc
	v_cndmask_b32_e32 v2, v4, v2, vcc
.LBB40_34:
	v_lshlrev_b32_e32 v8, 2, v10
	v_cmp_ge_u32_e64 s[6:7], v8, v0
	s_waitcnt lgkmcnt(0)
	s_barrier
	s_and_saveexec_b64 s[4:5], s[6:7]
	s_xor_b64 s[4:5], exec, s[4:5]
	s_cbranch_execz .LBB40_38
; %bb.35:
	v_cmp_eq_u32_e32 vcc, v8, v0
	s_and_saveexec_b64 s[8:9], vcc
	s_cbranch_execz .LBB40_37
; %bb.36:
	v_mul_u32_u24_e32 v1, 34, v0
	v_lshlrev_b32_e32 v1, 3, v1
	v_mov_b32_e32 v4, 0
	ds_write_b32 v1, v4 offset:4
.LBB40_37:
	s_or_b64 exec, exec, s[8:9]
.LBB40_38:
	s_or_saveexec_b64 s[4:5], s[4:5]
	v_mul_u32_u24_e32 v28, 33, v0
	v_add_lshl_u32 v1, v8, v28, 3
	s_xor_b64 exec, exec, s[4:5]
	s_cbranch_execz .LBB40_40
; %bb.39:
	v_mul_u32_u24_e32 v4, 0x84, v10
	v_add_lshl_u32 v4, v4, v0, 3
	ds_read_b64 v[4:5], v4
	s_waitcnt lgkmcnt(0)
	v_xor_b32_e32 v5, 0x80000000, v5
	ds_write_b64 v1, v[4:5]
.LBB40_40:
	s_or_b64 exec, exec, s[4:5]
	v_or_b32_e32 v9, 1, v8
	v_cmp_ge_u32_e64 s[8:9], v9, v0
	s_and_saveexec_b64 s[4:5], s[8:9]
	s_xor_b64 s[4:5], exec, s[4:5]
	s_cbranch_execz .LBB40_44
; %bb.41:
	v_cmp_eq_u32_e32 vcc, v9, v0
	s_and_saveexec_b64 s[10:11], vcc
	s_cbranch_execz .LBB40_43
; %bb.42:
	v_mul_u32_u24_e32 v4, 34, v0
	v_lshlrev_b32_e32 v4, 3, v4
	v_mov_b32_e32 v5, 0
	ds_write_b32 v4, v5 offset:4
.LBB40_43:
	s_or_b64 exec, exec, s[10:11]
.LBB40_44:
	s_or_saveexec_b64 s[4:5], s[4:5]
	v_mul_u32_u24_e32 v4, 33, v9
	s_xor_b64 exec, exec, s[4:5]
	s_cbranch_execz .LBB40_46
; %bb.45:
	v_add_lshl_u32 v5, v4, v0, 3
	ds_read_b64 v[6:7], v5
	s_waitcnt lgkmcnt(0)
	v_xor_b32_e32 v7, 0x80000000, v7
	ds_write_b64 v1, v[6:7] offset:8
.LBB40_46:
	s_or_b64 exec, exec, s[4:5]
	v_or_b32_e32 v11, 2, v8
	v_cmp_ge_u32_e64 s[10:11], v11, v0
	s_and_saveexec_b64 s[4:5], s[10:11]
	s_xor_b64 s[4:5], exec, s[4:5]
	s_cbranch_execz .LBB40_50
; %bb.47:
	v_cmp_eq_u32_e32 vcc, v11, v0
	s_and_saveexec_b64 s[12:13], vcc
	s_cbranch_execz .LBB40_49
; %bb.48:
	v_mul_u32_u24_e32 v5, 34, v0
	v_lshlrev_b32_e32 v5, 3, v5
	v_mov_b32_e32 v6, 0
	ds_write_b32 v5, v6 offset:4
.LBB40_49:
	s_or_b64 exec, exec, s[12:13]
.LBB40_50:
	s_andn2_saveexec_b64 s[4:5], s[4:5]
	s_cbranch_execz .LBB40_52
; %bb.51:
	v_mul_u32_u24_e32 v5, 33, v11
	v_add_lshl_u32 v5, v5, v0, 3
	ds_read_b64 v[6:7], v5
	s_waitcnt lgkmcnt(0)
	v_xor_b32_e32 v7, 0x80000000, v7
	ds_write_b64 v1, v[6:7] offset:16
.LBB40_52:
	s_or_b64 exec, exec, s[4:5]
	v_or_b32_e32 v12, 3, v8
	v_cmp_ge_u32_e64 s[12:13], v12, v0
	s_and_saveexec_b64 s[4:5], s[12:13]
	s_xor_b64 s[4:5], exec, s[4:5]
	s_cbranch_execz .LBB40_56
; %bb.53:
	v_cmp_eq_u32_e32 vcc, v12, v0
	s_and_saveexec_b64 s[14:15], vcc
	s_cbranch_execz .LBB40_55
; %bb.54:
	v_mul_u32_u24_e32 v5, 34, v0
	v_lshlrev_b32_e32 v5, 3, v5
	v_mov_b32_e32 v6, 0
	ds_write_b32 v5, v6 offset:4
.LBB40_55:
	s_or_b64 exec, exec, s[14:15]
.LBB40_56:
	s_andn2_saveexec_b64 s[4:5], s[4:5]
	s_cbranch_execz .LBB40_58
; %bb.57:
	v_mul_u32_u24_e32 v5, 33, v12
	v_add_lshl_u32 v5, v5, v0, 3
	ds_read_b64 v[6:7], v5
	s_waitcnt lgkmcnt(0)
	v_xor_b32_e32 v7, 0x80000000, v7
	ds_write_b64 v1, v[6:7] offset:24
.LBB40_58:
	s_or_b64 exec, exec, s[4:5]
	v_mul_u32_u24_e32 v5, 0x84, v10
	v_lshlrev_b32_e32 v15, 3, v8
	s_waitcnt lgkmcnt(0)
	s_barrier
	v_add_lshl_u32 v14, v5, v0, 3
	v_add_lshl_u32 v13, v4, v0, 3
	ds_read_b128 v[4:7], v15 offset:9088
	ds_read_b64 v[18:19], v14
	ds_read2_b64 v[30:33], v13 offset1:33
	ds_read_b64 v[24:25], v13 offset:528
	ds_read_b128 v[34:37], v15 offset:9104
	s_mov_b32 s14, 0
	s_waitcnt lgkmcnt(3)
	v_pk_mul_f32 v[38:39], v[4:5], v[18:19] op_sel:[0,1]
	s_mov_b32 s15, s14
	v_pk_fma_f32 v[40:41], v[4:5], v[18:19], v[38:39] op_sel:[0,0,1] op_sel_hi:[1,1,0] neg_lo:[0,0,1] neg_hi:[0,0,1]
	v_pk_fma_f32 v[4:5], v[4:5], v[18:19], v[38:39] op_sel:[0,0,1] op_sel_hi:[1,0,0]
	s_waitcnt lgkmcnt(2)
	v_pk_mul_f32 v[18:19], v[6:7], v[30:31] op_sel:[0,1]
	v_mov_b32_e32 v41, v5
	v_pk_fma_f32 v[38:39], v[6:7], v[30:31], v[18:19] op_sel:[0,0,1] op_sel_hi:[1,1,0] neg_lo:[0,0,1] neg_hi:[0,0,1]
	v_pk_fma_f32 v[6:7], v[6:7], v[30:31], v[18:19] op_sel:[0,0,1] op_sel_hi:[1,0,0]
	v_pk_add_f32 v[4:5], v[40:41], 0 op_sel_hi:[1,0]
	v_mov_b32_e32 v39, v7
	s_waitcnt lgkmcnt(0)
	v_pk_mul_f32 v[6:7], v[34:35], v[32:33] op_sel:[0,1]
	v_pk_add_f32 v[4:5], v[4:5], v[38:39]
	v_pk_fma_f32 v[18:19], v[34:35], v[32:33], v[6:7] op_sel:[0,0,1] op_sel_hi:[1,1,0] neg_lo:[0,0,1] neg_hi:[0,0,1]
	v_pk_fma_f32 v[6:7], v[34:35], v[32:33], v[6:7] op_sel:[0,0,1] op_sel_hi:[1,0,0]
	v_add_lshl_u32 v29, v10, v28, 3
	v_mov_b32_e32 v19, v7
	v_pk_mul_f32 v[6:7], v[36:37], v[24:25] op_sel:[0,1]
	v_pk_add_f32 v[4:5], v[4:5], v[18:19]
	v_pk_fma_f32 v[18:19], v[36:37], v[24:25], v[6:7] op_sel:[0,0,1] op_sel_hi:[1,1,0] neg_lo:[0,0,1] neg_hi:[0,0,1]
	v_pk_fma_f32 v[6:7], v[36:37], v[24:25], v[6:7] op_sel:[0,0,1] op_sel_hi:[1,0,0]
	v_cmp_gt_u32_e64 s[4:5], 32, v27
	v_mov_b32_e32 v19, v7
	v_pk_add_f32 v[4:5], v[4:5], v[18:19]
	v_mov_b64_e32 v[18:19], s[14:15]
	s_barrier
	ds_write_b64 v29, v[4:5]
	s_waitcnt lgkmcnt(0)
	s_barrier
	s_and_saveexec_b64 s[14:15], s[4:5]
	s_cbranch_execz .LBB40_60
; %bb.59:
	v_lshlrev_b32_e32 v18, 3, v28
	ds_read2_b64 v[4:7], v18 offset1:7
	ds_read2_b64 v[30:33], v18 offset0:1 offset1:2
	ds_read2_b64 v[34:37], v18 offset0:3 offset1:4
	s_waitcnt lgkmcnt(1)
	v_add_f32_e32 v4, v30, v4
	v_add_f32_e32 v5, v31, v5
	;; [unrolled: 1-line block ×4, first 2 shown]
	ds_read2_b64 v[30:33], v18 offset0:5 offset1:6
	s_waitcnt lgkmcnt(1)
	v_add_f32_e32 v4, v4, v34
	v_add_f32_e32 v5, v5, v35
	;; [unrolled: 1-line block ×4, first 2 shown]
	s_waitcnt lgkmcnt(0)
	v_add_f32_e32 v4, v4, v30
	v_add_f32_e32 v5, v5, v31
	v_add_f32_e32 v4, v4, v32
	v_add_f32_e32 v5, v5, v33
	v_pk_add_f32 v[18:19], v[4:5], v[6:7]
.LBB40_60:
	s_or_b64 exec, exec, s[14:15]
	s_lshl_b64 s[24:25], s[22:23], 8
	v_lshl_add_u64 v[4:5], v[2:3], 0, s[24:25]
	s_mov_b64 s[40:41], 0x100
	v_cndmask_b32_e64 v2, 0, 1, s[18:19]
	v_cmp_ne_u32_e64 s[14:15], 1, v2
	s_andn2_b64 vcc, exec, s[18:19]
	v_lshl_add_u64 v[2:3], v[4:5], 0, s[40:41]
	s_barrier
	s_cbranch_vccnz .LBB40_62
; %bb.61:
	flat_load_dwordx2 v[6:7], v[4:5] offset:256
	v_mul_u32_u24_e32 v24, 33, v10
	s_lshl_b64 s[18:19], s[22:23], 6
	v_add_lshl_u32 v30, v24, v0, 3
	v_lshl_add_u64 v[24:25], v[4:5], 0, s[18:19]
	s_mul_i32 s31, s23, 0xc0
	s_waitcnt vmcnt(0) lgkmcnt(0)
	ds_write_b64 v30, v[6:7]
	flat_load_dwordx2 v[6:7], v[24:25] offset:256
	v_lshl_add_u64 v[24:25], v[24:25], 0, s[18:19]
	s_waitcnt vmcnt(0) lgkmcnt(0)
	ds_write_b64 v30, v[6:7] offset:2112
	flat_load_dwordx2 v[6:7], v[24:25] offset:256
	v_mov_b32_e32 v24, 0xc0
	v_mad_u64_u32 v[4:5], s[18:19], s22, v24, v[4:5]
	v_add_u32_e32 v5, s31, v5
	s_waitcnt vmcnt(0) lgkmcnt(0)
	ds_write_b64 v30, v[6:7] offset:4224
	flat_load_dwordx2 v[4:5], v[4:5] offset:256
	s_waitcnt vmcnt(0) lgkmcnt(0)
	ds_write_b64 v30, v[4:5] offset:6336
	s_cbranch_execz .LBB40_63
	s_branch .LBB40_78
.LBB40_62:
.LBB40_63:
	v_or_b32_e32 v6, 32, v0
	v_lshlrev_b32_e32 v4, 3, v6
	v_sub_co_u32_e32 v4, vcc, v2, v4
	s_ashr_i32 s31, s30, 31
	s_nop 0
	v_subbrev_co_u32_e32 v5, vcc, 0, v3, vcc
	v_lshl_add_u64 v[4:5], s[30:31], 3, v[4:5]
	v_lshl_add_u64 v[4:5], v[4:5], 0, -8
	v_cmp_gt_i32_e32 vcc, s30, v6
	s_sub_i32 s42, s30, 32
	v_mov_b32_e32 v6, 0
	v_cndmask_b32_e32 v5, v5, v3, vcc
	v_cndmask_b32_e32 v4, v4, v2, vcc
	v_cmp_gt_i32_e64 s[18:19], s42, v10
	v_mov_b32_e32 v7, v6
	s_and_saveexec_b64 s[40:41], s[18:19]
	s_cbranch_execz .LBB40_65
; %bb.64:
	flat_load_dwordx2 v[6:7], v[4:5]
.LBB40_65:
	s_or_b64 exec, exec, s[40:41]
	v_mul_u32_u24_e32 v24, 33, v10
	v_add_lshl_u32 v24, v24, v0, 3
	s_waitcnt vmcnt(0) lgkmcnt(0)
	ds_write_b64 v24, v[6:7]
	v_add_u32_e32 v6, 8, v10
	v_cmp_le_i32_e64 s[18:19], s42, v6
	s_and_saveexec_b64 s[40:41], s[18:19]
	s_xor_b64 s[18:19], exec, s[40:41]
	s_cbranch_execz .LBB40_67
; %bb.66:
	v_mul_u32_u24_e32 v6, 33, v6
	v_add_lshl_u32 v25, v6, v0, 3
	v_mov_b32_e32 v6, 0
	v_mov_b32_e32 v7, v6
	ds_write_b64 v25, v[6:7]
.LBB40_67:
	s_andn2_saveexec_b64 s[18:19], s[18:19]
	s_cbranch_execz .LBB40_69
; %bb.68:
	s_lshl_b64 s[40:41], s[22:23], 6
	v_lshl_add_u64 v[6:7], v[4:5], 0, s[40:41]
	flat_load_dwordx2 v[6:7], v[6:7]
	s_waitcnt vmcnt(0) lgkmcnt(0)
	ds_write_b64 v24, v[6:7] offset:2112
.LBB40_69:
	s_or_b64 exec, exec, s[18:19]
	v_add_u32_e32 v6, 16, v10
	v_cmp_le_i32_e64 s[18:19], s42, v6
	s_and_saveexec_b64 s[40:41], s[18:19]
	s_xor_b64 s[18:19], exec, s[40:41]
	s_cbranch_execz .LBB40_71
; %bb.70:
	v_mov_b32_e32 v6, 0
	v_mov_b32_e32 v7, v6
	ds_write_b64 v24, v[6:7] offset:4224
.LBB40_71:
	s_andn2_saveexec_b64 s[18:19], s[18:19]
	s_cbranch_execz .LBB40_73
; %bb.72:
	s_lshl_b64 s[40:41], s[22:23], 7
	v_lshl_add_u64 v[6:7], v[4:5], 0, s[40:41]
	flat_load_dwordx2 v[6:7], v[6:7]
	s_waitcnt vmcnt(0) lgkmcnt(0)
	ds_write_b64 v24, v[6:7] offset:4224
.LBB40_73:
	s_or_b64 exec, exec, s[18:19]
	v_add_u32_e32 v6, 24, v10
	v_cmp_le_i32_e64 s[18:19], s42, v6
	s_and_saveexec_b64 s[40:41], s[18:19]
	s_xor_b64 s[18:19], exec, s[40:41]
	s_cbranch_execz .LBB40_75
; %bb.74:
	v_mov_b32_e32 v6, 0
	v_mov_b32_e32 v7, v6
	ds_write_b64 v24, v[6:7] offset:6336
                                        ; implicit-def: $vgpr24
.LBB40_75:
	s_andn2_saveexec_b64 s[18:19], s[18:19]
	s_cbranch_execz .LBB40_77
; %bb.76:
	v_mov_b32_e32 v6, 0xc0
	v_mad_u64_u32 v[6:7], s[40:41], s22, v6, v[4:5]
	s_mul_i32 s40, s23, 0xc0
	s_nop 0
	v_add_u32_e32 v7, s40, v7
	flat_load_dwordx2 v[6:7], v[6:7]
	s_waitcnt vmcnt(0) lgkmcnt(0)
	ds_write_b64 v24, v[6:7] offset:6336
.LBB40_77:
	s_or_b64 exec, exec, s[18:19]
	v_lshlrev_b32_e32 v6, 3, v0
	v_mov_b32_e32 v7, 0
	v_lshl_add_u64 v[4:5], v[4:5], 0, v[6:7]
	s_lshl_b64 s[18:19], s[30:31], 3
	v_mov_b32_e32 v6, s19
	v_subrev_co_u32_e64 v4, s[18:19], s18, v4
	s_nop 1
	v_subb_co_u32_e64 v5, s[18:19], v5, v6, s[18:19]
	s_mov_b64 s[18:19], 0x108
	s_nop 0
	v_lshl_add_u64 v[4:5], v[4:5], 0, s[18:19]
	v_cndmask_b32_e32 v3, v5, v3, vcc
	v_cndmask_b32_e32 v2, v4, v2, vcc
.LBB40_78:
	v_add_u32_e32 v6, 0x2380, v15
	s_lshl_b64 s[18:19], s[22:23], 5
	s_waitcnt lgkmcnt(0)
	s_barrier
	s_and_saveexec_b64 s[40:41], s[6:7]
	s_xor_b64 s[6:7], exec, s[40:41]
	s_cbranch_execnz .LBB40_91
; %bb.79:
	s_andn2_saveexec_b64 s[6:7], s[6:7]
	s_cbranch_execnz .LBB40_94
.LBB40_80:
	s_or_b64 exec, exec, s[6:7]
	s_and_saveexec_b64 s[6:7], s[8:9]
	s_xor_b64 s[6:7], exec, s[6:7]
	s_cbranch_execnz .LBB40_95
.LBB40_81:
	s_andn2_saveexec_b64 s[6:7], s[6:7]
	s_cbranch_execnz .LBB40_98
.LBB40_82:
	s_or_b64 exec, exec, s[6:7]
	s_and_saveexec_b64 s[6:7], s[10:11]
	s_xor_b64 s[6:7], exec, s[6:7]
	s_cbranch_execnz .LBB40_99
.LBB40_83:
	s_andn2_saveexec_b64 s[6:7], s[6:7]
	s_cbranch_execnz .LBB40_102
.LBB40_84:
	s_or_b64 exec, exec, s[6:7]
	s_and_saveexec_b64 s[6:7], s[12:13]
	s_xor_b64 s[6:7], exec, s[6:7]
	s_cbranch_execnz .LBB40_103
.LBB40_85:
	s_andn2_saveexec_b64 s[6:7], s[6:7]
	s_cbranch_execz .LBB40_87
.LBB40_86:
	ds_read_b64 v[4:5], v13 offset:528
	s_waitcnt lgkmcnt(0)
	v_xor_b32_e32 v5, 0x80000000, v5
	ds_write_b64 v1, v[4:5] offset:24
.LBB40_87:
	s_or_b64 exec, exec, s[6:7]
	s_waitcnt lgkmcnt(0)
	s_barrier
	ds_read_b64 v[4:5], v14
	ds_read_b128 v[30:33], v6 offset:256
	ds_read2_b64 v[34:37], v13 offset1:33
	ds_read_b64 v[8:9], v13 offset:528
	ds_read_b128 v[12:15], v6 offset:272
	v_cmp_eq_u32_e64 s[6:7], 1, v10
	s_waitcnt lgkmcnt(3)
	v_pk_mul_f32 v[24:25], v[30:31], v[4:5] op_sel:[0,1]
	s_waitcnt lgkmcnt(0)
	v_pk_fma_f32 v[38:39], v[30:31], v[4:5], v[24:25] op_sel:[0,0,1] op_sel_hi:[1,1,0] neg_lo:[0,0,1] neg_hi:[0,0,1]
	v_pk_fma_f32 v[4:5], v[30:31], v[4:5], v[24:25] op_sel:[0,0,1] op_sel_hi:[1,0,0]
	v_pk_mul_f32 v[24:25], v[32:33], v[34:35] op_sel:[0,1]
	v_mov_b32_e32 v39, v5
	v_pk_fma_f32 v[30:31], v[32:33], v[34:35], v[24:25] op_sel:[0,0,1] op_sel_hi:[1,1,0] neg_lo:[0,0,1] neg_hi:[0,0,1]
	v_pk_fma_f32 v[24:25], v[32:33], v[34:35], v[24:25] op_sel:[0,0,1] op_sel_hi:[1,0,0]
	v_pk_add_f32 v[4:5], v[38:39], 0 op_sel_hi:[1,0]
	v_mov_b32_e32 v31, v25
	v_pk_mul_f32 v[24:25], v[12:13], v[36:37] op_sel:[0,1]
	v_pk_add_f32 v[4:5], v[4:5], v[30:31]
	v_pk_fma_f32 v[30:31], v[12:13], v[36:37], v[24:25] op_sel:[0,0,1] op_sel_hi:[1,1,0] neg_lo:[0,0,1] neg_hi:[0,0,1]
	v_pk_fma_f32 v[12:13], v[12:13], v[36:37], v[24:25] op_sel:[0,0,1] op_sel_hi:[1,0,0]
	s_barrier
	v_mov_b32_e32 v31, v13
	v_pk_mul_f32 v[12:13], v[14:15], v[8:9] op_sel:[0,1]
	v_pk_add_f32 v[4:5], v[4:5], v[30:31]
	v_pk_fma_f32 v[24:25], v[14:15], v[8:9], v[12:13] op_sel:[0,0,1] op_sel_hi:[1,1,0] neg_lo:[0,0,1] neg_hi:[0,0,1]
	v_pk_fma_f32 v[8:9], v[14:15], v[8:9], v[12:13] op_sel:[0,0,1] op_sel_hi:[1,0,0]
	s_nop 0
	v_mov_b32_e32 v25, v9
	v_pk_add_f32 v[4:5], v[4:5], v[24:25]
	ds_write_b64 v29, v[4:5]
	s_waitcnt lgkmcnt(0)
	s_barrier
	s_and_saveexec_b64 s[8:9], s[6:7]
	s_cbranch_execz .LBB40_89
; %bb.88:
	v_lshlrev_b32_e32 v4, 3, v28
	ds_read2_b64 v[12:15], v4 offset1:7
	ds_read2_b64 v[30:33], v4 offset0:1 offset1:2
	ds_read2_b64 v[34:37], v4 offset0:3 offset1:4
	s_waitcnt lgkmcnt(1)
	v_add_f32_e32 v5, v30, v12
	v_add_f32_e32 v7, v31, v13
	v_add_f32_e32 v5, v5, v32
	v_add_f32_e32 v7, v7, v33
	ds_read2_b64 v[30:33], v4 offset0:5 offset1:6
	s_waitcnt lgkmcnt(1)
	v_add_f32_e32 v4, v5, v34
	v_add_f32_e32 v5, v7, v35
	;; [unrolled: 1-line block ×4, first 2 shown]
	s_waitcnt lgkmcnt(0)
	v_add_f32_e32 v4, v4, v30
	v_add_f32_e32 v5, v5, v31
	v_pk_add_f32 v[4:5], v[4:5], v[32:33]
	s_nop 0
	v_pk_add_f32 v[18:19], v[4:5], v[14:15]
.LBB40_89:
	s_or_b64 exec, exec, s[8:9]
	s_lshl_b64 s[8:9], s[18:19], 3
	v_mov_b32_e32 v4, s9
	v_subrev_co_u32_e64 v24, s[8:9], s8, v2
	s_and_b64 vcc, exec, s[14:15]
	s_nop 0
	v_subb_co_u32_e64 v25, s[8:9], v3, v4, s[8:9]
	s_barrier
	s_cbranch_vccnz .LBB40_106
; %bb.90:
	flat_load_dwordx2 v[2:3], v[24:25]
	v_mad_u32_u24 v7, v10, 33, v0
	s_lshl_b64 s[8:9], s[22:23], 6
	v_lshlrev_b32_e32 v11, 3, v7
	v_lshl_add_u64 v[4:5], v[24:25], 0, s[8:9]
	s_mul_i32 s10, s23, 0xc0
	v_add_u32_e32 v8, 24, v10
	v_add_u32_e32 v9, 0x318, v7
	s_waitcnt vmcnt(0) lgkmcnt(0)
	ds_write_b64 v11, v[2:3]
	flat_load_dwordx2 v[2:3], v[4:5]
	v_lshl_add_u64 v[4:5], v[4:5], 0, s[8:9]
	s_waitcnt vmcnt(0) lgkmcnt(0)
	ds_write_b64 v11, v[2:3] offset:2112
	flat_load_dwordx2 v[2:3], v[4:5]
	v_mov_b32_e32 v4, 0xc0
	v_mad_u64_u32 v[4:5], s[8:9], s22, v4, v[24:25]
	v_add_u32_e32 v5, s10, v5
	s_waitcnt vmcnt(0) lgkmcnt(0)
	ds_write_b64 v11, v[2:3] offset:4224
	flat_load_dwordx2 v[12:13], v[4:5]
	v_add_u32_e32 v4, 8, v10
	v_add_u32_e32 v5, 16, v10
	;; [unrolled: 1-line block ×4, first 2 shown]
	s_waitcnt vmcnt(0) lgkmcnt(0)
	ds_write_b64 v11, v[12:13] offset:6336
	s_cbranch_execz .LBB40_107
	s_branch .LBB40_122
.LBB40_91:
	v_cmp_eq_u32_e32 vcc, v8, v0
	s_and_saveexec_b64 s[40:41], vcc
	s_cbranch_execz .LBB40_93
; %bb.92:
	v_mul_u32_u24_e32 v4, 34, v0
	v_lshlrev_b32_e32 v4, 3, v4
	v_mov_b32_e32 v5, 0
	ds_write_b32 v4, v5 offset:4
.LBB40_93:
	s_or_b64 exec, exec, s[40:41]
	s_andn2_saveexec_b64 s[6:7], s[6:7]
	s_cbranch_execz .LBB40_80
.LBB40_94:
	ds_read_b64 v[4:5], v14
	s_waitcnt lgkmcnt(0)
	v_xor_b32_e32 v5, 0x80000000, v5
	ds_write_b64 v1, v[4:5]
	s_or_b64 exec, exec, s[6:7]
	s_and_saveexec_b64 s[6:7], s[8:9]
	s_xor_b64 s[6:7], exec, s[6:7]
	s_cbranch_execz .LBB40_81
.LBB40_95:
	v_cmp_eq_u32_e32 vcc, v9, v0
	s_and_saveexec_b64 s[8:9], vcc
	s_cbranch_execz .LBB40_97
; %bb.96:
	v_mul_u32_u24_e32 v4, 34, v0
	v_lshlrev_b32_e32 v4, 3, v4
	v_mov_b32_e32 v5, 0
	ds_write_b32 v4, v5 offset:4
.LBB40_97:
	s_or_b64 exec, exec, s[8:9]
	s_andn2_saveexec_b64 s[6:7], s[6:7]
	s_cbranch_execz .LBB40_82
.LBB40_98:
	ds_read_b64 v[4:5], v13
	s_waitcnt lgkmcnt(0)
	v_xor_b32_e32 v5, 0x80000000, v5
	ds_write_b64 v1, v[4:5] offset:8
	s_or_b64 exec, exec, s[6:7]
	s_and_saveexec_b64 s[6:7], s[10:11]
	s_xor_b64 s[6:7], exec, s[6:7]
	s_cbranch_execz .LBB40_83
.LBB40_99:
	v_cmp_eq_u32_e32 vcc, v11, v0
	s_and_saveexec_b64 s[8:9], vcc
	s_cbranch_execz .LBB40_101
; %bb.100:
	v_mul_u32_u24_e32 v4, 34, v0
	v_lshlrev_b32_e32 v4, 3, v4
	v_mov_b32_e32 v5, 0
	ds_write_b32 v4, v5 offset:4
.LBB40_101:
	s_or_b64 exec, exec, s[8:9]
	s_andn2_saveexec_b64 s[6:7], s[6:7]
	s_cbranch_execz .LBB40_84
.LBB40_102:
	ds_read_b64 v[4:5], v13 offset:264
	s_waitcnt lgkmcnt(0)
	v_xor_b32_e32 v5, 0x80000000, v5
	ds_write_b64 v1, v[4:5] offset:16
	s_or_b64 exec, exec, s[6:7]
	s_and_saveexec_b64 s[6:7], s[12:13]
	s_xor_b64 s[6:7], exec, s[6:7]
	s_cbranch_execz .LBB40_85
.LBB40_103:
	v_cmp_eq_u32_e32 vcc, v12, v0
	s_and_saveexec_b64 s[8:9], vcc
	s_cbranch_execz .LBB40_105
; %bb.104:
	v_mul_u32_u24_e32 v4, 34, v0
	v_lshlrev_b32_e32 v4, 3, v4
	v_mov_b32_e32 v5, 0
	ds_write_b32 v4, v5 offset:4
.LBB40_105:
	s_or_b64 exec, exec, s[8:9]
	s_andn2_saveexec_b64 s[6:7], s[6:7]
	s_cbranch_execnz .LBB40_86
	s_branch .LBB40_87
.LBB40_106:
                                        ; implicit-def: $vgpr7
                                        ; implicit-def: $vgpr4
                                        ; implicit-def: $vgpr2
                                        ; implicit-def: $vgpr5
                                        ; implicit-def: $vgpr3
                                        ; implicit-def: $vgpr8
                                        ; implicit-def: $vgpr9
.LBB40_107:
	v_or_b32_e32 v4, 32, v0
	v_lshlrev_b32_e32 v2, 3, v4
	v_sub_co_u32_e32 v2, vcc, v24, v2
	s_ashr_i32 s31, s30, 31
	s_nop 0
	v_subbrev_co_u32_e32 v3, vcc, 0, v25, vcc
	v_lshl_add_u64 v[2:3], s[30:31], 3, v[2:3]
	v_lshl_add_u64 v[2:3], v[2:3], 0, -8
	v_cmp_gt_i32_e32 vcc, s30, v4
	v_mov_b32_e32 v4, 0
	v_cmp_gt_i32_e64 s[8:9], s30, v10
	v_cndmask_b32_e32 v3, v3, v25, vcc
	v_cndmask_b32_e32 v2, v2, v24, vcc
	v_mov_b32_e32 v5, v4
	s_and_saveexec_b64 s[10:11], s[8:9]
	s_cbranch_execz .LBB40_109
; %bb.108:
	flat_load_dwordx2 v[4:5], v[2:3]
.LBB40_109:
	s_or_b64 exec, exec, s[10:11]
	v_mad_u32_u24 v7, v10, 33, v0
	v_lshlrev_b32_e32 v11, 3, v7
	s_waitcnt vmcnt(0) lgkmcnt(0)
	ds_write_b64 v11, v[4:5]
	v_add_u32_e32 v4, 8, v10
	v_cmp_le_i32_e64 s[8:9], s30, v4
	s_and_saveexec_b64 s[10:11], s[8:9]
	s_xor_b64 s[8:9], exec, s[10:11]
	s_cbranch_execz .LBB40_111
; %bb.110:
	v_mul_u32_u24_e32 v5, 33, v4
	v_mov_b32_e32 v8, 0
	v_add_lshl_u32 v5, v5, v0, 3
	v_mov_b32_e32 v9, v8
	ds_write_b64 v5, v[8:9]
.LBB40_111:
	s_andn2_saveexec_b64 s[8:9], s[8:9]
	s_cbranch_execz .LBB40_113
; %bb.112:
	s_lshl_b64 s[10:11], s[22:23], 6
	v_lshl_add_u64 v[8:9], v[2:3], 0, s[10:11]
	flat_load_dwordx2 v[8:9], v[8:9]
	s_waitcnt vmcnt(0) lgkmcnt(0)
	ds_write_b64 v11, v[8:9] offset:2112
.LBB40_113:
	s_or_b64 exec, exec, s[8:9]
	v_add_u32_e32 v5, 16, v10
	v_cmp_le_i32_e64 s[8:9], s30, v5
	s_and_saveexec_b64 s[10:11], s[8:9]
	s_xor_b64 s[8:9], exec, s[10:11]
	s_cbranch_execz .LBB40_115
; %bb.114:
	v_mul_u32_u24_e32 v8, 33, v5
	v_add_lshl_u32 v12, v8, v0, 3
	v_mov_b32_e32 v8, 0
	v_mov_b32_e32 v9, v8
	ds_write_b64 v12, v[8:9]
.LBB40_115:
	s_andn2_saveexec_b64 s[8:9], s[8:9]
	s_cbranch_execz .LBB40_117
; %bb.116:
	s_lshl_b64 s[10:11], s[22:23], 7
	v_lshl_add_u64 v[8:9], v[2:3], 0, s[10:11]
	flat_load_dwordx2 v[8:9], v[8:9]
	s_waitcnt vmcnt(0) lgkmcnt(0)
	ds_write_b64 v11, v[8:9] offset:4224
.LBB40_117:
	s_or_b64 exec, exec, s[8:9]
	v_add_u32_e32 v8, 24, v10
	v_cmp_le_i32_e64 s[8:9], s30, v8
                                        ; implicit-def: $vgpr9
	s_and_saveexec_b64 s[10:11], s[8:9]
	s_xor_b64 s[8:9], exec, s[10:11]
	s_cbranch_execz .LBB40_119
; %bb.118:
	v_mov_b32_e32 v12, 0
	v_add_u32_e32 v9, 0x318, v7
	v_mov_b32_e32 v13, v12
	ds_write_b64 v11, v[12:13] offset:6336
                                        ; implicit-def: $vgpr11
.LBB40_119:
	s_andn2_saveexec_b64 s[8:9], s[8:9]
	s_cbranch_execz .LBB40_121
; %bb.120:
	v_mov_b32_e32 v9, 0xc0
	v_mad_u64_u32 v[12:13], s[10:11], s22, v9, v[2:3]
	s_mul_i32 s10, s23, 0xc0
	s_nop 0
	v_add_u32_e32 v13, s10, v13
	flat_load_dwordx2 v[12:13], v[12:13]
	v_add_u32_e32 v9, 0x318, v7
	s_waitcnt vmcnt(0) lgkmcnt(0)
	ds_write_b64 v11, v[12:13] offset:6336
.LBB40_121:
	s_or_b64 exec, exec, s[8:9]
	v_lshlrev_b32_e32 v12, 3, v0
	v_mov_b32_e32 v13, 0
	v_lshl_add_u64 v[2:3], v[2:3], 0, v[12:13]
	s_lshl_b64 s[8:9], s[30:31], 3
	v_mov_b32_e32 v0, s9
	v_subrev_co_u32_e64 v2, s[8:9], s8, v2
	s_nop 1
	v_subb_co_u32_e64 v3, s[8:9], v3, v0, s[8:9]
	s_mov_b64 s[8:9], 0x108
	s_nop 0
	v_lshl_add_u64 v[2:3], v[2:3], 0, s[8:9]
	v_cndmask_b32_e32 v25, v3, v25, vcc
	v_cndmask_b32_e32 v24, v2, v24, vcc
	v_add_u32_e32 v2, 0x108, v7
	v_add_u32_e32 v3, 0x210, v7
.LBB40_122:
	v_lshlrev_b32_e32 v0, 3, v7
	s_waitcnt lgkmcnt(0)
	s_barrier
	ds_read_b64 v[30:31], v0
	v_lshlrev_b32_e32 v7, 3, v10
	v_lshlrev_b32_e32 v12, 3, v2
	;; [unrolled: 1-line block ×7, first 2 shown]
	ds_read_b64 v[32:33], v0
	ds_read2_b64 v[8:11], v1 offset1:1
	ds_read2_b64 v[0:3], v1 offset0:2 offset1:3
	ds_read_b64 v[34:35], v4 offset:9088
	ds_read_b64 v[36:37], v12
	ds_read_b64 v[38:39], v7 offset:9088
	ds_read_b128 v[12:15], v6 offset:256
	ds_read_b128 v[4:7], v6 offset:272
	ds_read_b64 v[40:41], v40 offset:9088
	ds_read_b64 v[42:43], v42
	ds_read_b64 v[44:45], v44 offset:9088
	s_waitcnt lgkmcnt(5)
	v_pk_mul_f32 v[46:47], v[38:39], v[30:31] op_sel:[0,1]
	s_waitcnt lgkmcnt(0)
	v_pk_fma_f32 v[48:49], v[38:39], v[30:31], v[46:47] op_sel:[0,0,1] op_sel_hi:[1,1,0] neg_lo:[0,0,1] neg_hi:[0,0,1]
	v_pk_fma_f32 v[30:31], v[38:39], v[30:31], v[46:47] op_sel:[0,0,1] op_sel_hi:[1,0,0]
	v_pk_mul_f32 v[38:39], v[34:35], v[36:37] op_sel:[0,1]
	v_mov_b32_e32 v49, v31
	v_pk_fma_f32 v[46:47], v[34:35], v[36:37], v[38:39] op_sel:[0,0,1] op_sel_hi:[1,1,0] neg_lo:[0,0,1] neg_hi:[0,0,1]
	v_pk_fma_f32 v[34:35], v[34:35], v[36:37], v[38:39] op_sel:[0,0,1] op_sel_hi:[1,0,0]
	v_pk_add_f32 v[30:31], v[48:49], 0 op_sel_hi:[1,0]
	v_mov_b32_e32 v47, v35
	v_pk_mul_f32 v[34:35], v[44:45], v[32:33] op_sel:[0,1]
	v_pk_add_f32 v[30:31], v[30:31], v[46:47]
	v_pk_fma_f32 v[36:37], v[44:45], v[32:33], v[34:35] op_sel:[0,0,1] op_sel_hi:[1,1,0] neg_lo:[0,0,1] neg_hi:[0,0,1]
	v_pk_fma_f32 v[32:33], v[44:45], v[32:33], v[34:35] op_sel:[0,0,1] op_sel_hi:[1,0,0]
	s_barrier
	v_mov_b32_e32 v37, v33
	v_pk_mul_f32 v[32:33], v[40:41], v[42:43] op_sel:[0,1]
	v_pk_add_f32 v[30:31], v[30:31], v[36:37]
	v_pk_fma_f32 v[34:35], v[40:41], v[42:43], v[32:33] op_sel:[0,0,1] op_sel_hi:[1,1,0] neg_lo:[0,0,1] neg_hi:[0,0,1]
	v_pk_fma_f32 v[32:33], v[40:41], v[42:43], v[32:33] op_sel:[0,0,1] op_sel_hi:[1,0,0]
	s_nop 0
	v_mov_b32_e32 v35, v33
	v_pk_add_f32 v[30:31], v[30:31], v[34:35]
	ds_write_b64 v29, v[30:31]
	s_waitcnt lgkmcnt(0)
	s_barrier
	s_and_saveexec_b64 s[8:9], s[6:7]
	s_cbranch_execz .LBB40_124
; %bb.123:
	v_lshlrev_b32_e32 v42, 3, v28
	ds_read2_b64 v[30:33], v42 offset1:1
	ds_read2_b64 v[34:37], v42 offset0:2 offset1:3
	ds_read2_b64 v[38:41], v42 offset0:4 offset1:5
	s_waitcnt lgkmcnt(2)
	v_pk_add_f32 v[18:19], v[18:19], v[30:31]
	s_nop 0
	v_pk_add_f32 v[18:19], v[18:19], v[32:33]
	ds_read2_b64 v[30:33], v42 offset0:6 offset1:7
	s_waitcnt lgkmcnt(2)
	v_pk_add_f32 v[18:19], v[18:19], v[34:35]
	s_nop 0
	v_pk_add_f32 v[18:19], v[18:19], v[36:37]
	s_waitcnt lgkmcnt(1)
	v_pk_add_f32 v[18:19], v[18:19], v[38:39]
	s_nop 0
	v_pk_add_f32 v[18:19], v[18:19], v[40:41]
	;; [unrolled: 4-line block ×3, first 2 shown]
.LBB40_124:
	s_or_b64 exec, exec, s[8:9]
	v_pk_mul_f32 v[30:31], v[8:9], v[12:13] op_sel:[1,0]
	s_nop 0
	v_pk_fma_f32 v[32:33], v[8:9], v[12:13], v[30:31] op_sel:[0,0,1] op_sel_hi:[1,1,0]
	v_pk_fma_f32 v[8:9], v[8:9], v[12:13], v[30:31] op_sel:[0,0,1] op_sel_hi:[0,1,0] neg_lo:[0,0,1] neg_hi:[0,0,1]
	v_mov_b32_e32 v12, v11
	v_pk_mul_f32 v[12:13], v[12:13], v[14:15] op_sel_hi:[0,1]
	v_pk_fma_f32 v[30:31], v[10:11], v[14:15], v[12:13] op_sel:[0,0,1] op_sel_hi:[1,1,0]
	v_pk_fma_f32 v[10:11], v[10:11], v[14:15], v[12:13] op_sel:[0,0,1] op_sel_hi:[0,1,0] neg_lo:[0,0,1] neg_hi:[0,0,1]
	v_mov_b32_e32 v33, v9
	v_mov_b32_e32 v31, v11
	v_pk_mul_f32 v[10:11], v[0:1], v[4:5] op_sel:[1,0]
	v_pk_add_f32 v[8:9], v[32:33], 0 op_sel_hi:[1,0]
	v_pk_fma_f32 v[12:13], v[0:1], v[4:5], v[10:11] op_sel:[0,0,1] op_sel_hi:[1,1,0]
	v_pk_fma_f32 v[0:1], v[0:1], v[4:5], v[10:11] op_sel:[0,0,1] op_sel_hi:[0,1,0] neg_lo:[0,0,1] neg_hi:[0,0,1]
	v_mov_b32_e32 v4, v3
	v_pk_add_f32 v[8:9], v[8:9], v[30:31]
	v_mov_b32_e32 v13, v1
	v_pk_mul_f32 v[4:5], v[4:5], v[6:7] op_sel_hi:[0,1]
	v_pk_add_f32 v[0:1], v[8:9], v[12:13]
	v_pk_fma_f32 v[8:9], v[2:3], v[6:7], v[4:5] op_sel:[0,0,1] op_sel_hi:[1,1,0]
	v_pk_fma_f32 v[2:3], v[2:3], v[6:7], v[4:5] op_sel:[0,0,1] op_sel_hi:[0,1,0] neg_lo:[0,0,1] neg_hi:[0,0,1]
	v_mov_b32_e32 v9, v3
	v_pk_add_f32 v[0:1], v[0:1], v[8:9]
	s_barrier
	ds_write_b64 v29, v[0:1]
	s_waitcnt lgkmcnt(0)
	s_barrier
	s_and_saveexec_b64 s[6:7], s[4:5]
	s_cbranch_execz .LBB40_126
; %bb.125:
	v_lshlrev_b32_e32 v14, 3, v28
	ds_read2_b64 v[0:3], v14 offset1:1
	ds_read2_b64 v[4:7], v14 offset0:2 offset1:3
	ds_read2_b64 v[8:11], v14 offset0:4 offset1:5
	s_waitcnt lgkmcnt(2)
	v_pk_add_f32 v[0:1], v[18:19], v[0:1]
	s_nop 0
	v_pk_add_f32 v[12:13], v[0:1], v[2:3]
	ds_read2_b64 v[0:3], v14 offset0:6 offset1:7
	s_waitcnt lgkmcnt(2)
	v_pk_add_f32 v[4:5], v[12:13], v[4:5]
	s_nop 0
	v_pk_add_f32 v[4:5], v[4:5], v[6:7]
	s_waitcnt lgkmcnt(1)
	v_pk_add_f32 v[4:5], v[4:5], v[8:9]
	s_nop 0
	v_pk_add_f32 v[4:5], v[4:5], v[10:11]
	;; [unrolled: 4-line block ×3, first 2 shown]
.LBB40_126:
	s_or_b64 exec, exec, s[6:7]
	s_mul_hi_u32 s4, s3, s26
	s_mul_i32 s33, s33, s26
	s_add_i32 s4, s4, s33
	s_mul_i32 s6, s3, s26
	s_mul_i32 s4, s4, s27
	s_mul_hi_u32 s5, s6, s27
	s_add_i32 s5, s5, s4
	s_mul_i32 s4, s6, s27
	s_lshl_b64 s[4:5], s[4:5], 3
	s_add_u32 s6, s28, s4
	s_mul_i32 s4, s2, s3
	s_addc_u32 s7, s29, s5
	s_ashr_i32 s5, s4, 31
	s_lshl_b64 s[4:5], s[4:5], 3
	s_add_u32 s6, s6, s4
	v_cmp_le_i32_e32 vcc, s30, v26
	s_addc_u32 s7, s7, s5
	s_and_b64 vcc, s[38:39], vcc
	s_cmp_lt_i32 s2, 1
	v_lshlrev_b32_e32 v4, 3, v26
	s_barrier
	s_cbranch_scc1 .LBB40_133
; %bb.127:
	s_mul_i32 s3, s34, s21
	s_mul_hi_u32 s4, s34, s20
	s_add_i32 s3, s4, s3
	s_mul_i32 s4, s35, s20
	s_add_i32 s5, s3, s4
	s_mul_i32 s4, s34, s20
	s_lshl_b64 s[4:5], s[4:5], 3
	v_mov_b32_e32 v0, s5
	v_subrev_co_u32_e64 v6, s[4:5], s4, v20
	v_lshlrev_b32_e32 v5, 2, v76
	s_nop 0
	v_subb_co_u32_e64 v7, s[4:5], v21, v0, s[4:5]
	v_mov_b32_e32 v0, s37
	v_subrev_co_u32_e64 v2, s[4:5], s36, v24
	s_ashr_i32 s31, s30, 31
	s_nop 0
	v_subb_co_u32_e64 v3, s[4:5], v25, v0, s[4:5]
	v_lshlrev_b64 v[0:1], 3, v[22:23]
	v_sub_co_u32_e64 v0, s[4:5], v2, v0
	v_and_b32_e32 v12, 15, v26
	s_nop 0
	v_subb_co_u32_e64 v1, s[4:5], v3, v1, s[4:5]
	v_mad_u64_u32 v[2:3], s[4:5], v5, s22, 0
	v_mov_b32_e32 v8, v3
	v_mad_u64_u32 v[8:9], s[4:5], v5, s23, v[8:9]
	v_mov_b32_e32 v3, v8
	s_movk_i32 s4, 0xff00
	v_lshl_add_u64 v[0:1], v[2:3], 3, v[0:1]
	s_mov_b32 s5, -1
	v_lshl_add_u64 v[0:1], v[0:1], 0, s[4:5]
	v_mov_b32_e32 v9, 0
	v_lshl_add_u64 v[2:3], s[30:31], 3, v[0:1]
	v_mov_b32_e32 v5, v9
	v_lshl_add_u64 v[2:3], v[2:3], 0, -8
	v_lshl_add_u64 v[0:1], v[0:1], 0, v[4:5]
	v_cndmask_b32_e32 v10, v0, v2, vcc
	v_and_b32_e32 v0, 48, v26
	v_cndmask_b32_e32 v11, v1, v3, vcc
	v_lshlrev_b32_e32 v1, 3, v0
	s_movk_i32 s3, 0x218
	v_lshrrev_b32_e32 v13, 4, v27
	v_mad_u32_u24 v78, v12, s3, v1
	v_or_b32_e32 v1, 0x78, v4
	v_mad_u32_u24 v79, v12, s3, v1
	v_lshlrev_b32_e32 v1, 5, v13
	v_mad_u32_u24 v80, v12, s3, v1
	v_mov_b32_e32 v1, 0x2180
	v_lshl_add_u32 v81, v76, 5, v1
	v_lshlrev_b32_e32 v1, 3, v13
	v_mad_u32_u24 v83, v12, s3, v1
	s_mul_i32 s3, s23, 24
	s_mul_hi_u32 s14, s22, 24
	s_add_i32 s15, s14, s3
	s_mul_i32 s3, s23, 0x90
	s_mul_hi_u32 s18, s22, 0x90
	s_add_i32 s19, s18, s3
	;; [unrolled: 3-line block ×9, first 2 shown]
	s_mul_i32 s3, s23, 0x108
	s_mul_hi_u32 s33, s22, 0x108
	s_movk_i32 s8, 0x860
	s_add_i32 s43, s33, s3
	s_mul_i32 s3, s23, 0x88
	s_mul_hi_u32 s33, s22, 0x88
	v_add_u32_e32 v5, 0x2180, v4
	v_add_u32_e32 v77, 0x2380, v4
	v_cmp_gt_u32_e64 s[4:5], 64, v27
	v_mad_u32_u24 v82, v76, s8, v4
	s_lshl_b64 s[8:9], s[22:23], 3
	s_lshl_b64 s[10:11], s[22:23], 9
	;; [unrolled: 1-line block ×3, first 2 shown]
	s_mul_i32 s14, s22, 24
	s_mul_i32 s18, s22, 0x90
	;; [unrolled: 1-line block ×10, first 2 shown]
	s_add_i32 s45, s33, s3
	s_mul_i32 s44, s22, 0x88
	s_lshl_b64 s[22:23], s[22:23], 7
	v_or_b32_e32 v84, v0, v12
	s_mov_b32 s3, 0
	s_branch .LBB40_129
.LBB40_128:                             ;   in Loop: Header=BB40_129 Depth=1
	s_or_b64 exec, exec, s[46:47]
	v_mul_f32_e32 v8, v12, v14
	v_fma_f32 v8, -v13, v15, v8
	v_pk_mul_f32 v[12:13], v[12:13], v[14:15] op_sel:[1,0] op_sel_hi:[0,1]
	v_add_f32_e32 v12, v12, v13
	v_add_f32_e32 v14, v19, v12
	v_mul_f32_e32 v12, v20, v22
	v_add_f32_e32 v8, v18, v8
	v_fma_f32 v12, -v21, v23, v12
	v_add_f32_e32 v8, v8, v12
	v_pk_mul_f32 v[12:13], v[20:21], v[22:23] op_sel:[1,0] op_sel_hi:[0,1]
	v_add_f32_e32 v12, v12, v13
	v_add_f32_e32 v14, v14, v12
	v_mul_f32_e32 v12, v24, v26
	v_fma_f32 v12, -v25, v27, v12
	v_add_f32_e32 v8, v8, v12
	v_pk_mul_f32 v[12:13], v[24:25], v[26:27] op_sel:[1,0] op_sel_hi:[0,1]
	v_add_f32_e32 v12, v12, v13
	v_add_f32_e32 v14, v14, v12
	v_mul_f32_e32 v12, v28, v30
	;; [unrolled: 6-line block ×4, first 2 shown]
	v_fma_f32 v12, -v37, v39, v12
	v_pk_mul_f32 v[14:15], v[36:37], v[38:39] op_sel:[1,0] op_sel_hi:[0,1]
	v_add_f32_e32 v12, v8, v12
	v_add_f32_e32 v8, v14, v15
	v_add_f32_e32 v13, v13, v8
	v_mov_b32_e32 v8, v43
	v_pk_mul_f32 v[14:15], v[40:41], v[8:9] op_sel:[1,0] op_sel_hi:[0,1]
	v_pk_fma_f32 v[14:15], v[40:41], v[42:43], v[14:15] neg_lo:[0,0,1] neg_hi:[0,0,1]
	v_pk_mul_f32 v[18:19], v[40:41], v[42:43] op_sel:[1,0] op_sel_hi:[0,1]
	v_mov_b32_e32 v15, v18
	v_pk_mul_f32 v[22:23], v[44:45], v[46:47] op_sel:[1,0] op_sel_hi:[0,1]
	v_pk_fma_f32 v[18:19], v[40:41], v[42:43], v[14:15] op_sel:[1,0,0] op_sel_hi:[0,1,1]
	v_mov_b32_e32 v8, v47
	v_mov_b32_e32 v15, v22
	v_pk_mul_f32 v[20:21], v[44:45], v[8:9] op_sel:[1,0] op_sel_hi:[0,1]
	v_pk_fma_f32 v[22:23], v[44:45], v[46:47], v[14:15] op_sel:[1,0,0] op_sel_hi:[0,1,1]
	v_mov_b32_e32 v15, v19
	v_pk_fma_f32 v[20:21], v[44:45], v[46:47], v[20:21] neg_lo:[0,0,1] neg_hi:[0,0,1]
	v_pk_add_f32 v[12:13], v[12:13], v[14:15]
	v_pk_mul_f32 v[14:15], v[48:49], v[52:53] op_sel:[1,1] op_sel_hi:[0,1]
	v_mov_b32_e32 v21, v23
	v_pk_mul_f32 v[18:19], v[56:57], v[0:1] op_sel:[0,1]
	v_pk_fma_f32 v[24:25], v[48:49], v[52:53], v[14:15] neg_lo:[0,0,1] neg_hi:[0,0,1]
	v_pk_fma_f32 v[14:15], v[48:49], v[52:53], v[14:15] op_sel_hi:[1,0,1]
	v_pk_add_f32 v[12:13], v[12:13], v[20:21]
	v_mov_b32_e32 v8, v3
	v_mov_b32_e32 v25, v15
	v_pk_fma_f32 v[14:15], v[56:57], v[0:1], v[18:19] op_sel:[0,0,1] op_sel_hi:[1,1,0] neg_lo:[0,0,1] neg_hi:[0,0,1]
	v_pk_fma_f32 v[0:1], v[56:57], v[0:1], v[18:19] op_sel:[0,0,1] op_sel_hi:[1,0,0]
	v_pk_mul_f32 v[20:21], v[54:55], v[8:9] op_sel_hi:[1,0]
	v_pk_add_f32 v[12:13], v[12:13], v[24:25]
	v_mov_b32_e32 v15, v1
	v_pk_add_f32 v[0:1], v[12:13], v[14:15]
	v_pk_fma_f32 v[12:13], v[54:55], v[2:3], v[20:21] op_sel:[0,0,1] op_sel_hi:[1,1,0] neg_lo:[0,0,1] neg_hi:[0,0,1]
	v_pk_fma_f32 v[2:3], v[54:55], v[2:3], v[20:21] op_sel:[0,0,1] op_sel_hi:[1,0,0]
	v_pk_mul_f32 v[22:23], v[50:51], v[58:59] op_sel:[0,1]
	v_mov_b32_e32 v13, v3
	v_pk_add_f32 v[0:1], v[0:1], v[12:13]
	v_pk_fma_f32 v[2:3], v[50:51], v[58:59], v[22:23] op_sel:[0,0,1] op_sel_hi:[1,1,0] neg_lo:[0,0,1] neg_hi:[0,0,1]
	v_pk_fma_f32 v[12:13], v[50:51], v[58:59], v[22:23] op_sel:[0,0,1] op_sel_hi:[1,0,0]
	v_pk_mul_f32 v[14:15], v[64:65], v[72:73] op_sel:[0,1]
	v_mov_b32_e32 v3, v13
	v_pk_add_f32 v[0:1], v[0:1], v[2:3]
	v_pk_mul_f32 v[2:3], v[62:63], v[68:69] op_sel:[0,1]
	v_pk_mul_f32 v[12:13], v[66:67], v[74:75] op_sel:[0,1]
	v_pk_fma_f32 v[20:21], v[62:63], v[68:69], v[2:3] op_sel:[0,0,1] op_sel_hi:[1,1,0] neg_lo:[0,0,1] neg_hi:[0,0,1]
	v_pk_fma_f32 v[2:3], v[62:63], v[68:69], v[2:3] op_sel:[0,0,1] op_sel_hi:[1,0,0]
	v_pk_mul_f32 v[18:19], v[60:61], v[70:71] op_sel:[0,1]
	v_mov_b32_e32 v21, v3
	v_pk_fma_f32 v[2:3], v[66:67], v[74:75], v[12:13] op_sel:[0,0,1] op_sel_hi:[1,1,0] neg_lo:[0,0,1] neg_hi:[0,0,1]
	v_pk_fma_f32 v[12:13], v[66:67], v[74:75], v[12:13] op_sel:[0,0,1] op_sel_hi:[1,0,0]
	v_pk_add_f32 v[0:1], v[0:1], v[20:21]
	v_mov_b32_e32 v3, v13
	v_pk_fma_f32 v[12:13], v[64:65], v[72:73], v[14:15] op_sel:[0,0,1] op_sel_hi:[1,1,0] neg_lo:[0,0,1] neg_hi:[0,0,1]
	v_pk_fma_f32 v[14:15], v[64:65], v[72:73], v[14:15] op_sel:[0,0,1] op_sel_hi:[1,0,0]
	v_pk_add_f32 v[0:1], v[0:1], v[2:3]
	;; [unrolled: 4-line block ×3, first 2 shown]
	v_mov_b32_e32 v15, v19
	s_add_i32 s3, s3, 64
	s_add_i32 s2, s2, -1
	v_pk_add_f32 v[18:19], v[0:1], v[14:15]
	s_cmp_eq_u32 s2, 0
	v_lshl_add_u64 v[10:11], v[10:11], 0, s[10:11]
	s_barrier
	s_cbranch_scc1 .LBB40_133
.LBB40_129:                             ; =>This Inner Loop Header: Depth=1
	s_and_saveexec_b64 s[46:47], s[16:17]
	s_cbranch_execz .LBB40_131
; %bb.130:                              ;   in Loop: Header=BB40_129 Depth=1
	s_mul_i32 s33, s3, s21
	s_mul_hi_u32 s48, s3, s20
	s_add_i32 s49, s48, s33
	s_mul_i32 s48, s3, s20
	v_lshl_add_u64 v[0:1], s[48:49], 3, v[6:7]
	flat_load_dwordx2 v[0:1], v[0:1]
	s_waitcnt vmcnt(0) lgkmcnt(0)
	ds_write_b64 v5, v[0:1]
.LBB40_131:                             ;   in Loop: Header=BB40_129 Depth=1
	s_or_b64 exec, exec, s[46:47]
	s_waitcnt lgkmcnt(0)
	s_barrier
	flat_load_dwordx2 v[12:13], v[10:11]
	ds_read_b64 v[0:1], v77
	ds_read_b64 v[14:15], v81
	v_lshl_add_u64 v[2:3], v[10:11], 0, s[8:9]
	v_lshl_add_u64 v[62:63], v[10:11], 0, s[40:41]
	s_waitcnt vmcnt(0) lgkmcnt(0)
	v_mul_f32_e32 v20, v13, v1
	v_mul_f32_e32 v8, v13, v0
	v_fmac_f32_e32 v20, v12, v0
	v_fma_f32 v21, v12, v1, -v8
	ds_write_b64 v82, v[20:21]
	flat_load_dwordx2 v[20:21], v[2:3]
	v_lshl_add_u64 v[2:3], v[10:11], 0, s[12:13]
	ds_read_b64 v[22:23], v81 offset:8
	s_waitcnt vmcnt(0) lgkmcnt(0)
	v_mul_f32_e32 v24, v21, v1
	v_mul_f32_e32 v8, v21, v0
	v_fmac_f32_e32 v24, v20, v0
	v_fma_f32 v25, v20, v1, -v8
	ds_write_b64 v82, v[24:25] offset:536
	flat_load_dwordx2 v[24:25], v[2:3]
	v_lshl_add_u64 v[2:3], v[10:11], 0, s[14:15]
	ds_read_b64 v[26:27], v81 offset:16
	s_waitcnt vmcnt(0) lgkmcnt(0)
	v_mul_f32_e32 v28, v25, v1
	v_mul_f32_e32 v8, v25, v0
	v_fmac_f32_e32 v28, v24, v0
	v_fma_f32 v29, v24, v1, -v8
	ds_write_b64 v82, v[28:29] offset:1072
	;; [unrolled: 9-line block ×3, first 2 shown]
	s_waitcnt lgkmcnt(0)
	s_barrier
	ds_read2_b64 v[68:71], v80 offset1:1
	ds_read2_b64 v[72:75], v80 offset0:2 offset1:3
	s_waitcnt lgkmcnt(0)
	s_barrier
	flat_load_dwordx2 v[32:33], v[2:3]
	ds_read_b64 v[0:1], v77
	ds_read_b64 v[34:35], v81 offset:128
	v_lshl_add_u64 v[2:3], v[10:11], 0, s[44:45]
	v_pk_add_f32 v[68:69], v[68:69], 0 op_sel_hi:[1,0]
	s_waitcnt vmcnt(0) lgkmcnt(0)
	v_mul_f32_e32 v36, v33, v1
	v_mul_f32_e32 v8, v33, v0
	v_fmac_f32_e32 v36, v32, v0
	v_fma_f32 v37, v32, v1, -v8
	ds_write_b64 v82, v[36:37]
	flat_load_dwordx2 v[36:37], v[2:3]
	v_lshl_add_u64 v[2:3], v[10:11], 0, s[18:19]
	ds_read_b64 v[38:39], v81 offset:136
	v_pk_add_f32 v[68:69], v[68:69], v[70:71]
	s_waitcnt vmcnt(0) lgkmcnt(0)
	v_mul_f32_e32 v40, v37, v1
	v_mul_f32_e32 v8, v37, v0
	v_fmac_f32_e32 v40, v36, v0
	v_fma_f32 v41, v36, v1, -v8
	ds_write_b64 v82, v[40:41] offset:536
	flat_load_dwordx2 v[40:41], v[2:3]
	v_lshl_add_u64 v[2:3], v[10:11], 0, s[26:27]
	ds_read_b64 v[42:43], v81 offset:144
	v_pk_add_f32 v[68:69], v[68:69], v[72:73]
	s_waitcnt vmcnt(0) lgkmcnt(0)
	v_mul_f32_e32 v44, v41, v1
	v_mul_f32_e32 v8, v41, v0
	v_fmac_f32_e32 v44, v40, v0
	v_fma_f32 v45, v40, v1, -v8
	ds_write_b64 v82, v[44:45] offset:1072
	;; [unrolled: 10-line block ×3, first 2 shown]
	s_waitcnt lgkmcnt(0)
	s_barrier
	ds_read2_b64 v[86:89], v80 offset1:1
	ds_read2_b64 v[90:93], v80 offset0:2 offset1:3
	s_waitcnt lgkmcnt(0)
	s_barrier
	flat_load_dwordx2 v[48:49], v[2:3]
	ds_read_b64 v[60:61], v77
	ds_read_b64 v[52:53], v81 offset:256
	v_lshl_add_u64 v[0:1], v[10:11], 0, s[42:43]
	v_pk_add_f32 v[68:69], v[86:87], 0 op_sel_hi:[1,0]
	s_waitcnt vmcnt(0) lgkmcnt(0)
	v_mul_f32_e32 v2, v49, v61
	v_mul_f32_e32 v3, v49, v60
	v_fmac_f32_e32 v2, v48, v60
	v_fma_f32 v3, v48, v61, -v3
	ds_write_b64 v82, v[2:3]
	flat_load_dwordx2 v[56:57], v[0:1]
	v_lshl_add_u64 v[0:1], v[10:11], 0, s[28:29]
	flat_load_dwordx2 v[54:55], v[0:1]
	v_lshl_add_u64 v[0:1], v[10:11], 0, s[30:31]
	flat_load_dwordx2 v[50:51], v[0:1]
	ds_read2_b64 v[0:3], v81 offset0:33 offset1:34
	ds_read_b64 v[58:59], v81 offset:280
	v_pk_add_f32 v[68:69], v[68:69], v[88:89]
	s_waitcnt vmcnt(0) lgkmcnt(0)
	v_mul_f32_e32 v64, v57, v61
	v_mul_f32_e32 v8, v57, v60
	;; [unrolled: 1-line block ×6, first 2 shown]
	v_fma_f32 v65, v56, v61, -v8
	v_fma_f32 v67, v54, v61, -v67
	v_fma_f32 v95, v50, v61, -v85
	v_fmac_f32_e32 v64, v56, v60
	v_fmac_f32_e32 v66, v54, v60
	;; [unrolled: 1-line block ×3, first 2 shown]
	ds_write2_b64 v82, v[64:65], v[66:67] offset0:67 offset1:134
	ds_write_b64 v82, v[94:95] offset:1608
	s_waitcnt lgkmcnt(0)
	s_barrier
	ds_read2_b64 v[94:97], v80 offset1:1
	ds_read2_b64 v[98:101], v80 offset0:2 offset1:3
	s_waitcnt lgkmcnt(0)
	s_barrier
	flat_load_dwordx2 v[62:63], v[62:63]
	v_lshl_add_u64 v[60:61], v[10:11], 0, s[38:39]
	flat_load_dwordx2 v[66:67], v[60:61]
	v_lshl_add_u64 v[60:61], v[10:11], 0, s[34:35]
	;; [unrolled: 2-line block ×3, first 2 shown]
	flat_load_dwordx2 v[60:61], v[60:61]
	v_pk_add_f32 v[68:69], v[68:69], v[90:91]
	v_pk_add_f32 v[72:73], v[94:95], 0 op_sel_hi:[1,0]
	v_pk_add_f32 v[104:105], v[68:69], v[92:93]
	ds_read_b64 v[70:71], v77
	ds_read_b64 v[68:69], v81 offset:384
	v_pk_add_f32 v[72:73], v[72:73], v[96:97]
	s_waitcnt vmcnt(0) lgkmcnt(0)
	v_mul_f32_e32 v8, v63, v70
	v_pk_add_f32 v[72:73], v[72:73], v[98:99]
	v_mul_f32_e32 v74, v67, v70
	v_pk_add_f32 v[94:95], v[72:73], v[100:101]
	v_mul_f32_e32 v72, v63, v71
	v_mul_f32_e32 v86, v67, v71
	v_fma_f32 v73, v62, v71, -v8
	v_fmac_f32_e32 v72, v62, v70
	v_mul_f32_e32 v75, v65, v70
	v_mul_f32_e32 v88, v65, v71
	v_fma_f32 v87, v66, v71, -v74
	v_fmac_f32_e32 v86, v66, v70
	ds_write_b64 v82, v[72:73]
	v_mul_f32_e32 v85, v61, v70
	v_mul_f32_e32 v90, v61, v71
	v_fma_f32 v89, v64, v71, -v75
	v_fmac_f32_e32 v88, v64, v70
	ds_read_b64 v[74:75], v81 offset:392
	ds_write_b64 v82, v[86:87] offset:536
	v_fma_f32 v91, v60, v71, -v85
	v_fmac_f32_e32 v90, v60, v70
	ds_read_b64 v[72:73], v81 offset:400
	ds_write_b64 v82, v[88:89] offset:1072
	ds_read_b64 v[70:71], v81 offset:408
	ds_write_b64 v82, v[90:91] offset:1608
	s_waitcnt lgkmcnt(0)
	s_barrier
	ds_read2_b64 v[86:89], v80 offset1:1
	ds_read2_b64 v[90:93], v80 offset0:2 offset1:3
	s_waitcnt lgkmcnt(0)
	s_barrier
	v_pk_add_f32 v[86:87], v[86:87], 0 op_sel_hi:[1,0]
	ds_write2_b64 v83, v[102:103], v[104:105] offset1:16
	v_pk_add_f32 v[86:87], v[86:87], v[88:89]
	s_nop 0
	v_pk_add_f32 v[86:87], v[86:87], v[90:91]
	s_nop 0
	v_pk_add_f32 v[86:87], v[86:87], v[92:93]
	ds_write2_b64 v83, v[94:95], v[86:87] offset0:32 offset1:48
	s_waitcnt lgkmcnt(0)
	s_barrier
	s_and_saveexec_b64 s[46:47], s[4:5]
	s_cbranch_execz .LBB40_128
; %bb.132:                              ;   in Loop: Header=BB40_129 Depth=1
	ds_read_b64 v[94:95], v78
	ds_read2_b64 v[86:89], v78 offset0:1 offset1:2
	ds_read2_b64 v[90:93], v78 offset0:3 offset1:4
	s_waitcnt lgkmcnt(1)
	v_add_f32_e32 v8, v86, v94
	v_add_f32_e32 v85, v87, v95
	;; [unrolled: 1-line block ×4, first 2 shown]
	ds_read2_b64 v[86:89], v78 offset0:5 offset1:6
	s_waitcnt lgkmcnt(1)
	v_add_f32_e32 v8, v8, v90
	v_add_f32_e32 v85, v85, v91
	;; [unrolled: 1-line block ×4, first 2 shown]
	ds_read2_b64 v[90:93], v78 offset0:7 offset1:8
	s_waitcnt lgkmcnt(1)
	v_pk_add_f32 v[86:87], v[94:95], v[86:87]
	ds_read2_b64 v[94:97], v78 offset0:9 offset1:10
	v_pk_add_f32 v[86:87], v[86:87], v[88:89]
	v_add_u32_e32 v8, s3, v84
	s_waitcnt lgkmcnt(1)
	v_pk_add_f32 v[86:87], v[86:87], v[90:91]
	v_lshl_add_u64 v[98:99], v[8:9], 3, s[6:7]
	v_pk_add_f32 v[90:91], v[86:87], v[92:93]
	ds_read2_b64 v[86:89], v78 offset0:11 offset1:12
	s_waitcnt lgkmcnt(1)
	v_pk_add_f32 v[94:95], v[90:91], v[94:95]
	ds_read2_b64 v[90:93], v78 offset0:13 offset1:14
	v_pk_add_f32 v[94:95], v[94:95], v[96:97]
	ds_read_b64 v[96:97], v79
	s_waitcnt lgkmcnt(2)
	v_pk_add_f32 v[86:87], v[94:95], v[86:87]
	s_nop 0
	v_pk_add_f32 v[86:87], v[86:87], v[88:89]
	s_waitcnt lgkmcnt(1)
	v_pk_add_f32 v[86:87], v[86:87], v[90:91]
	s_nop 0
	v_pk_add_f32 v[86:87], v[86:87], v[92:93]
	s_waitcnt lgkmcnt(0)
	v_pk_add_f32 v[86:87], v[86:87], v[96:97]
	global_store_dwordx2 v[98:99], v[86:87], off
	s_branch .LBB40_128
.LBB40_133:
	s_movk_i32 s2, 0x218
	s_or_b64 s[0:1], s[0:1], vcc
	v_mad_u32_u24 v0, v76, s2, v4
	s_xor_b64 s[0:1], s[0:1], -1
	ds_write_b64 v0, v[18:19]
	s_waitcnt lgkmcnt(0)
	s_barrier
	s_and_saveexec_b64 s[2:3], s[0:1]
	s_cbranch_execz .LBB40_135
; %bb.134:
	ds_read2_b64 v[0:3], v4 offset1:67
	ds_read2_b64 v[4:7], v4 offset0:134 offset1:201
	v_lshl_add_u64 v[8:9], v[16:17], 3, s[6:7]
	s_waitcnt lgkmcnt(1)
	v_pk_add_f32 v[0:1], v[2:3], v[0:1]
	s_waitcnt lgkmcnt(0)
	v_pk_add_f32 v[0:1], v[0:1], v[4:5]
	s_nop 0
	v_pk_add_f32 v[0:1], v[0:1], v[6:7]
	global_store_dwordx2 v[8:9], v[0:1], off
.LBB40_135:
	s_endpgm
	.section	.rodata,"a",@progbits
	.p2align	6, 0x0
	.amdhsa_kernel _ZL26rocblas_hemvn_kernel_lowerILb1ELi64ELi4ELi33ELi32ELi16ElPK19rocblas_complex_numIfEPKS3_PS1_EviT6_lT7_lT5_lS8_lS9_lS7_lT8_i
		.amdhsa_group_segment_fixed_size 9600
		.amdhsa_private_segment_fixed_size 0
		.amdhsa_kernarg_size 376
		.amdhsa_user_sgpr_count 2
		.amdhsa_user_sgpr_dispatch_ptr 0
		.amdhsa_user_sgpr_queue_ptr 0
		.amdhsa_user_sgpr_kernarg_segment_ptr 1
		.amdhsa_user_sgpr_dispatch_id 0
		.amdhsa_user_sgpr_kernarg_preload_length 0
		.amdhsa_user_sgpr_kernarg_preload_offset 0
		.amdhsa_user_sgpr_private_segment_size 0
		.amdhsa_uses_dynamic_stack 0
		.amdhsa_enable_private_segment 0
		.amdhsa_system_sgpr_workgroup_id_x 1
		.amdhsa_system_sgpr_workgroup_id_y 0
		.amdhsa_system_sgpr_workgroup_id_z 1
		.amdhsa_system_sgpr_workgroup_info 0
		.amdhsa_system_vgpr_workitem_id 1
		.amdhsa_next_free_vgpr 106
		.amdhsa_next_free_sgpr 50
		.amdhsa_accum_offset 108
		.amdhsa_reserve_vcc 1
		.amdhsa_float_round_mode_32 0
		.amdhsa_float_round_mode_16_64 0
		.amdhsa_float_denorm_mode_32 3
		.amdhsa_float_denorm_mode_16_64 3
		.amdhsa_dx10_clamp 1
		.amdhsa_ieee_mode 1
		.amdhsa_fp16_overflow 0
		.amdhsa_tg_split 0
		.amdhsa_exception_fp_ieee_invalid_op 0
		.amdhsa_exception_fp_denorm_src 0
		.amdhsa_exception_fp_ieee_div_zero 0
		.amdhsa_exception_fp_ieee_overflow 0
		.amdhsa_exception_fp_ieee_underflow 0
		.amdhsa_exception_fp_ieee_inexact 0
		.amdhsa_exception_int_div_zero 0
	.end_amdhsa_kernel
	.section	.text._ZL26rocblas_hemvn_kernel_lowerILb1ELi64ELi4ELi33ELi32ELi16ElPK19rocblas_complex_numIfEPKS3_PS1_EviT6_lT7_lT5_lS8_lS9_lS7_lT8_i,"axG",@progbits,_ZL26rocblas_hemvn_kernel_lowerILb1ELi64ELi4ELi33ELi32ELi16ElPK19rocblas_complex_numIfEPKS3_PS1_EviT6_lT7_lT5_lS8_lS9_lS7_lT8_i,comdat
.Lfunc_end40:
	.size	_ZL26rocblas_hemvn_kernel_lowerILb1ELi64ELi4ELi33ELi32ELi16ElPK19rocblas_complex_numIfEPKS3_PS1_EviT6_lT7_lT5_lS8_lS9_lS7_lT8_i, .Lfunc_end40-_ZL26rocblas_hemvn_kernel_lowerILb1ELi64ELi4ELi33ELi32ELi16ElPK19rocblas_complex_numIfEPKS3_PS1_EviT6_lT7_lT5_lS8_lS9_lS7_lT8_i
                                        ; -- End function
	.section	.AMDGPU.csdata,"",@progbits
; Kernel info:
; codeLenInByte = 8212
; NumSgprs: 56
; NumVgprs: 106
; NumAgprs: 0
; TotalNumVgprs: 106
; ScratchSize: 0
; MemoryBound: 1
; FloatMode: 240
; IeeeMode: 1
; LDSByteSize: 9600 bytes/workgroup (compile time only)
; SGPRBlocks: 6
; VGPRBlocks: 13
; NumSGPRsForWavesPerEU: 56
; NumVGPRsForWavesPerEU: 106
; AccumOffset: 108
; Occupancy: 4
; WaveLimiterHint : 1
; COMPUTE_PGM_RSRC2:SCRATCH_EN: 0
; COMPUTE_PGM_RSRC2:USER_SGPR: 2
; COMPUTE_PGM_RSRC2:TRAP_HANDLER: 0
; COMPUTE_PGM_RSRC2:TGID_X_EN: 1
; COMPUTE_PGM_RSRC2:TGID_Y_EN: 0
; COMPUTE_PGM_RSRC2:TGID_Z_EN: 1
; COMPUTE_PGM_RSRC2:TIDIG_COMP_CNT: 1
; COMPUTE_PGM_RSRC3_GFX90A:ACCUM_OFFSET: 26
; COMPUTE_PGM_RSRC3_GFX90A:TG_SPLIT: 0
	.section	.text._ZL36rocblas_hemvn_kernel_lower_block_sumILi64ElPK19rocblas_complex_numIfEPKPS1_S1_EviT1_lS7_lT2_lT0_lPT3_i,"axG",@progbits,_ZL36rocblas_hemvn_kernel_lower_block_sumILi64ElPK19rocblas_complex_numIfEPKPS1_S1_EviT1_lS7_lT2_lT0_lPT3_i,comdat
	.globl	_ZL36rocblas_hemvn_kernel_lower_block_sumILi64ElPK19rocblas_complex_numIfEPKPS1_S1_EviT1_lS7_lT2_lT0_lPT3_i ; -- Begin function _ZL36rocblas_hemvn_kernel_lower_block_sumILi64ElPK19rocblas_complex_numIfEPKPS1_S1_EviT1_lS7_lT2_lT0_lPT3_i
	.p2align	8
	.type	_ZL36rocblas_hemvn_kernel_lower_block_sumILi64ElPK19rocblas_complex_numIfEPKPS1_S1_EviT1_lS7_lT2_lT0_lPT3_i,@function
_ZL36rocblas_hemvn_kernel_lower_block_sumILi64ElPK19rocblas_complex_numIfEPKPS1_S1_EviT1_lS7_lT2_lT0_lPT3_i: ; @_ZL36rocblas_hemvn_kernel_lower_block_sumILi64ElPK19rocblas_complex_numIfEPKPS1_S1_EviT1_lS7_lT2_lT0_lPT3_i
; %bb.0:
	s_load_dwordx8 s[16:23], s[0:1], 0x8
	s_mov_b32 s14, s3
	s_mov_b32 s15, 0
	s_waitcnt lgkmcnt(0)
	s_mul_i32 s3, s3, s19
	s_mul_hi_u32 s4, s14, s18
	s_add_i32 s5, s4, s3
	s_mul_i32 s4, s14, s18
	s_lshl_b64 s[4:5], s[4:5], 3
	s_add_u32 s4, s16, s4
	s_mul_i32 s3, s14, s23
	s_mul_hi_u32 s6, s14, s22
	s_addc_u32 s5, s17, s5
	s_add_i32 s7, s6, s3
	s_mul_i32 s6, s14, s22
	s_load_dwordx2 s[8:9], s[4:5], 0x0
	s_lshl_b64 s[4:5], s[6:7], 3
	s_add_u32 s4, s20, s4
	s_addc_u32 s5, s21, s5
	s_load_dwordx2 s[10:11], s[4:5], 0x0
	s_waitcnt lgkmcnt(0)
	s_or_b32 s3, s8, s9
	s_bitset0_b32 s3, 31
	s_cmp_eq_u32 s3, 0
	s_cselect_b64 s[18:19], -1, 0
	v_cmp_eq_f32_e64 s[4:5], s10, 1.0
	v_cmp_eq_f32_e64 s[6:7], s11, 0
	s_and_b64 s[4:5], s[4:5], s[6:7]
	s_and_b64 s[4:5], s[18:19], s[4:5]
	s_and_b64 vcc, exec, s[4:5]
	s_cbranch_vccnz .LBB41_17
; %bb.1:
	s_load_dwordx2 s[12:13], s[0:1], 0x28
	s_load_dword s16, s[0:1], 0x0
	s_load_dwordx4 s[4:7], s[0:1], 0x30
	s_lshl_b64 s[20:21], s[14:15], 3
	v_lshl_or_b32 v8, s2, 6, v0
	s_waitcnt lgkmcnt(0)
	s_add_u32 s12, s12, s20
	s_addc_u32 s13, s13, s21
	s_load_dwordx2 s[12:13], s[12:13], 0x0
	s_lshl_b64 s[4:5], s[4:5], 3
	s_mov_b64 s[20:21], -1
	s_waitcnt lgkmcnt(0)
	s_add_u32 s12, s12, s4
	s_addc_u32 s13, s13, s5
	s_andn2_b64 vcc, exec, s[18:19]
	v_cmp_gt_i32_e64 s[4:5], s16, v8
	s_cbranch_vccnz .LBB41_7
; %bb.2:
	s_and_saveexec_b64 s[18:19], s[4:5]
	s_cbranch_execz .LBB41_6
; %bb.3:
	v_ashrrev_i32_e32 v0, 31, v8
	v_cmp_neq_f32_e64 s[4:5], s10, 0
	v_cmp_neq_f32_e64 s[20:21], s11, 0
	v_mul_lo_u32 v2, v8, s7
	v_mul_lo_u32 v3, v0, s6
	v_mad_u64_u32 v[0:1], s[22:23], v8, s6, 0
	v_add3_u32 v1, v1, v2, v3
	s_or_b64 s[4:5], s[4:5], s[20:21]
	s_andn2_b64 vcc, exec, s[4:5]
	v_mov_b32_e32 v2, 0
	v_lshl_add_u64 v[0:1], v[0:1], 3, s[12:13]
	v_mov_b32_e32 v3, 0
	s_cbranch_vccnz .LBB41_5
; %bb.4:
	global_load_dwordx2 v[4:5], v[0:1], off
	s_waitcnt vmcnt(0)
	v_pk_mul_f32 v[6:7], v[4:5], s[10:11] op_sel:[1,0]
	s_nop 0
	v_pk_fma_f32 v[2:3], v[4:5], s[10:11], v[6:7] op_sel:[0,0,1] op_sel_hi:[1,1,0] neg_lo:[0,0,1] neg_hi:[0,0,1]
	v_pk_fma_f32 v[4:5], v[4:5], s[10:11], v[6:7] op_sel:[0,0,1] op_sel_hi:[0,1,0]
	v_mov_b32_e32 v3, v5
.LBB41_5:
	global_store_dwordx2 v[0:1], v[2:3], off
.LBB41_6:
	s_or_b64 exec, exec, s[18:19]
	s_mov_b64 s[20:21], 0
.LBB41_7:
	s_andn2_b64 vcc, exec, s[20:21]
	s_cbranch_vccnz .LBB41_17
; %bb.8:
	v_cmp_gt_i32_e32 vcc, s16, v8
	s_and_saveexec_b64 s[4:5], vcc
	s_cbranch_execz .LBB41_17
; %bb.9:
	s_load_dword s3, s[0:1], 0x58
	v_mov_b32_e32 v1, 0
	v_mov_b32_e32 v0, v1
	s_waitcnt lgkmcnt(0)
	s_cmp_ge_i32 s2, s3
	s_cbranch_scc1 .LBB41_12
; %bb.10:
	s_ashr_i32 s17, s16, 31
	s_mul_i32 s4, s2, s16
	s_load_dwordx2 s[0:1], s[0:1], 0x48
	v_add_u32_e32 v0, s4, v8
	s_mul_hi_u32 s4, s16, s14
	s_mul_i32 s5, s17, s14
	s_add_i32 s4, s4, s5
	s_mul_i32 s14, s16, s14
	s_mul_i32 s4, s4, s3
	s_mul_hi_u32 s5, s14, s3
	s_add_i32 s5, s5, s4
	s_mul_i32 s4, s14, s3
	s_lshl_b64 s[4:5], s[4:5], 3
	s_waitcnt lgkmcnt(0)
	s_add_u32 s0, s0, s4
	v_ashrrev_i32_e32 v1, 31, v0
	s_addc_u32 s1, s1, s5
	v_lshl_add_u64 v[2:3], v[0:1], 3, s[0:1]
	v_mov_b32_e32 v0, 0
	s_lshl_b64 s[0:1], s[16:17], 3
	v_mov_b32_e32 v1, v0
.LBB41_11:                              ; =>This Inner Loop Header: Depth=1
	global_load_dwordx2 v[4:5], v[2:3], off
	s_add_i32 s2, s2, 1
	v_lshl_add_u64 v[2:3], v[2:3], 0, s[0:1]
	s_cmp_ge_i32 s2, s3
	s_waitcnt vmcnt(0)
	v_pk_add_f32 v[0:1], v[0:1], v[4:5]
	s_cbranch_scc0 .LBB41_11
.LBB41_12:
	v_cmp_neq_f32_e64 s[0:1], s10, 0
	v_cmp_neq_f32_e64 s[2:3], s11, 0
	s_or_b64 s[0:1], s[0:1], s[2:3]
	v_pk_mul_f32 v[6:7], v[0:1], s[8:9] op_sel:[1,0]
	v_ashrrev_i32_e32 v4, 31, v8
	s_andn2_b64 vcc, exec, s[0:1]
	v_pk_fma_f32 v[2:3], v[0:1], s[8:9], v[6:7] op_sel:[0,0,1] op_sel_hi:[0,1,0]
	v_mul_lo_u32 v9, v8, s7
	v_mul_lo_u32 v10, v4, s6
	s_cbranch_vccz .LBB41_14
; %bb.13:
	v_pk_mul_f32 v[12:13], v[0:1], s[8:9] op_sel_hi:[0,1]
	v_mad_u64_u32 v[4:5], s[0:1], v8, s6, 0
	v_add3_u32 v5, v5, v9, v10
	v_sub_f32_e32 v2, v12, v7
	s_cbranch_execz .LBB41_15
	s_branch .LBB41_16
.LBB41_14:
                                        ; implicit-def: $vgpr4_vgpr5
.LBB41_15:
	v_mad_u64_u32 v[4:5], s[0:1], v8, s6, 0
	v_add3_u32 v5, v5, v9, v10
	v_lshl_add_u64 v[8:9], v[4:5], 3, s[12:13]
	global_load_dwordx2 v[8:9], v[8:9], off
	v_pk_fma_f32 v[0:1], v[0:1], s[8:9], v[6:7] op_sel:[0,0,1] op_sel_hi:[1,1,0] neg_lo:[0,0,1] neg_hi:[0,0,1]
	s_waitcnt vmcnt(0)
	v_pk_mul_f32 v[6:7], v[8:9], s[10:11] op_sel:[1,0]
	s_nop 0
	v_pk_fma_f32 v[10:11], v[8:9], s[10:11], v[6:7] op_sel:[0,0,1] op_sel_hi:[1,1,0] neg_lo:[0,0,1] neg_hi:[0,0,1]
	v_pk_fma_f32 v[6:7], v[8:9], s[10:11], v[6:7] op_sel:[0,0,1] op_sel_hi:[0,1,0]
	v_mov_b32_e32 v11, v7
	v_mov_b32_e32 v1, v3
	v_pk_add_f32 v[2:3], v[0:1], v[10:11]
.LBB41_16:
	v_lshl_add_u64 v[0:1], v[4:5], 3, s[12:13]
	global_store_dwordx2 v[0:1], v[2:3], off
.LBB41_17:
	s_endpgm
	.section	.rodata,"a",@progbits
	.p2align	6, 0x0
	.amdhsa_kernel _ZL36rocblas_hemvn_kernel_lower_block_sumILi64ElPK19rocblas_complex_numIfEPKPS1_S1_EviT1_lS7_lT2_lT0_lPT3_i
		.amdhsa_group_segment_fixed_size 0
		.amdhsa_private_segment_fixed_size 0
		.amdhsa_kernarg_size 344
		.amdhsa_user_sgpr_count 2
		.amdhsa_user_sgpr_dispatch_ptr 0
		.amdhsa_user_sgpr_queue_ptr 0
		.amdhsa_user_sgpr_kernarg_segment_ptr 1
		.amdhsa_user_sgpr_dispatch_id 0
		.amdhsa_user_sgpr_kernarg_preload_length 0
		.amdhsa_user_sgpr_kernarg_preload_offset 0
		.amdhsa_user_sgpr_private_segment_size 0
		.amdhsa_uses_dynamic_stack 0
		.amdhsa_enable_private_segment 0
		.amdhsa_system_sgpr_workgroup_id_x 1
		.amdhsa_system_sgpr_workgroup_id_y 0
		.amdhsa_system_sgpr_workgroup_id_z 1
		.amdhsa_system_sgpr_workgroup_info 0
		.amdhsa_system_vgpr_workitem_id 0
		.amdhsa_next_free_vgpr 14
		.amdhsa_next_free_sgpr 24
		.amdhsa_accum_offset 16
		.amdhsa_reserve_vcc 1
		.amdhsa_float_round_mode_32 0
		.amdhsa_float_round_mode_16_64 0
		.amdhsa_float_denorm_mode_32 3
		.amdhsa_float_denorm_mode_16_64 3
		.amdhsa_dx10_clamp 1
		.amdhsa_ieee_mode 1
		.amdhsa_fp16_overflow 0
		.amdhsa_tg_split 0
		.amdhsa_exception_fp_ieee_invalid_op 0
		.amdhsa_exception_fp_denorm_src 0
		.amdhsa_exception_fp_ieee_div_zero 0
		.amdhsa_exception_fp_ieee_overflow 0
		.amdhsa_exception_fp_ieee_underflow 0
		.amdhsa_exception_fp_ieee_inexact 0
		.amdhsa_exception_int_div_zero 0
	.end_amdhsa_kernel
	.section	.text._ZL36rocblas_hemvn_kernel_lower_block_sumILi64ElPK19rocblas_complex_numIfEPKPS1_S1_EviT1_lS7_lT2_lT0_lPT3_i,"axG",@progbits,_ZL36rocblas_hemvn_kernel_lower_block_sumILi64ElPK19rocblas_complex_numIfEPKPS1_S1_EviT1_lS7_lT2_lT0_lPT3_i,comdat
.Lfunc_end41:
	.size	_ZL36rocblas_hemvn_kernel_lower_block_sumILi64ElPK19rocblas_complex_numIfEPKPS1_S1_EviT1_lS7_lT2_lT0_lPT3_i, .Lfunc_end41-_ZL36rocblas_hemvn_kernel_lower_block_sumILi64ElPK19rocblas_complex_numIfEPKPS1_S1_EviT1_lS7_lT2_lT0_lPT3_i
                                        ; -- End function
	.section	.AMDGPU.csdata,"",@progbits
; Kernel info:
; codeLenInByte = 772
; NumSgprs: 30
; NumVgprs: 14
; NumAgprs: 0
; TotalNumVgprs: 14
; ScratchSize: 0
; MemoryBound: 0
; FloatMode: 240
; IeeeMode: 1
; LDSByteSize: 0 bytes/workgroup (compile time only)
; SGPRBlocks: 3
; VGPRBlocks: 1
; NumSGPRsForWavesPerEU: 30
; NumVGPRsForWavesPerEU: 14
; AccumOffset: 16
; Occupancy: 8
; WaveLimiterHint : 1
; COMPUTE_PGM_RSRC2:SCRATCH_EN: 0
; COMPUTE_PGM_RSRC2:USER_SGPR: 2
; COMPUTE_PGM_RSRC2:TRAP_HANDLER: 0
; COMPUTE_PGM_RSRC2:TGID_X_EN: 1
; COMPUTE_PGM_RSRC2:TGID_Y_EN: 0
; COMPUTE_PGM_RSRC2:TGID_Z_EN: 1
; COMPUTE_PGM_RSRC2:TIDIG_COMP_CNT: 0
; COMPUTE_PGM_RSRC3_GFX90A:ACCUM_OFFSET: 3
; COMPUTE_PGM_RSRC3_GFX90A:TG_SPLIT: 0
	.section	.text._ZL26rocblas_hemvn_kernel_lowerILb1ELi64ELi4ELi33ELi32ELi16EiPK19rocblas_complex_numIfEPKS3_PS1_EviT6_lT7_lT5_lS8_lS9_lS7_lT8_i,"axG",@progbits,_ZL26rocblas_hemvn_kernel_lowerILb1ELi64ELi4ELi33ELi32ELi16EiPK19rocblas_complex_numIfEPKS3_PS1_EviT6_lT7_lT5_lS8_lS9_lS7_lT8_i,comdat
	.globl	_ZL26rocblas_hemvn_kernel_lowerILb1ELi64ELi4ELi33ELi32ELi16EiPK19rocblas_complex_numIfEPKS3_PS1_EviT6_lT7_lT5_lS8_lS9_lS7_lT8_i ; -- Begin function _ZL26rocblas_hemvn_kernel_lowerILb1ELi64ELi4ELi33ELi32ELi16EiPK19rocblas_complex_numIfEPKS3_PS1_EviT6_lT7_lT5_lS8_lS9_lS7_lT8_i
	.p2align	8
	.type	_ZL26rocblas_hemvn_kernel_lowerILb1ELi64ELi4ELi33ELi32ELi16EiPK19rocblas_complex_numIfEPKS3_PS1_EviT6_lT7_lT5_lS8_lS9_lS7_lT8_i,@function
_ZL26rocblas_hemvn_kernel_lowerILb1ELi64ELi4ELi33ELi32ELi16EiPK19rocblas_complex_numIfEPKS3_PS1_EviT6_lT7_lT5_lS8_lS9_lS7_lT8_i: ; @_ZL26rocblas_hemvn_kernel_lowerILb1ELi64ELi4ELi33ELi32ELi16EiPK19rocblas_complex_numIfEPKS3_PS1_EviT6_lT7_lT5_lS8_lS9_lS7_lT8_i
; %bb.0:
	s_load_dwordx2 s[4:5], s[0:1], 0x84
	s_add_u32 s12, s0, 0x78
	s_mov_b32 s20, s3
	s_addc_u32 s13, s1, 0
	s_waitcnt lgkmcnt(0)
	s_and_b32 s3, s5, 0xffff
	s_lshr_b32 s5, s4, 16
	s_and_b32 s4, s4, 0xffff
	s_mul_i32 s4, s5, s4
	s_mul_i32 s4, s4, s3
	s_cmpk_lg_i32 s4, 0x100
	s_cbranch_scc1 .LBB42_135
; %bb.1:
	s_load_dwordx8 s[4:11], s[0:1], 0x8
	s_mov_b32 s21, 0
	s_waitcnt lgkmcnt(0)
	s_mul_i32 s3, s20, s7
	s_mul_hi_u32 s7, s20, s6
	s_add_i32 s7, s7, s3
	s_mul_i32 s6, s20, s6
	s_lshl_b64 s[6:7], s[6:7], 3
	s_add_u32 s14, s4, s6
	s_addc_u32 s15, s5, s7
	s_load_dwordx2 s[16:17], s[14:15], 0x0
	s_load_dwordx2 s[22:23], s[0:1], 0x68
	s_load_dwordx4 s[4:7], s[0:1], 0x58
	s_waitcnt lgkmcnt(0)
	s_or_b32 s3, s16, s17
	s_bitset0_b32 s3, 31
	s_cmp_lg_u32 s3, 0
	s_cselect_b64 s[14:15], -1, 0
	s_and_b64 vcc, exec, s[14:15]
	s_cbranch_vccnz .LBB42_4
; %bb.2:
	s_mul_i32 s3, s20, s7
	s_mul_hi_u32 s7, s20, s6
	s_add_i32 s7, s7, s3
	s_mul_i32 s6, s20, s6
	s_lshl_b64 s[6:7], s[6:7], 3
	s_add_u32 s4, s4, s6
	s_addc_u32 s5, s5, s7
	s_load_dwordx2 s[4:5], s[4:5], 0x0
	s_mov_b64 s[16:17], 0
	s_waitcnt lgkmcnt(0)
	v_cmp_eq_f32_e64 s[6:7], s4, 1.0
	v_cmp_eq_f32_e64 s[4:5], s5, 0
	s_and_b64 s[4:5], s[6:7], s[4:5]
	s_andn2_b64 vcc, exec, s[4:5]
	s_mov_b64 s[4:5], 0
                                        ; implicit-def: $sgpr6_sgpr7
	s_cbranch_vccz .LBB42_5
; %bb.3:
	s_mov_b64 s[4:5], -1
	s_mov_b64 s[6:7], 0
	s_branch .LBB42_5
.LBB42_4:
	s_mov_b64 s[16:17], -1
	s_mov_b64 s[4:5], 0
                                        ; implicit-def: $sgpr6_sgpr7
.LBB42_5:
	s_and_b64 vcc, exec, s[16:17]
	s_cbranch_vccz .LBB42_7
; %bb.6:
	s_lshl_b64 s[4:5], s[20:21], 3
	s_add_u32 s4, s8, s4
	s_addc_u32 s5, s9, s5
	s_load_dwordx2 s[4:5], s[4:5], 0x0
	s_lshl_b64 s[6:7], s[10:11], 3
	s_waitcnt lgkmcnt(0)
	s_add_u32 s6, s4, s6
	s_addc_u32 s7, s5, s7
	s_mov_b64 s[4:5], -1
.LBB42_7:
	s_andn2_b64 vcc, exec, s[4:5]
	s_cbranch_vccnz .LBB42_135
; %bb.8:
	v_cndmask_b32_e64 v1, 0, 1, s[14:15]
	v_cmp_ne_u32_e64 s[4:5], 1, v1
	s_andn2_b64 vcc, exec, s[14:15]
	s_mov_b64 s[8:9], 0
	s_cbranch_vccnz .LBB42_10
; %bb.9:
	s_load_dwordx4 s[8:11], s[0:1], 0x38
	s_lshl_b64 s[14:15], s[20:21], 3
	s_waitcnt lgkmcnt(0)
	s_add_u32 s8, s8, s14
	s_addc_u32 s9, s9, s15
	s_load_dwordx2 s[8:9], s[8:9], 0x0
	s_lshl_b64 s[10:11], s[10:11], 3
	s_waitcnt lgkmcnt(0)
	s_add_u32 s8, s8, s10
	s_addc_u32 s9, s9, s11
.LBB42_10:
	s_and_b64 vcc, exec, s[4:5]
	s_cbranch_vccnz .LBB42_135
; %bb.11:
	s_load_dword s33, s[12:13], 0x0
	s_load_dword s21, s[0:1], 0x0
	;; [unrolled: 1-line block ×3, first 2 shown]
	v_and_b32_e32 v26, 0x3ff, v0
	s_lshl_b32 s28, s2, 6
	v_add_u32_e32 v16, s28, v26
	s_waitcnt lgkmcnt(0)
	s_ashr_i32 s40, s21, 31
	s_lshr_b32 s5, s40, 26
	s_add_i32 s5, s21, s5
	s_andn2_b32 s5, s5, 63
	v_bfe_u32 v17, v0, 10, 10
	s_add_i32 s4, s33, -1
	s_sub_i32 s5, s21, s5
	v_mul_lo_u32 v0, v16, s3
	s_cmp_eq_u32 s2, s4
	v_ashrrev_i32_e32 v1, 31, v0
	s_cselect_b32 s26, s5, 0
	v_lshl_add_u64 v[20:21], v[0:1], 3, s[8:9]
	v_cmp_ne_u32_e64 s[16:17], 0, v17
	v_cmp_eq_u32_e64 s[18:19], 0, v17
	s_and_saveexec_b64 s[4:5], s[18:19]
	s_cbranch_execz .LBB42_16
; %bb.12:
	s_cmp_lg_u32 s26, 0
	s_cselect_b64 s[8:9], -1, 0
	v_cmp_le_i32_e32 vcc, s26, v26
	v_mov_b32_e32 v0, 0x2380
	s_and_b64 s[8:9], s[8:9], vcc
	v_lshl_add_u32 v0, v26, 3, v0
	s_and_saveexec_b64 s[10:11], s[8:9]
	s_xor_b64 s[8:9], exec, s[10:11]
	s_cbranch_execz .LBB42_14
; %bb.13:
	v_mov_b32_e32 v2, 0
	v_mov_b32_e32 v3, v2
	ds_write_b64 v0, v[2:3]
                                        ; implicit-def: $vgpr0
.LBB42_14:
	s_andn2_saveexec_b64 s[8:9], s[8:9]
	s_cbranch_execz .LBB42_16
; %bb.15:
	flat_load_dwordx2 v[2:3], v[20:21]
	s_waitcnt vmcnt(0) lgkmcnt(0)
	ds_write_b64 v0, v[2:3]
.LBB42_16:
	s_or_b64 exec, exec, s[4:5]
	s_load_dword s24, s[0:1], 0x28
	s_ashr_i32 s29, s28, 31
	v_lshl_add_u32 v27, v17, 6, v26
	s_lshl_b64 s[0:1], s[28:29], 3
	v_and_b32_e32 v0, 31, v26
	v_lshrrev_b32_e32 v1, 5, v27
	s_add_u32 s4, s6, s0
	s_addc_u32 s5, s7, s1
	s_waitcnt lgkmcnt(0)
	v_mad_u64_u32 v[22:23], s[0:1], v1, s24, v[0:1]
	s_mul_i32 s0, s28, s24
	s_ashr_i32 s1, s0, 31
	s_lshl_b64 s[30:31], s[0:1], 3
	s_add_u32 s0, s30, s4
	s_addc_u32 s1, s31, s5
	s_cmp_lg_u32 s26, 0
	v_ashrrev_i32_e32 v23, 31, v22
	s_cselect_b64 s[34:35], -1, 0
	s_cmp_eq_u32 s26, 0
	v_lshl_add_u64 v[2:3], v[22:23], 3, s[0:1]
	s_cselect_b64 s[36:37], -1, 0
	s_and_b64 vcc, exec, s[34:35]
	s_cbranch_vccnz .LBB42_18
; %bb.17:
	flat_load_dwordx2 v[4:5], v[2:3]
	v_mul_u32_u24_e32 v6, 33, v1
	s_lshl_b32 s0, s24, 3
	v_add_lshl_u32 v8, v6, v0, 3
	s_ashr_i32 s1, s0, 31
	v_lshl_add_u64 v[6:7], s[0:1], 3, v[2:3]
	s_ashr_i32 s25, s24, 31
	s_lshl_b64 s[0:1], s[24:25], 6
	s_waitcnt vmcnt(0) lgkmcnt(0)
	ds_write_b64 v8, v[4:5]
	flat_load_dwordx2 v[4:5], v[6:7]
	v_lshl_add_u64 v[6:7], v[6:7], 0, s[0:1]
	s_waitcnt vmcnt(0) lgkmcnt(0)
	ds_write_b64 v8, v[4:5] offset:2112
	flat_load_dwordx2 v[4:5], v[6:7]
	v_lshl_add_u64 v[6:7], v[6:7], 0, s[0:1]
	s_waitcnt vmcnt(0) lgkmcnt(0)
	ds_write_b64 v8, v[4:5] offset:4224
	flat_load_dwordx2 v[4:5], v[6:7]
	s_waitcnt vmcnt(0) lgkmcnt(0)
	ds_write_b64 v8, v[4:5] offset:6336
	s_cbranch_execz .LBB42_19
	s_branch .LBB42_34
.LBB42_18:
.LBB42_19:
	v_lshlrev_b32_e32 v4, 3, v0
	v_sub_co_u32_e32 v6, vcc, v2, v4
	s_ashr_i32 s27, s26, 31
	s_nop 0
	v_subbrev_co_u32_e32 v7, vcc, 0, v3, vcc
	v_lshl_add_u64 v[6:7], s[26:27], 3, v[6:7]
	v_lshl_add_u64 v[6:7], v[6:7], 0, -8
	v_cmp_gt_i32_e32 vcc, s26, v0
	v_mov_b32_e32 v8, 0
	v_cmp_gt_i32_e64 s[0:1], s26, v1
	v_cndmask_b32_e32 v7, v7, v3, vcc
	v_cndmask_b32_e32 v6, v6, v2, vcc
	v_mov_b32_e32 v9, v8
	s_and_saveexec_b64 s[4:5], s[0:1]
	s_cbranch_execz .LBB42_21
; %bb.20:
	flat_load_dwordx2 v[8:9], v[6:7]
.LBB42_21:
	s_or_b64 exec, exec, s[4:5]
	v_mul_u32_u24_e32 v5, 33, v1
	v_add_lshl_u32 v5, v5, v0, 3
	s_waitcnt vmcnt(0) lgkmcnt(0)
	ds_write_b64 v5, v[8:9]
	v_add_u32_e32 v8, 8, v1
	v_cmp_le_i32_e64 s[0:1], s26, v8
	s_and_saveexec_b64 s[4:5], s[0:1]
	s_xor_b64 s[0:1], exec, s[4:5]
	s_cbranch_execz .LBB42_23
; %bb.22:
	v_mul_u32_u24_e32 v8, 33, v8
	v_add_lshl_u32 v10, v8, v0, 3
	v_mov_b32_e32 v8, 0
	v_mov_b32_e32 v9, v8
	ds_write_b64 v10, v[8:9]
.LBB42_23:
	s_andn2_saveexec_b64 s[0:1], s[0:1]
	s_cbranch_execz .LBB42_25
; %bb.24:
	s_lshl_b32 s4, s24, 3
	s_ashr_i32 s5, s4, 31
	v_lshl_add_u64 v[8:9], s[4:5], 3, v[6:7]
	flat_load_dwordx2 v[8:9], v[8:9]
	s_waitcnt vmcnt(0) lgkmcnt(0)
	ds_write_b64 v5, v[8:9] offset:2112
.LBB42_25:
	s_or_b64 exec, exec, s[0:1]
	v_add_u32_e32 v8, 16, v1
	v_cmp_le_i32_e64 s[0:1], s26, v8
	s_and_saveexec_b64 s[4:5], s[0:1]
	s_xor_b64 s[0:1], exec, s[4:5]
	s_cbranch_execz .LBB42_27
; %bb.26:
	v_mov_b32_e32 v8, 0
	v_mov_b32_e32 v9, v8
	ds_write_b64 v5, v[8:9] offset:4224
.LBB42_27:
	s_andn2_saveexec_b64 s[0:1], s[0:1]
	s_cbranch_execz .LBB42_29
; %bb.28:
	s_lshl_b32 s4, s24, 4
	s_ashr_i32 s5, s4, 31
	v_lshl_add_u64 v[8:9], s[4:5], 3, v[6:7]
	flat_load_dwordx2 v[8:9], v[8:9]
	s_waitcnt vmcnt(0) lgkmcnt(0)
	ds_write_b64 v5, v[8:9] offset:4224
.LBB42_29:
	s_or_b64 exec, exec, s[0:1]
	v_add_u32_e32 v8, 24, v1
	v_cmp_le_i32_e64 s[0:1], s26, v8
	s_and_saveexec_b64 s[4:5], s[0:1]
	s_xor_b64 s[0:1], exec, s[4:5]
	s_cbranch_execz .LBB42_31
; %bb.30:
	v_mov_b32_e32 v8, 0
	v_mov_b32_e32 v9, v8
	ds_write_b64 v5, v[8:9] offset:6336
                                        ; implicit-def: $vgpr5
.LBB42_31:
	s_andn2_saveexec_b64 s[0:1], s[0:1]
	s_cbranch_execz .LBB42_33
; %bb.32:
	s_mul_i32 s4, s24, 24
	s_ashr_i32 s5, s4, 31
	v_lshl_add_u64 v[8:9], s[4:5], 3, v[6:7]
	flat_load_dwordx2 v[8:9], v[8:9]
	s_waitcnt vmcnt(0) lgkmcnt(0)
	ds_write_b64 v5, v[8:9] offset:6336
.LBB42_33:
	s_or_b64 exec, exec, s[0:1]
	v_mov_b32_e32 v5, 0
	v_lshl_add_u64 v[4:5], v[6:7], 0, v[4:5]
	s_lshl_b64 s[0:1], s[26:27], 3
	v_mov_b32_e32 v6, s1
	v_subrev_co_u32_e64 v4, s[0:1], s0, v4
	s_nop 1
	v_subb_co_u32_e64 v5, s[0:1], v5, v6, s[0:1]
	v_lshl_add_u64 v[4:5], v[4:5], 0, 8
	v_cndmask_b32_e32 v3, v5, v3, vcc
	v_cndmask_b32_e32 v2, v4, v2, vcc
.LBB42_34:
	v_lshlrev_b32_e32 v8, 2, v1
	v_cmp_ge_u32_e64 s[6:7], v8, v0
	s_waitcnt lgkmcnt(0)
	s_barrier
	s_and_saveexec_b64 s[0:1], s[6:7]
	s_xor_b64 s[0:1], exec, s[0:1]
	s_cbranch_execz .LBB42_38
; %bb.35:
	v_cmp_eq_u32_e32 vcc, v8, v0
	s_and_saveexec_b64 s[4:5], vcc
	s_cbranch_execz .LBB42_37
; %bb.36:
	v_mul_u32_u24_e32 v4, 34, v0
	v_lshlrev_b32_e32 v4, 3, v4
	v_mov_b32_e32 v5, 0
	ds_write_b32 v4, v5 offset:4
.LBB42_37:
	s_or_b64 exec, exec, s[4:5]
.LBB42_38:
	s_or_saveexec_b64 s[0:1], s[0:1]
	v_mul_u32_u24_e32 v28, 33, v0
	v_add_lshl_u32 v12, v8, v28, 3
	s_xor_b64 exec, exec, s[0:1]
	s_cbranch_execz .LBB42_40
; %bb.39:
	v_mul_u32_u24_e32 v4, 0x84, v1
	v_add_lshl_u32 v4, v4, v0, 3
	ds_read_b64 v[4:5], v4
	s_waitcnt lgkmcnt(0)
	v_xor_b32_e32 v5, 0x80000000, v5
	ds_write_b64 v12, v[4:5]
.LBB42_40:
	s_or_b64 exec, exec, s[0:1]
	v_or_b32_e32 v9, 1, v8
	v_cmp_ge_u32_e64 s[8:9], v9, v0
	s_and_saveexec_b64 s[0:1], s[8:9]
	s_xor_b64 s[0:1], exec, s[0:1]
	s_cbranch_execz .LBB42_44
; %bb.41:
	v_cmp_eq_u32_e32 vcc, v9, v0
	s_and_saveexec_b64 s[4:5], vcc
	s_cbranch_execz .LBB42_43
; %bb.42:
	v_mul_u32_u24_e32 v4, 34, v0
	v_lshlrev_b32_e32 v4, 3, v4
	v_mov_b32_e32 v5, 0
	ds_write_b32 v4, v5 offset:4
.LBB42_43:
	s_or_b64 exec, exec, s[4:5]
.LBB42_44:
	s_or_saveexec_b64 s[0:1], s[0:1]
	v_mul_u32_u24_e32 v4, 33, v9
	s_xor_b64 exec, exec, s[0:1]
	s_cbranch_execz .LBB42_46
; %bb.45:
	v_add_lshl_u32 v5, v4, v0, 3
	ds_read_b64 v[6:7], v5
	s_waitcnt lgkmcnt(0)
	v_xor_b32_e32 v7, 0x80000000, v7
	ds_write_b64 v12, v[6:7] offset:8
.LBB42_46:
	s_or_b64 exec, exec, s[0:1]
	v_or_b32_e32 v10, 2, v8
	v_cmp_ge_u32_e64 s[10:11], v10, v0
	s_and_saveexec_b64 s[0:1], s[10:11]
	s_xor_b64 s[0:1], exec, s[0:1]
	s_cbranch_execz .LBB42_50
; %bb.47:
	v_cmp_eq_u32_e32 vcc, v10, v0
	s_and_saveexec_b64 s[4:5], vcc
	s_cbranch_execz .LBB42_49
; %bb.48:
	v_mul_u32_u24_e32 v5, 34, v0
	v_lshlrev_b32_e32 v5, 3, v5
	v_mov_b32_e32 v6, 0
	ds_write_b32 v5, v6 offset:4
.LBB42_49:
	s_or_b64 exec, exec, s[4:5]
.LBB42_50:
	s_andn2_saveexec_b64 s[0:1], s[0:1]
	s_cbranch_execz .LBB42_52
; %bb.51:
	v_mul_u32_u24_e32 v5, 33, v10
	v_add_lshl_u32 v5, v5, v0, 3
	ds_read_b64 v[6:7], v5
	s_waitcnt lgkmcnt(0)
	v_xor_b32_e32 v7, 0x80000000, v7
	ds_write_b64 v12, v[6:7] offset:16
.LBB42_52:
	s_or_b64 exec, exec, s[0:1]
	v_or_b32_e32 v11, 3, v8
	v_cmp_ge_u32_e64 s[12:13], v11, v0
	s_and_saveexec_b64 s[0:1], s[12:13]
	s_xor_b64 s[0:1], exec, s[0:1]
	s_cbranch_execz .LBB42_56
; %bb.53:
	v_cmp_eq_u32_e32 vcc, v11, v0
	s_and_saveexec_b64 s[4:5], vcc
	s_cbranch_execz .LBB42_55
; %bb.54:
	v_mul_u32_u24_e32 v5, 34, v0
	v_lshlrev_b32_e32 v5, 3, v5
	v_mov_b32_e32 v6, 0
	ds_write_b32 v5, v6 offset:4
.LBB42_55:
	s_or_b64 exec, exec, s[4:5]
.LBB42_56:
	s_andn2_saveexec_b64 s[0:1], s[0:1]
	s_cbranch_execz .LBB42_58
; %bb.57:
	v_mul_u32_u24_e32 v5, 33, v11
	v_add_lshl_u32 v5, v5, v0, 3
	ds_read_b64 v[6:7], v5
	s_waitcnt lgkmcnt(0)
	v_xor_b32_e32 v7, 0x80000000, v7
	ds_write_b64 v12, v[6:7] offset:24
.LBB42_58:
	s_or_b64 exec, exec, s[0:1]
	v_mul_u32_u24_e32 v5, 0x84, v1
	v_lshlrev_b32_e32 v15, 3, v8
	s_waitcnt lgkmcnt(0)
	s_barrier
	v_add_lshl_u32 v14, v5, v0, 3
	v_add_lshl_u32 v13, v4, v0, 3
	ds_read_b128 v[4:7], v15 offset:9088
	ds_read_b64 v[18:19], v14
	ds_read2_b64 v[30:33], v13 offset1:33
	ds_read_b64 v[24:25], v13 offset:528
	ds_read_b128 v[34:37], v15 offset:9104
	s_mov_b32 s0, 0
	s_waitcnt lgkmcnt(3)
	v_pk_mul_f32 v[38:39], v[4:5], v[18:19] op_sel:[0,1]
	s_mov_b32 s1, s0
	v_pk_fma_f32 v[40:41], v[4:5], v[18:19], v[38:39] op_sel:[0,0,1] op_sel_hi:[1,1,0] neg_lo:[0,0,1] neg_hi:[0,0,1]
	v_pk_fma_f32 v[4:5], v[4:5], v[18:19], v[38:39] op_sel:[0,0,1] op_sel_hi:[1,0,0]
	s_waitcnt lgkmcnt(2)
	v_pk_mul_f32 v[18:19], v[6:7], v[30:31] op_sel:[0,1]
	v_mov_b32_e32 v41, v5
	v_pk_fma_f32 v[38:39], v[6:7], v[30:31], v[18:19] op_sel:[0,0,1] op_sel_hi:[1,1,0] neg_lo:[0,0,1] neg_hi:[0,0,1]
	v_pk_fma_f32 v[6:7], v[6:7], v[30:31], v[18:19] op_sel:[0,0,1] op_sel_hi:[1,0,0]
	v_pk_add_f32 v[4:5], v[40:41], 0 op_sel_hi:[1,0]
	v_mov_b32_e32 v39, v7
	s_waitcnt lgkmcnt(0)
	v_pk_mul_f32 v[6:7], v[34:35], v[32:33] op_sel:[0,1]
	v_pk_add_f32 v[4:5], v[4:5], v[38:39]
	v_pk_fma_f32 v[18:19], v[34:35], v[32:33], v[6:7] op_sel:[0,0,1] op_sel_hi:[1,1,0] neg_lo:[0,0,1] neg_hi:[0,0,1]
	v_pk_fma_f32 v[6:7], v[34:35], v[32:33], v[6:7] op_sel:[0,0,1] op_sel_hi:[1,0,0]
	v_add_lshl_u32 v29, v1, v28, 3
	v_mov_b32_e32 v19, v7
	v_pk_mul_f32 v[6:7], v[36:37], v[24:25] op_sel:[0,1]
	v_pk_add_f32 v[4:5], v[4:5], v[18:19]
	v_pk_fma_f32 v[18:19], v[36:37], v[24:25], v[6:7] op_sel:[0,0,1] op_sel_hi:[1,1,0] neg_lo:[0,0,1] neg_hi:[0,0,1]
	v_pk_fma_f32 v[6:7], v[36:37], v[24:25], v[6:7] op_sel:[0,0,1] op_sel_hi:[1,0,0]
	v_cmp_gt_u32_e64 s[4:5], 32, v27
	v_mov_b32_e32 v19, v7
	v_pk_add_f32 v[4:5], v[4:5], v[18:19]
	v_mov_b64_e32 v[18:19], s[0:1]
	s_barrier
	ds_write_b64 v29, v[4:5]
	s_waitcnt lgkmcnt(0)
	s_barrier
	s_and_saveexec_b64 s[0:1], s[4:5]
	s_cbranch_execz .LBB42_60
; %bb.59:
	v_lshlrev_b32_e32 v18, 3, v28
	ds_read2_b64 v[4:7], v18 offset1:7
	ds_read2_b64 v[30:33], v18 offset0:1 offset1:2
	ds_read2_b64 v[34:37], v18 offset0:3 offset1:4
	s_waitcnt lgkmcnt(1)
	v_add_f32_e32 v4, v30, v4
	v_add_f32_e32 v5, v31, v5
	;; [unrolled: 1-line block ×4, first 2 shown]
	ds_read2_b64 v[30:33], v18 offset0:5 offset1:6
	s_waitcnt lgkmcnt(1)
	v_add_f32_e32 v4, v4, v34
	v_add_f32_e32 v5, v5, v35
	;; [unrolled: 1-line block ×4, first 2 shown]
	s_waitcnt lgkmcnt(0)
	v_add_f32_e32 v4, v4, v30
	v_add_f32_e32 v5, v5, v31
	;; [unrolled: 1-line block ×4, first 2 shown]
	v_pk_add_f32 v[18:19], v[4:5], v[6:7]
.LBB42_60:
	s_or_b64 exec, exec, s[0:1]
	s_lshl_b32 s38, s24, 5
	s_ashr_i32 s39, s38, 31
	v_lshl_add_u64 v[4:5], s[38:39], 3, v[2:3]
	s_mov_b64 s[0:1], 0x100
	v_cndmask_b32_e64 v2, 0, 1, s[36:37]
	v_cmp_ne_u32_e64 s[14:15], 1, v2
	s_andn2_b64 vcc, exec, s[36:37]
	v_lshl_add_u64 v[2:3], v[4:5], 0, s[0:1]
	s_barrier
	s_cbranch_vccnz .LBB42_62
; %bb.61:
	flat_load_dwordx2 v[6:7], v[4:5] offset:256
	v_mul_u32_u24_e32 v24, 33, v1
	s_lshl_b32 s0, s24, 3
	v_add_lshl_u32 v24, v24, v0, 3
	s_ashr_i32 s1, s0, 31
	v_lshl_add_u64 v[4:5], s[0:1], 3, v[4:5]
	s_ashr_i32 s25, s24, 31
	s_lshl_b64 s[0:1], s[24:25], 6
	s_waitcnt vmcnt(0) lgkmcnt(0)
	ds_write_b64 v24, v[6:7]
	flat_load_dwordx2 v[6:7], v[4:5] offset:256
	v_lshl_add_u64 v[4:5], v[4:5], 0, s[0:1]
	s_waitcnt vmcnt(0) lgkmcnt(0)
	ds_write_b64 v24, v[6:7] offset:2112
	flat_load_dwordx2 v[6:7], v[4:5] offset:256
	v_lshl_add_u64 v[4:5], v[4:5], 0, s[0:1]
	s_waitcnt vmcnt(0) lgkmcnt(0)
	ds_write_b64 v24, v[6:7] offset:4224
	flat_load_dwordx2 v[4:5], v[4:5] offset:256
	s_waitcnt vmcnt(0) lgkmcnt(0)
	ds_write_b64 v24, v[4:5] offset:6336
	s_cbranch_execz .LBB42_63
	s_branch .LBB42_78
.LBB42_62:
.LBB42_63:
	v_or_b32_e32 v6, 32, v0
	v_lshlrev_b32_e32 v4, 3, v6
	v_sub_co_u32_e32 v4, vcc, v2, v4
	s_ashr_i32 s27, s26, 31
	s_nop 0
	v_subbrev_co_u32_e32 v5, vcc, 0, v3, vcc
	v_lshl_add_u64 v[4:5], s[26:27], 3, v[4:5]
	v_lshl_add_u64 v[4:5], v[4:5], 0, -8
	v_cmp_gt_i32_e32 vcc, s26, v6
	s_sub_i32 s25, s26, 32
	v_mov_b32_e32 v6, 0
	v_cndmask_b32_e32 v5, v5, v3, vcc
	v_cndmask_b32_e32 v4, v4, v2, vcc
	v_cmp_gt_i32_e64 s[0:1], s25, v1
	v_mov_b32_e32 v7, v6
	s_and_saveexec_b64 s[36:37], s[0:1]
	s_cbranch_execz .LBB42_65
; %bb.64:
	flat_load_dwordx2 v[6:7], v[4:5]
.LBB42_65:
	s_or_b64 exec, exec, s[36:37]
	v_mul_u32_u24_e32 v24, 33, v1
	v_add_lshl_u32 v24, v24, v0, 3
	s_waitcnt vmcnt(0) lgkmcnt(0)
	ds_write_b64 v24, v[6:7]
	v_add_u32_e32 v6, 8, v1
	v_cmp_le_i32_e64 s[0:1], s25, v6
	s_and_saveexec_b64 s[36:37], s[0:1]
	s_xor_b64 s[0:1], exec, s[36:37]
	s_cbranch_execz .LBB42_67
; %bb.66:
	v_mul_u32_u24_e32 v6, 33, v6
	v_add_lshl_u32 v25, v6, v0, 3
	v_mov_b32_e32 v6, 0
	v_mov_b32_e32 v7, v6
	ds_write_b64 v25, v[6:7]
.LBB42_67:
	s_andn2_saveexec_b64 s[0:1], s[0:1]
	s_cbranch_execz .LBB42_69
; %bb.68:
	s_lshl_b32 s36, s24, 3
	s_ashr_i32 s37, s36, 31
	v_lshl_add_u64 v[6:7], s[36:37], 3, v[4:5]
	flat_load_dwordx2 v[6:7], v[6:7]
	s_waitcnt vmcnt(0) lgkmcnt(0)
	ds_write_b64 v24, v[6:7] offset:2112
.LBB42_69:
	s_or_b64 exec, exec, s[0:1]
	v_add_u32_e32 v6, 16, v1
	v_cmp_le_i32_e64 s[0:1], s25, v6
	s_and_saveexec_b64 s[36:37], s[0:1]
	s_xor_b64 s[0:1], exec, s[36:37]
	s_cbranch_execz .LBB42_71
; %bb.70:
	v_mul_u32_u24_e32 v6, 33, v6
	v_add_lshl_u32 v25, v6, v0, 3
	v_mov_b32_e32 v6, 0
	v_mov_b32_e32 v7, v6
	ds_write_b64 v25, v[6:7]
.LBB42_71:
	s_andn2_saveexec_b64 s[0:1], s[0:1]
	s_cbranch_execz .LBB42_73
; %bb.72:
	s_lshl_b32 s36, s24, 4
	s_ashr_i32 s37, s36, 31
	v_lshl_add_u64 v[6:7], s[36:37], 3, v[4:5]
	flat_load_dwordx2 v[6:7], v[6:7]
	s_waitcnt vmcnt(0) lgkmcnt(0)
	ds_write_b64 v24, v[6:7] offset:4224
.LBB42_73:
	s_or_b64 exec, exec, s[0:1]
	v_add_u32_e32 v6, 24, v1
	v_cmp_le_i32_e64 s[0:1], s25, v6
	s_and_saveexec_b64 s[36:37], s[0:1]
	s_xor_b64 s[0:1], exec, s[36:37]
	s_cbranch_execz .LBB42_75
; %bb.74:
	v_mov_b32_e32 v6, 0
	v_mov_b32_e32 v7, v6
	ds_write_b64 v24, v[6:7] offset:6336
                                        ; implicit-def: $vgpr24
.LBB42_75:
	s_andn2_saveexec_b64 s[0:1], s[0:1]
	s_cbranch_execz .LBB42_77
; %bb.76:
	s_mul_i32 s36, s24, 24
	s_ashr_i32 s37, s36, 31
	v_lshl_add_u64 v[6:7], s[36:37], 3, v[4:5]
	flat_load_dwordx2 v[6:7], v[6:7]
	s_waitcnt vmcnt(0) lgkmcnt(0)
	ds_write_b64 v24, v[6:7] offset:6336
.LBB42_77:
	s_or_b64 exec, exec, s[0:1]
	v_lshlrev_b32_e32 v6, 3, v0
	v_mov_b32_e32 v7, 0
	v_lshl_add_u64 v[4:5], v[4:5], 0, v[6:7]
	s_lshl_b64 s[0:1], s[26:27], 3
	v_mov_b32_e32 v6, s1
	v_subrev_co_u32_e64 v4, s[0:1], s0, v4
	s_nop 1
	v_subb_co_u32_e64 v5, s[0:1], v5, v6, s[0:1]
	s_mov_b64 s[0:1], 0x108
	s_nop 0
	v_lshl_add_u64 v[4:5], v[4:5], 0, s[0:1]
	v_cndmask_b32_e32 v3, v5, v3, vcc
	v_cndmask_b32_e32 v2, v4, v2, vcc
.LBB42_78:
	v_add_u32_e32 v6, 0x2380, v15
	s_waitcnt lgkmcnt(0)
	s_barrier
	s_and_saveexec_b64 s[0:1], s[6:7]
	s_xor_b64 s[0:1], exec, s[0:1]
	s_cbranch_execnz .LBB42_91
; %bb.79:
	s_andn2_saveexec_b64 s[0:1], s[0:1]
	s_cbranch_execnz .LBB42_94
.LBB42_80:
	s_or_b64 exec, exec, s[0:1]
	s_and_saveexec_b64 s[0:1], s[8:9]
	s_xor_b64 s[0:1], exec, s[0:1]
	s_cbranch_execnz .LBB42_95
.LBB42_81:
	s_andn2_saveexec_b64 s[0:1], s[0:1]
	s_cbranch_execnz .LBB42_98
.LBB42_82:
	s_or_b64 exec, exec, s[0:1]
	s_and_saveexec_b64 s[0:1], s[10:11]
	s_xor_b64 s[0:1], exec, s[0:1]
	s_cbranch_execnz .LBB42_99
.LBB42_83:
	s_andn2_saveexec_b64 s[0:1], s[0:1]
	s_cbranch_execnz .LBB42_102
.LBB42_84:
	s_or_b64 exec, exec, s[0:1]
	s_and_saveexec_b64 s[0:1], s[12:13]
	s_xor_b64 s[0:1], exec, s[0:1]
	s_cbranch_execnz .LBB42_103
.LBB42_85:
	s_andn2_saveexec_b64 s[0:1], s[0:1]
	s_cbranch_execz .LBB42_87
.LBB42_86:
	ds_read_b64 v[4:5], v13 offset:528
	s_waitcnt lgkmcnt(0)
	v_xor_b32_e32 v5, 0x80000000, v5
	ds_write_b64 v12, v[4:5] offset:24
.LBB42_87:
	s_or_b64 exec, exec, s[0:1]
	s_waitcnt lgkmcnt(0)
	s_barrier
	ds_read_b64 v[4:5], v14
	ds_read_b128 v[8:11], v6 offset:256
	ds_read2_b64 v[30:33], v13 offset1:33
	ds_read_b64 v[14:15], v13 offset:528
	ds_read_b128 v[34:37], v6 offset:272
	v_cmp_eq_u32_e64 s[6:7], 1, v1
	s_waitcnt lgkmcnt(3)
	v_pk_mul_f32 v[24:25], v[8:9], v[4:5] op_sel:[0,1]
	s_waitcnt lgkmcnt(0)
	v_pk_fma_f32 v[38:39], v[8:9], v[4:5], v[24:25] op_sel:[0,0,1] op_sel_hi:[1,1,0] neg_lo:[0,0,1] neg_hi:[0,0,1]
	v_pk_fma_f32 v[4:5], v[8:9], v[4:5], v[24:25] op_sel:[0,0,1] op_sel_hi:[1,0,0]
	v_pk_mul_f32 v[8:9], v[10:11], v[30:31] op_sel:[0,1]
	v_mov_b32_e32 v39, v5
	v_pk_fma_f32 v[24:25], v[10:11], v[30:31], v[8:9] op_sel:[0,0,1] op_sel_hi:[1,1,0] neg_lo:[0,0,1] neg_hi:[0,0,1]
	v_pk_fma_f32 v[8:9], v[10:11], v[30:31], v[8:9] op_sel:[0,0,1] op_sel_hi:[1,0,0]
	v_pk_add_f32 v[4:5], v[38:39], 0 op_sel_hi:[1,0]
	v_mov_b32_e32 v25, v9
	v_pk_mul_f32 v[8:9], v[34:35], v[32:33] op_sel:[0,1]
	v_pk_add_f32 v[4:5], v[4:5], v[24:25]
	v_pk_fma_f32 v[10:11], v[34:35], v[32:33], v[8:9] op_sel:[0,0,1] op_sel_hi:[1,1,0] neg_lo:[0,0,1] neg_hi:[0,0,1]
	v_pk_fma_f32 v[8:9], v[34:35], v[32:33], v[8:9] op_sel:[0,0,1] op_sel_hi:[1,0,0]
	s_barrier
	v_mov_b32_e32 v11, v9
	v_pk_mul_f32 v[8:9], v[36:37], v[14:15] op_sel:[0,1]
	v_pk_add_f32 v[4:5], v[4:5], v[10:11]
	v_pk_fma_f32 v[10:11], v[36:37], v[14:15], v[8:9] op_sel:[0,0,1] op_sel_hi:[1,1,0] neg_lo:[0,0,1] neg_hi:[0,0,1]
	v_pk_fma_f32 v[8:9], v[36:37], v[14:15], v[8:9] op_sel:[0,0,1] op_sel_hi:[1,0,0]
	s_nop 0
	v_mov_b32_e32 v11, v9
	v_pk_add_f32 v[4:5], v[4:5], v[10:11]
	ds_write_b64 v29, v[4:5]
	s_waitcnt lgkmcnt(0)
	s_barrier
	s_and_saveexec_b64 s[0:1], s[6:7]
	s_cbranch_execz .LBB42_89
; %bb.88:
	v_lshlrev_b32_e32 v4, 3, v28
	ds_read2_b64 v[8:11], v4 offset1:7
	ds_read2_b64 v[30:33], v4 offset0:1 offset1:2
	ds_read2_b64 v[34:37], v4 offset0:3 offset1:4
	s_waitcnt lgkmcnt(1)
	v_add_f32_e32 v5, v30, v8
	v_add_f32_e32 v7, v31, v9
	v_add_f32_e32 v5, v5, v32
	v_add_f32_e32 v7, v7, v33
	ds_read2_b64 v[30:33], v4 offset0:5 offset1:6
	s_waitcnt lgkmcnt(1)
	v_add_f32_e32 v4, v5, v34
	v_add_f32_e32 v5, v7, v35
	;; [unrolled: 1-line block ×4, first 2 shown]
	s_waitcnt lgkmcnt(0)
	v_add_f32_e32 v4, v4, v30
	v_add_f32_e32 v5, v5, v31
	v_pk_add_f32 v[4:5], v[4:5], v[32:33]
	s_nop 0
	v_pk_add_f32 v[18:19], v[4:5], v[10:11]
.LBB42_89:
	s_or_b64 exec, exec, s[0:1]
	s_lshl_b64 s[0:1], s[38:39], 3
	v_mov_b32_e32 v4, s1
	v_subrev_co_u32_e64 v24, s[0:1], s0, v2
	s_and_b64 vcc, exec, s[14:15]
	s_nop 0
	v_subb_co_u32_e64 v25, s[0:1], v3, v4, s[0:1]
	s_barrier
	s_cbranch_vccnz .LBB42_106
; %bb.90:
	flat_load_dwordx2 v[2:3], v[24:25]
	v_mad_u32_u24 v7, v1, 33, v0
	s_lshl_b32 s0, s24, 3
	v_lshlrev_b32_e32 v13, 3, v7
	s_ashr_i32 s1, s0, 31
	v_lshl_add_u64 v[4:5], s[0:1], 3, v[24:25]
	s_ashr_i32 s25, s24, 31
	s_lshl_b64 s[0:1], s[24:25], 6
	v_add_u32_e32 v8, 24, v1
	v_add_u32_e32 v9, 0x318, v7
	s_waitcnt vmcnt(0) lgkmcnt(0)
	ds_write_b64 v13, v[2:3]
	flat_load_dwordx2 v[2:3], v[4:5]
	v_lshl_add_u64 v[4:5], v[4:5], 0, s[0:1]
	s_waitcnt vmcnt(0) lgkmcnt(0)
	ds_write_b64 v13, v[2:3] offset:2112
	flat_load_dwordx2 v[2:3], v[4:5]
	v_lshl_add_u64 v[4:5], v[4:5], 0, s[0:1]
	s_waitcnt vmcnt(0) lgkmcnt(0)
	ds_write_b64 v13, v[2:3] offset:4224
	flat_load_dwordx2 v[10:11], v[4:5]
	v_add_u32_e32 v4, 8, v1
	v_add_u32_e32 v5, 16, v1
	v_add_u32_e32 v2, 0x108, v7
	v_add_u32_e32 v3, 0x210, v7
	s_waitcnt vmcnt(0) lgkmcnt(0)
	ds_write_b64 v13, v[10:11] offset:6336
	s_cbranch_execz .LBB42_107
	s_branch .LBB42_122
.LBB42_91:
	v_cmp_eq_u32_e32 vcc, v8, v0
	s_and_saveexec_b64 s[6:7], vcc
	s_cbranch_execz .LBB42_93
; %bb.92:
	v_mul_u32_u24_e32 v4, 34, v0
	v_lshlrev_b32_e32 v4, 3, v4
	v_mov_b32_e32 v5, 0
	ds_write_b32 v4, v5 offset:4
.LBB42_93:
	s_or_b64 exec, exec, s[6:7]
	s_andn2_saveexec_b64 s[0:1], s[0:1]
	s_cbranch_execz .LBB42_80
.LBB42_94:
	ds_read_b64 v[4:5], v14
	s_waitcnt lgkmcnt(0)
	v_xor_b32_e32 v5, 0x80000000, v5
	ds_write_b64 v12, v[4:5]
	s_or_b64 exec, exec, s[0:1]
	s_and_saveexec_b64 s[0:1], s[8:9]
	s_xor_b64 s[0:1], exec, s[0:1]
	s_cbranch_execz .LBB42_81
.LBB42_95:
	v_cmp_eq_u32_e32 vcc, v9, v0
	s_and_saveexec_b64 s[6:7], vcc
	s_cbranch_execz .LBB42_97
; %bb.96:
	v_mul_u32_u24_e32 v4, 34, v0
	v_lshlrev_b32_e32 v4, 3, v4
	v_mov_b32_e32 v5, 0
	ds_write_b32 v4, v5 offset:4
.LBB42_97:
	s_or_b64 exec, exec, s[6:7]
	s_andn2_saveexec_b64 s[0:1], s[0:1]
	s_cbranch_execz .LBB42_82
.LBB42_98:
	ds_read_b64 v[4:5], v13
	s_waitcnt lgkmcnt(0)
	v_xor_b32_e32 v5, 0x80000000, v5
	ds_write_b64 v12, v[4:5] offset:8
	s_or_b64 exec, exec, s[0:1]
	s_and_saveexec_b64 s[0:1], s[10:11]
	s_xor_b64 s[0:1], exec, s[0:1]
	s_cbranch_execz .LBB42_83
.LBB42_99:
	v_cmp_eq_u32_e32 vcc, v10, v0
	s_and_saveexec_b64 s[6:7], vcc
	s_cbranch_execz .LBB42_101
; %bb.100:
	v_mul_u32_u24_e32 v4, 34, v0
	v_lshlrev_b32_e32 v4, 3, v4
	v_mov_b32_e32 v5, 0
	ds_write_b32 v4, v5 offset:4
.LBB42_101:
	s_or_b64 exec, exec, s[6:7]
	s_andn2_saveexec_b64 s[0:1], s[0:1]
	s_cbranch_execz .LBB42_84
.LBB42_102:
	ds_read_b64 v[4:5], v13 offset:264
	s_waitcnt lgkmcnt(0)
	v_xor_b32_e32 v5, 0x80000000, v5
	ds_write_b64 v12, v[4:5] offset:16
	s_or_b64 exec, exec, s[0:1]
	s_and_saveexec_b64 s[0:1], s[12:13]
	s_xor_b64 s[0:1], exec, s[0:1]
	s_cbranch_execz .LBB42_85
.LBB42_103:
	v_cmp_eq_u32_e32 vcc, v11, v0
	s_and_saveexec_b64 s[6:7], vcc
	s_cbranch_execz .LBB42_105
; %bb.104:
	v_mul_u32_u24_e32 v4, 34, v0
	v_lshlrev_b32_e32 v4, 3, v4
	v_mov_b32_e32 v5, 0
	ds_write_b32 v4, v5 offset:4
.LBB42_105:
	s_or_b64 exec, exec, s[6:7]
	s_andn2_saveexec_b64 s[0:1], s[0:1]
	s_cbranch_execnz .LBB42_86
	s_branch .LBB42_87
.LBB42_106:
                                        ; implicit-def: $vgpr7
                                        ; implicit-def: $vgpr4
                                        ; implicit-def: $vgpr2
                                        ; implicit-def: $vgpr5
                                        ; implicit-def: $vgpr3
                                        ; implicit-def: $vgpr8
                                        ; implicit-def: $vgpr9
.LBB42_107:
	v_or_b32_e32 v4, 32, v0
	v_lshlrev_b32_e32 v2, 3, v4
	v_sub_co_u32_e32 v2, vcc, v24, v2
	s_ashr_i32 s27, s26, 31
	s_nop 0
	v_subbrev_co_u32_e32 v3, vcc, 0, v25, vcc
	v_lshl_add_u64 v[2:3], s[26:27], 3, v[2:3]
	v_lshl_add_u64 v[2:3], v[2:3], 0, -8
	v_cmp_gt_i32_e32 vcc, s26, v4
	v_mov_b32_e32 v4, 0
	v_cmp_gt_i32_e64 s[0:1], s26, v1
	v_cndmask_b32_e32 v3, v3, v25, vcc
	v_cndmask_b32_e32 v2, v2, v24, vcc
	v_mov_b32_e32 v5, v4
	s_and_saveexec_b64 s[8:9], s[0:1]
	s_cbranch_execz .LBB42_109
; %bb.108:
	flat_load_dwordx2 v[4:5], v[2:3]
.LBB42_109:
	s_or_b64 exec, exec, s[8:9]
	v_mad_u32_u24 v7, v1, 33, v0
	v_lshlrev_b32_e32 v10, 3, v7
	s_waitcnt vmcnt(0) lgkmcnt(0)
	ds_write_b64 v10, v[4:5]
	v_add_u32_e32 v4, 8, v1
	v_cmp_le_i32_e64 s[0:1], s26, v4
	s_and_saveexec_b64 s[8:9], s[0:1]
	s_xor_b64 s[0:1], exec, s[8:9]
	s_cbranch_execz .LBB42_111
; %bb.110:
	v_mul_u32_u24_e32 v5, 33, v4
	v_mov_b32_e32 v8, 0
	v_add_lshl_u32 v5, v5, v0, 3
	v_mov_b32_e32 v9, v8
	ds_write_b64 v5, v[8:9]
.LBB42_111:
	s_andn2_saveexec_b64 s[0:1], s[0:1]
	s_cbranch_execz .LBB42_113
; %bb.112:
	s_lshl_b32 s8, s24, 3
	s_ashr_i32 s9, s8, 31
	v_lshl_add_u64 v[8:9], s[8:9], 3, v[2:3]
	flat_load_dwordx2 v[8:9], v[8:9]
	s_waitcnt vmcnt(0) lgkmcnt(0)
	ds_write_b64 v10, v[8:9] offset:2112
.LBB42_113:
	s_or_b64 exec, exec, s[0:1]
	v_add_u32_e32 v5, 16, v1
	v_cmp_le_i32_e64 s[0:1], s26, v5
	s_and_saveexec_b64 s[8:9], s[0:1]
	s_xor_b64 s[0:1], exec, s[8:9]
	s_cbranch_execz .LBB42_115
; %bb.114:
	v_mul_u32_u24_e32 v8, 33, v5
	v_add_lshl_u32 v11, v8, v0, 3
	v_mov_b32_e32 v8, 0
	v_mov_b32_e32 v9, v8
	ds_write_b64 v11, v[8:9]
.LBB42_115:
	s_andn2_saveexec_b64 s[0:1], s[0:1]
	s_cbranch_execz .LBB42_117
; %bb.116:
	s_lshl_b32 s8, s24, 4
	s_ashr_i32 s9, s8, 31
	v_lshl_add_u64 v[8:9], s[8:9], 3, v[2:3]
	flat_load_dwordx2 v[8:9], v[8:9]
	s_waitcnt vmcnt(0) lgkmcnt(0)
	ds_write_b64 v10, v[8:9] offset:4224
.LBB42_117:
	s_or_b64 exec, exec, s[0:1]
	v_add_u32_e32 v8, 24, v1
	v_cmp_le_i32_e64 s[0:1], s26, v8
                                        ; implicit-def: $vgpr9
	s_and_saveexec_b64 s[8:9], s[0:1]
	s_xor_b64 s[0:1], exec, s[8:9]
	s_cbranch_execz .LBB42_119
; %bb.118:
	v_mad_u32_u24 v9, v8, 33, v0
	v_mov_b32_e32 v10, 0
	v_lshlrev_b32_e32 v13, 3, v9
	v_mov_b32_e32 v11, v10
	ds_write_b64 v13, v[10:11]
                                        ; implicit-def: $vgpr10
.LBB42_119:
	s_andn2_saveexec_b64 s[0:1], s[0:1]
	s_cbranch_execz .LBB42_121
; %bb.120:
	s_mul_i32 s8, s24, 24
	s_ashr_i32 s9, s8, 31
	v_lshl_add_u64 v[14:15], s[8:9], 3, v[2:3]
	flat_load_dwordx2 v[14:15], v[14:15]
	v_add_u32_e32 v9, 0x318, v7
	s_waitcnt vmcnt(0) lgkmcnt(0)
	ds_write_b64 v10, v[14:15] offset:6336
.LBB42_121:
	s_or_b64 exec, exec, s[0:1]
	v_lshlrev_b32_e32 v10, 3, v0
	v_mov_b32_e32 v11, 0
	v_lshl_add_u64 v[2:3], v[2:3], 0, v[10:11]
	s_lshl_b64 s[0:1], s[26:27], 3
	v_mov_b32_e32 v0, s1
	v_subrev_co_u32_e64 v2, s[0:1], s0, v2
	s_nop 1
	v_subb_co_u32_e64 v3, s[0:1], v3, v0, s[0:1]
	s_mov_b64 s[0:1], 0x108
	s_nop 0
	v_lshl_add_u64 v[2:3], v[2:3], 0, s[0:1]
	v_cndmask_b32_e32 v25, v3, v25, vcc
	v_cndmask_b32_e32 v24, v2, v24, vcc
	v_add_u32_e32 v2, 0x108, v7
	v_add_u32_e32 v3, 0x210, v7
.LBB42_122:
	v_lshlrev_b32_e32 v0, 3, v7
	s_waitcnt lgkmcnt(0)
	s_barrier
	ds_read_b64 v[30:31], v0
	v_lshlrev_b32_e32 v7, 3, v1
	v_lshlrev_b32_e32 v13, 3, v2
	v_lshlrev_b32_e32 v4, 3, v4
	v_lshlrev_b32_e32 v0, 3, v3
	v_lshlrev_b32_e32 v44, 3, v5
	v_lshlrev_b32_e32 v42, 3, v9
	v_lshlrev_b32_e32 v40, 3, v8
	ds_read_b64 v[32:33], v0
	ds_read2_b64 v[8:11], v12 offset1:1
	ds_read2_b64 v[0:3], v12 offset0:2 offset1:3
	ds_read_b64 v[34:35], v4 offset:9088
	ds_read_b64 v[36:37], v13
	ds_read_b64 v[38:39], v7 offset:9088
	ds_read_b128 v[12:15], v6 offset:256
	ds_read_b128 v[4:7], v6 offset:272
	ds_read_b64 v[40:41], v40 offset:9088
	ds_read_b64 v[42:43], v42
	ds_read_b64 v[44:45], v44 offset:9088
	s_waitcnt lgkmcnt(5)
	v_pk_mul_f32 v[46:47], v[38:39], v[30:31] op_sel:[0,1]
	s_waitcnt lgkmcnt(0)
	v_pk_fma_f32 v[48:49], v[38:39], v[30:31], v[46:47] op_sel:[0,0,1] op_sel_hi:[1,1,0] neg_lo:[0,0,1] neg_hi:[0,0,1]
	v_pk_fma_f32 v[30:31], v[38:39], v[30:31], v[46:47] op_sel:[0,0,1] op_sel_hi:[1,0,0]
	v_pk_mul_f32 v[38:39], v[34:35], v[36:37] op_sel:[0,1]
	v_mov_b32_e32 v49, v31
	v_pk_fma_f32 v[46:47], v[34:35], v[36:37], v[38:39] op_sel:[0,0,1] op_sel_hi:[1,1,0] neg_lo:[0,0,1] neg_hi:[0,0,1]
	v_pk_fma_f32 v[34:35], v[34:35], v[36:37], v[38:39] op_sel:[0,0,1] op_sel_hi:[1,0,0]
	v_pk_add_f32 v[30:31], v[48:49], 0 op_sel_hi:[1,0]
	v_mov_b32_e32 v47, v35
	v_pk_mul_f32 v[34:35], v[44:45], v[32:33] op_sel:[0,1]
	v_pk_add_f32 v[30:31], v[30:31], v[46:47]
	v_pk_fma_f32 v[36:37], v[44:45], v[32:33], v[34:35] op_sel:[0,0,1] op_sel_hi:[1,1,0] neg_lo:[0,0,1] neg_hi:[0,0,1]
	v_pk_fma_f32 v[32:33], v[44:45], v[32:33], v[34:35] op_sel:[0,0,1] op_sel_hi:[1,0,0]
	s_barrier
	v_mov_b32_e32 v37, v33
	v_pk_mul_f32 v[32:33], v[40:41], v[42:43] op_sel:[0,1]
	v_pk_add_f32 v[30:31], v[30:31], v[36:37]
	v_pk_fma_f32 v[34:35], v[40:41], v[42:43], v[32:33] op_sel:[0,0,1] op_sel_hi:[1,1,0] neg_lo:[0,0,1] neg_hi:[0,0,1]
	v_pk_fma_f32 v[32:33], v[40:41], v[42:43], v[32:33] op_sel:[0,0,1] op_sel_hi:[1,0,0]
	s_nop 0
	v_mov_b32_e32 v35, v33
	v_pk_add_f32 v[30:31], v[30:31], v[34:35]
	ds_write_b64 v29, v[30:31]
	s_waitcnt lgkmcnt(0)
	s_barrier
	s_and_saveexec_b64 s[0:1], s[6:7]
	s_cbranch_execz .LBB42_124
; %bb.123:
	v_lshlrev_b32_e32 v42, 3, v28
	ds_read2_b64 v[30:33], v42 offset1:1
	ds_read2_b64 v[34:37], v42 offset0:2 offset1:3
	ds_read2_b64 v[38:41], v42 offset0:4 offset1:5
	s_waitcnt lgkmcnt(2)
	v_pk_add_f32 v[18:19], v[18:19], v[30:31]
	s_nop 0
	v_pk_add_f32 v[18:19], v[18:19], v[32:33]
	ds_read2_b64 v[30:33], v42 offset0:6 offset1:7
	s_waitcnt lgkmcnt(2)
	v_pk_add_f32 v[18:19], v[18:19], v[34:35]
	s_nop 0
	v_pk_add_f32 v[18:19], v[18:19], v[36:37]
	s_waitcnt lgkmcnt(1)
	v_pk_add_f32 v[18:19], v[18:19], v[38:39]
	s_nop 0
	v_pk_add_f32 v[18:19], v[18:19], v[40:41]
	;; [unrolled: 4-line block ×3, first 2 shown]
.LBB42_124:
	s_or_b64 exec, exec, s[0:1]
	v_pk_mul_f32 v[30:31], v[8:9], v[12:13] op_sel:[1,0]
	s_nop 0
	v_pk_fma_f32 v[32:33], v[8:9], v[12:13], v[30:31] op_sel:[0,0,1] op_sel_hi:[1,1,0]
	v_pk_fma_f32 v[8:9], v[8:9], v[12:13], v[30:31] op_sel:[0,0,1] op_sel_hi:[0,1,0] neg_lo:[0,0,1] neg_hi:[0,0,1]
	v_mov_b32_e32 v12, v11
	v_pk_mul_f32 v[12:13], v[12:13], v[14:15] op_sel_hi:[0,1]
	v_pk_fma_f32 v[30:31], v[10:11], v[14:15], v[12:13] op_sel:[0,0,1] op_sel_hi:[1,1,0]
	v_pk_fma_f32 v[10:11], v[10:11], v[14:15], v[12:13] op_sel:[0,0,1] op_sel_hi:[0,1,0] neg_lo:[0,0,1] neg_hi:[0,0,1]
	v_mov_b32_e32 v33, v9
	v_mov_b32_e32 v31, v11
	v_pk_mul_f32 v[10:11], v[0:1], v[4:5] op_sel:[1,0]
	v_pk_add_f32 v[8:9], v[32:33], 0 op_sel_hi:[1,0]
	v_pk_fma_f32 v[12:13], v[0:1], v[4:5], v[10:11] op_sel:[0,0,1] op_sel_hi:[1,1,0]
	v_pk_fma_f32 v[0:1], v[0:1], v[4:5], v[10:11] op_sel:[0,0,1] op_sel_hi:[0,1,0] neg_lo:[0,0,1] neg_hi:[0,0,1]
	v_mov_b32_e32 v4, v3
	v_pk_add_f32 v[8:9], v[8:9], v[30:31]
	v_mov_b32_e32 v13, v1
	v_pk_mul_f32 v[4:5], v[4:5], v[6:7] op_sel_hi:[0,1]
	v_pk_add_f32 v[0:1], v[8:9], v[12:13]
	v_pk_fma_f32 v[8:9], v[2:3], v[6:7], v[4:5] op_sel:[0,0,1] op_sel_hi:[1,1,0]
	v_pk_fma_f32 v[2:3], v[2:3], v[6:7], v[4:5] op_sel:[0,0,1] op_sel_hi:[0,1,0] neg_lo:[0,0,1] neg_hi:[0,0,1]
	v_mov_b32_e32 v9, v3
	v_pk_add_f32 v[0:1], v[0:1], v[8:9]
	s_barrier
	ds_write_b64 v29, v[0:1]
	s_waitcnt lgkmcnt(0)
	s_barrier
	s_and_saveexec_b64 s[0:1], s[4:5]
	s_cbranch_execz .LBB42_126
; %bb.125:
	v_lshlrev_b32_e32 v14, 3, v28
	ds_read2_b64 v[0:3], v14 offset1:1
	ds_read2_b64 v[4:7], v14 offset0:2 offset1:3
	ds_read2_b64 v[8:11], v14 offset0:4 offset1:5
	s_waitcnt lgkmcnt(2)
	v_pk_add_f32 v[0:1], v[18:19], v[0:1]
	s_nop 0
	v_pk_add_f32 v[12:13], v[0:1], v[2:3]
	ds_read2_b64 v[0:3], v14 offset0:6 offset1:7
	s_waitcnt lgkmcnt(2)
	v_pk_add_f32 v[4:5], v[12:13], v[4:5]
	s_nop 0
	v_pk_add_f32 v[4:5], v[4:5], v[6:7]
	s_waitcnt lgkmcnt(1)
	v_pk_add_f32 v[4:5], v[4:5], v[8:9]
	s_nop 0
	v_pk_add_f32 v[4:5], v[4:5], v[10:11]
	s_waitcnt lgkmcnt(0)
	v_pk_add_f32 v[0:1], v[4:5], v[0:1]
	s_nop 0
	v_pk_add_f32 v[18:19], v[0:1], v[2:3]
.LBB42_126:
	s_or_b64 exec, exec, s[0:1]
	s_mul_hi_u32 s0, s21, s20
	s_mul_i32 s40, s40, s20
	s_add_i32 s0, s0, s40
	s_mul_i32 s4, s21, s20
	s_mul_i32 s0, s0, s33
	s_mul_hi_u32 s1, s4, s33
	s_add_i32 s1, s1, s0
	s_mul_i32 s0, s4, s33
	s_lshl_b64 s[0:1], s[0:1], 3
	s_add_u32 s4, s22, s0
	s_mul_i32 s0, s2, s21
	s_addc_u32 s5, s23, s1
	s_ashr_i32 s1, s0, 31
	s_lshl_b64 s[0:1], s[0:1], 3
	s_add_u32 s6, s4, s0
	v_cmp_le_i32_e32 vcc, s26, v26
	s_addc_u32 s7, s5, s1
	s_and_b64 vcc, s[34:35], vcc
	s_cmp_lt_i32 s2, 1
	v_lshlrev_b32_e32 v74, 3, v26
	s_barrier
	s_cbranch_scc1 .LBB42_133
; %bb.127:
	s_mul_i32 s0, s28, s3
	s_ashr_i32 s1, s0, 31
	s_lshl_b64 s[0:1], s[0:1], 3
	v_mov_b32_e32 v0, s1
	v_subrev_co_u32_e64 v20, s[0:1], s0, v20
	s_ashr_i32 s27, s26, 31
	s_nop 0
	v_subb_co_u32_e64 v21, s[0:1], v21, v0, s[0:1]
	v_mov_b32_e32 v0, s31
	v_subrev_co_u32_e64 v2, s[0:1], s30, v24
	v_and_b32_e32 v4, 15, v26
	s_nop 0
	v_subb_co_u32_e64 v3, s[0:1], v25, v0, s[0:1]
	v_lshlrev_b64 v[0:1], 3, v[22:23]
	v_sub_co_u32_e64 v0, s[0:1], v2, v0
	v_mul_lo_u32 v2, v17, s24
	s_nop 0
	v_subb_co_u32_e64 v1, s[0:1], v3, v1, s[0:1]
	v_lshl_add_u32 v2, v2, 2, v26
	v_ashrrev_i32_e32 v3, 31, v2
	s_movk_i32 s0, 0xff00
	v_lshl_add_u64 v[0:1], v[2:3], 3, v[0:1]
	s_mov_b32 s1, -1
	v_lshl_add_u64 v[0:1], v[0:1], 0, s[0:1]
	v_sub_co_u32_e64 v2, s[0:1], v0, v74
	v_lshrrev_b32_e32 v5, 4, v27
	s_nop 0
	v_subbrev_co_u32_e64 v3, s[0:1], 0, v1, s[0:1]
	v_lshl_add_u64 v[2:3], s[26:27], 3, v[2:3]
	v_lshl_add_u64 v[2:3], v[2:3], 0, -8
	v_cndmask_b32_e32 v24, v0, v2, vcc
	v_and_b32_e32 v0, 48, v26
	v_cndmask_b32_e32 v25, v1, v3, vcc
	v_lshlrev_b32_e32 v1, 3, v0
	s_movk_i32 s0, 0x218
	v_mad_u32_u24 v77, v4, s0, v1
	v_or_b32_e32 v1, 0x78, v74
	v_mad_u32_u24 v78, v4, s0, v1
	v_lshlrev_b32_e32 v1, 5, v5
	v_mad_u32_u24 v79, v4, s0, v1
	v_mov_b32_e32 v1, 0x2180
	s_ashr_i32 s25, s24, 31
	v_lshl_add_u32 v80, v17, 5, v1
	s_movk_i32 s1, 0x860
	v_lshlrev_b32_e32 v1, 3, v5
	v_mov_b32_e32 v23, 0
	s_lshl_b32 s3, s3, 6
	v_add_u32_e32 v75, 0x2180, v74
	v_add_u32_e32 v76, 0x2380, v74
	v_cmp_gt_u32_e64 s[4:5], 64, v27
	v_mad_u32_u24 v81, v17, s1, v74
	v_mad_u32_u24 v82, v4, s0, v1
	s_lshl_b64 s[0:1], s[24:25], 3
	s_lshl_b64 s[8:9], s[24:25], 9
	;; [unrolled: 1-line block ×3, first 2 shown]
	s_mul_hi_i32 s13, s24, 24
	s_mul_i32 s12, s24, 24
	s_mul_hi_i32 s15, s24, 0x90
	s_mul_i32 s14, s24, 0x90
	;; [unrolled: 2-line block ×10, first 2 shown]
	s_lshl_b64 s[40:41], s[24:25], 8
	s_mul_hi_i32 s43, s24, 0x88
	s_mul_i32 s42, s24, 0x88
	s_lshl_b64 s[24:25], s[24:25], 7
	v_or_b32_e32 v22, v0, v4
	s_mov_b32 s44, 0
	s_branch .LBB42_129
.LBB42_128:                             ;   in Loop: Header=BB42_129 Depth=1
	s_or_b64 exec, exec, s[46:47]
	v_mul_f32_e32 v83, v26, v0
	v_fma_f32 v83, -v27, v1, v83
	v_pk_mul_f32 v[0:1], v[26:27], v[0:1] op_sel:[1,0] op_sel_hi:[0,1]
	v_add_f32_e32 v0, v0, v1
	v_add_f32_e32 v19, v19, v0
	v_mul_f32_e32 v0, v28, v2
	v_add_f32_e32 v18, v18, v83
	v_fma_f32 v0, -v29, v3, v0
	v_add_f32_e32 v18, v18, v0
	v_pk_mul_f32 v[0:1], v[28:29], v[2:3] op_sel:[1,0] op_sel_hi:[0,1]
	v_add_f32_e32 v0, v0, v1
	v_add_f32_e32 v2, v19, v0
	v_mul_f32_e32 v0, v30, v34
	v_fma_f32 v0, -v31, v35, v0
	v_add_f32_e32 v3, v18, v0
	v_pk_mul_f32 v[0:1], v[30:31], v[34:35] op_sel:[1,0] op_sel_hi:[0,1]
	v_add_f32_e32 v0, v0, v1
	v_add_f32_e32 v2, v2, v0
	v_mul_f32_e32 v0, v32, v36
	;; [unrolled: 6-line block ×4, first 2 shown]
	v_fma_f32 v0, -v43, v7, v0
	v_add_f32_e32 v0, v3, v0
	v_pk_mul_f32 v[2:3], v[42:43], v[6:7] op_sel:[1,0] op_sel_hi:[0,1]
	v_add_f32_e32 v2, v2, v3
	v_add_f32_e32 v1, v1, v2
	v_mov_b32_e32 v2, v47
	v_pk_mul_f32 v[2:3], v[40:41], v[2:3] op_sel:[1,0] op_sel_hi:[0,1]
	v_pk_fma_f32 v[2:3], v[40:41], v[46:47], v[2:3] neg_lo:[0,0,1] neg_hi:[0,0,1]
	v_pk_mul_f32 v[4:5], v[40:41], v[46:47] op_sel:[1,0] op_sel_hi:[0,1]
	v_mov_b32_e32 v3, v4
	v_pk_fma_f32 v[4:5], v[40:41], v[46:47], v[2:3] op_sel:[1,0,0] op_sel_hi:[0,1,1]
	v_pk_mul_f32 v[18:19], v[44:45], v[50:51] op_sel:[1,0] op_sel_hi:[0,1]
	v_mov_b32_e32 v4, v51
	v_mov_b32_e32 v3, v18
	v_pk_mul_f32 v[6:7], v[44:45], v[4:5] op_sel:[1,0] op_sel_hi:[0,1]
	v_pk_fma_f32 v[18:19], v[44:45], v[50:51], v[2:3] op_sel:[1,0,0] op_sel_hi:[0,1,1]
	v_mov_b32_e32 v3, v5
	v_pk_fma_f32 v[6:7], v[44:45], v[50:51], v[6:7] neg_lo:[0,0,1] neg_hi:[0,0,1]
	v_pk_add_f32 v[0:1], v[0:1], v[2:3]
	v_pk_mul_f32 v[2:3], v[54:55], v[8:9] op_sel:[1,1] op_sel_hi:[0,1]
	v_mov_b32_e32 v4, v11
	v_mov_b32_e32 v7, v19
	v_pk_mul_f32 v[4:5], v[56:57], v[4:5] op_sel_hi:[1,0]
	v_pk_fma_f32 v[26:27], v[54:55], v[8:9], v[2:3] neg_lo:[0,0,1] neg_hi:[0,0,1]
	v_pk_fma_f32 v[2:3], v[54:55], v[8:9], v[2:3] op_sel_hi:[1,0,1]
	v_pk_add_f32 v[0:1], v[0:1], v[6:7]
	v_mov_b32_e32 v27, v3
	v_pk_fma_f32 v[2:3], v[56:57], v[10:11], v[4:5] op_sel:[0,0,1] op_sel_hi:[1,1,0] neg_lo:[0,0,1] neg_hi:[0,0,1]
	v_pk_fma_f32 v[4:5], v[56:57], v[10:11], v[4:5] op_sel:[0,0,1] op_sel_hi:[1,0,0]
	v_pk_mul_f32 v[6:7], v[52:53], v[12:13] op_sel:[0,1]
	v_pk_add_f32 v[0:1], v[0:1], v[26:27]
	v_mov_b32_e32 v3, v5
	v_mov_b32_e32 v18, v15
	v_pk_add_f32 v[0:1], v[0:1], v[2:3]
	v_pk_fma_f32 v[2:3], v[52:53], v[12:13], v[6:7] op_sel:[0,0,1] op_sel_hi:[1,1,0] neg_lo:[0,0,1] neg_hi:[0,0,1]
	v_pk_fma_f32 v[4:5], v[52:53], v[12:13], v[6:7] op_sel:[0,0,1] op_sel_hi:[1,0,0]
	v_pk_mul_f32 v[18:19], v[48:49], v[18:19] op_sel_hi:[1,0]
	v_mov_b32_e32 v3, v5
	v_pk_add_f32 v[0:1], v[0:1], v[2:3]
	v_pk_fma_f32 v[2:3], v[48:49], v[14:15], v[18:19] op_sel:[0,0,1] op_sel_hi:[1,1,0] neg_lo:[0,0,1] neg_hi:[0,0,1]
	v_pk_fma_f32 v[4:5], v[48:49], v[14:15], v[18:19] op_sel:[0,0,1] op_sel_hi:[1,0,0]
	v_pk_mul_f32 v[6:7], v[62:63], v[70:71] op_sel:[0,1]
	v_mov_b32_e32 v3, v5
	v_pk_add_f32 v[0:1], v[0:1], v[2:3]
	v_pk_mul_f32 v[2:3], v[60:61], v[66:67] op_sel:[0,1]
	v_pk_mul_f32 v[4:5], v[64:65], v[72:73] op_sel:[0,1]
	v_pk_fma_f32 v[10:11], v[60:61], v[66:67], v[2:3] op_sel:[0,0,1] op_sel_hi:[1,1,0] neg_lo:[0,0,1] neg_hi:[0,0,1]
	v_pk_fma_f32 v[2:3], v[60:61], v[66:67], v[2:3] op_sel:[0,0,1] op_sel_hi:[1,0,0]
	v_pk_mul_f32 v[8:9], v[58:59], v[68:69] op_sel:[0,1]
	v_mov_b32_e32 v11, v3
	v_pk_fma_f32 v[2:3], v[64:65], v[72:73], v[4:5] op_sel:[0,0,1] op_sel_hi:[1,1,0] neg_lo:[0,0,1] neg_hi:[0,0,1]
	v_pk_fma_f32 v[4:5], v[64:65], v[72:73], v[4:5] op_sel:[0,0,1] op_sel_hi:[1,0,0]
	v_pk_add_f32 v[0:1], v[0:1], v[10:11]
	v_mov_b32_e32 v3, v5
	v_pk_fma_f32 v[4:5], v[62:63], v[70:71], v[6:7] op_sel:[0,0,1] op_sel_hi:[1,1,0] neg_lo:[0,0,1] neg_hi:[0,0,1]
	v_pk_fma_f32 v[6:7], v[62:63], v[70:71], v[6:7] op_sel:[0,0,1] op_sel_hi:[1,0,0]
	v_pk_add_f32 v[0:1], v[0:1], v[2:3]
	v_mov_b32_e32 v5, v7
	v_pk_fma_f32 v[6:7], v[58:59], v[68:69], v[8:9] op_sel:[0,0,1] op_sel_hi:[1,1,0] neg_lo:[0,0,1] neg_hi:[0,0,1]
	v_pk_fma_f32 v[8:9], v[58:59], v[68:69], v[8:9] op_sel:[0,0,1] op_sel_hi:[1,0,0]
	v_pk_add_f32 v[0:1], v[0:1], v[4:5]
	v_mov_b32_e32 v7, v9
	s_add_i32 s2, s2, -1
	s_add_i32 s44, s44, s3
	v_pk_add_f32 v[18:19], v[0:1], v[6:7]
	v_lshl_add_u64 v[24:25], v[24:25], 0, s[8:9]
	s_cmp_eq_u32 s2, 0
	v_add_u32_e32 v22, 64, v22
	s_barrier
	s_cbranch_scc1 .LBB42_133
.LBB42_129:                             ; =>This Inner Loop Header: Depth=1
	s_and_saveexec_b64 s[46:47], s[18:19]
	s_cbranch_execz .LBB42_131
; %bb.130:                              ;   in Loop: Header=BB42_129 Depth=1
	s_ashr_i32 s45, s44, 31
	v_lshl_add_u64 v[0:1], s[44:45], 3, v[20:21]
	flat_load_dwordx2 v[0:1], v[0:1]
	s_waitcnt vmcnt(0) lgkmcnt(0)
	ds_write_b64 v75, v[0:1]
.LBB42_131:                             ;   in Loop: Header=BB42_129 Depth=1
	s_or_b64 exec, exec, s[46:47]
	v_lshl_add_u64 v[0:1], v[24:25], 0, s[0:1]
	s_waitcnt lgkmcnt(0)
	s_barrier
	flat_load_dwordx2 v[26:27], v[24:25]
	flat_load_dwordx2 v[28:29], v[0:1]
	v_lshl_add_u64 v[0:1], v[24:25], 0, s[10:11]
	flat_load_dwordx2 v[30:31], v[0:1]
	v_lshl_add_u64 v[0:1], v[24:25], 0, s[12:13]
	flat_load_dwordx2 v[32:33], v[0:1]
	ds_read_b64 v[4:5], v76
	ds_read_b128 v[0:3], v80
	ds_read_b64 v[34:35], v80 offset:16
	v_lshl_add_u64 v[6:7], v[24:25], 0, s[24:25]
	v_lshl_add_u64 v[60:61], v[24:25], 0, s[36:37]
	s_waitcnt vmcnt(0) lgkmcnt(0)
	v_mul_f32_e32 v8, v27, v5
	v_mul_f32_e32 v9, v27, v4
	;; [unrolled: 1-line block ×4, first 2 shown]
	v_fmac_f32_e32 v8, v26, v4
	v_fma_f32 v9, v26, v5, -v9
	v_mul_f32_e32 v12, v31, v5
	v_mul_f32_e32 v13, v31, v4
	;; [unrolled: 1-line block ×4, first 2 shown]
	v_fmac_f32_e32 v10, v28, v4
	v_fma_f32 v11, v28, v5, -v11
	v_fmac_f32_e32 v12, v30, v4
	v_fma_f32 v13, v30, v5, -v13
	;; [unrolled: 2-line block ×3, first 2 shown]
	ds_write2_b64 v81, v[8:9], v[10:11] offset1:67
	ds_write_b64 v81, v[12:13] offset:1072
	v_lshl_add_u64 v[4:5], v[24:25], 0, s[42:43]
	ds_read_b64 v[36:37], v80 offset:24
	ds_write_b64 v81, v[14:15] offset:1608
	s_waitcnt lgkmcnt(0)
	s_barrier
	ds_read2_b64 v[66:69], v79 offset1:1
	ds_read2_b64 v[70:73], v79 offset0:2 offset1:3
	s_waitcnt lgkmcnt(0)
	s_barrier
	flat_load_dwordx2 v[38:39], v[6:7]
	flat_load_dwordx2 v[42:43], v[4:5]
	v_lshl_add_u64 v[4:5], v[24:25], 0, s[14:15]
	flat_load_dwordx2 v[40:41], v[4:5]
	v_lshl_add_u64 v[4:5], v[24:25], 0, s[20:21]
	flat_load_dwordx2 v[44:45], v[4:5]
	ds_read_b64 v[8:9], v76
	v_lshl_add_u64 v[10:11], v[24:25], 0, s[40:41]
	ds_read_b128 v[4:7], v80 offset:128
	ds_read_b64 v[46:47], v80 offset:144
	v_pk_add_f32 v[66:67], v[66:67], 0 op_sel_hi:[1,0]
	s_waitcnt vmcnt(0) lgkmcnt(0)
	v_mul_f32_e32 v12, v39, v9
	v_mul_f32_e32 v13, v39, v8
	v_mul_f32_e32 v14, v43, v9
	v_mul_f32_e32 v15, v43, v8
	v_mul_f32_e32 v48, v41, v9
	v_mul_f32_e32 v49, v41, v8
	v_mul_f32_e32 v52, v45, v9
	v_mul_f32_e32 v50, v45, v8
	v_fmac_f32_e32 v12, v38, v8
	v_fma_f32 v13, v38, v9, -v13
	v_fmac_f32_e32 v14, v42, v8
	v_fma_f32 v15, v42, v9, -v15
	;; [unrolled: 2-line block ×4, first 2 shown]
	ds_write2_b64 v81, v[12:13], v[14:15] offset1:67
	ds_write_b64 v81, v[48:49] offset:1072
	v_lshl_add_u64 v[8:9], v[24:25], 0, s[38:39]
	ds_read_b64 v[50:51], v80 offset:152
	ds_write_b64 v81, v[52:53] offset:1608
	s_waitcnt lgkmcnt(0)
	s_barrier
	ds_read2_b64 v[84:87], v79 offset1:1
	ds_read2_b64 v[88:91], v79 offset0:2 offset1:3
	s_waitcnt lgkmcnt(0)
	s_barrier
	flat_load_dwordx2 v[54:55], v[10:11]
	flat_load_dwordx2 v[56:57], v[8:9]
	v_lshl_add_u64 v[8:9], v[24:25], 0, s[22:23]
	flat_load_dwordx2 v[52:53], v[8:9]
	v_lshl_add_u64 v[8:9], v[24:25], 0, s[26:27]
	flat_load_dwordx2 v[48:49], v[8:9]
	ds_read_b64 v[58:59], v76
	ds_read_b128 v[8:11], v80 offset:256
	ds_read_b128 v[12:15], v80 offset:272
	v_pk_add_f32 v[66:67], v[66:67], v[68:69]
	s_waitcnt vmcnt(0) lgkmcnt(0)
	v_mul_f32_e32 v62, v55, v59
	v_mul_f32_e32 v63, v55, v58
	;; [unrolled: 1-line block ×8, first 2 shown]
	v_fma_f32 v63, v54, v59, -v63
	v_fma_f32 v65, v56, v59, -v65
	v_fmac_f32_e32 v62, v54, v58
	v_fmac_f32_e32 v64, v56, v58
	v_fmac_f32_e32 v92, v52, v58
	v_fma_f32 v93, v52, v59, -v83
	v_fmac_f32_e32 v94, v48, v58
	v_fma_f32 v95, v48, v59, -v95
	ds_write2_b64 v81, v[62:63], v[64:65] offset1:67
	ds_write2_b64 v81, v[92:93], v[94:95] offset0:134 offset1:201
	s_waitcnt lgkmcnt(0)
	s_barrier
	ds_read2_b64 v[92:95], v79 offset1:1
	ds_read2_b64 v[96:99], v79 offset0:2 offset1:3
	s_waitcnt lgkmcnt(0)
	s_barrier
	flat_load_dwordx2 v[60:61], v[60:61]
	v_lshl_add_u64 v[58:59], v[24:25], 0, s[34:35]
	flat_load_dwordx2 v[64:65], v[58:59]
	v_lshl_add_u64 v[58:59], v[24:25], 0, s[28:29]
	;; [unrolled: 2-line block ×3, first 2 shown]
	flat_load_dwordx2 v[58:59], v[58:59]
	v_pk_add_f32 v[66:67], v[66:67], v[70:71]
	v_pk_add_f32 v[70:71], v[92:93], 0 op_sel_hi:[1,0]
	v_pk_add_f32 v[100:101], v[66:67], v[72:73]
	v_pk_add_f32 v[66:67], v[84:85], 0 op_sel_hi:[1,0]
	v_pk_add_f32 v[70:71], v[70:71], v[94:95]
	v_pk_add_f32 v[66:67], v[66:67], v[86:87]
	;; [unrolled: 1-line block ×6, first 2 shown]
	ds_read_b64 v[68:69], v76
	ds_read_b64 v[66:67], v80 offset:384
	s_waitcnt vmcnt(0) lgkmcnt(0)
	v_mul_f32_e32 v70, v61, v69
	v_mul_f32_e32 v71, v61, v68
	;; [unrolled: 1-line block ×4, first 2 shown]
	v_fma_f32 v71, v60, v69, -v71
	v_fmac_f32_e32 v70, v60, v68
	v_mul_f32_e32 v73, v63, v68
	v_mul_f32_e32 v86, v63, v69
	v_fma_f32 v85, v64, v69, -v72
	v_fmac_f32_e32 v84, v64, v68
	ds_write_b64 v81, v[70:71]
	v_mul_f32_e32 v83, v59, v68
	v_mul_f32_e32 v88, v59, v69
	v_fma_f32 v87, v62, v69, -v73
	v_fmac_f32_e32 v86, v62, v68
	ds_read_b64 v[72:73], v80 offset:392
	ds_write_b64 v81, v[84:85] offset:536
	v_fma_f32 v89, v58, v69, -v83
	v_fmac_f32_e32 v88, v58, v68
	ds_read_b64 v[70:71], v80 offset:400
	ds_write_b64 v81, v[86:87] offset:1072
	ds_read_b64 v[68:69], v80 offset:408
	ds_write_b64 v81, v[88:89] offset:1608
	s_waitcnt lgkmcnt(0)
	s_barrier
	ds_read2_b64 v[84:87], v79 offset1:1
	ds_read2_b64 v[88:91], v79 offset0:2 offset1:3
	s_waitcnt lgkmcnt(0)
	s_barrier
	v_pk_add_f32 v[84:85], v[84:85], 0 op_sel_hi:[1,0]
	ds_write2_b64 v82, v[100:101], v[102:103] offset1:16
	v_pk_add_f32 v[84:85], v[84:85], v[86:87]
	s_nop 0
	v_pk_add_f32 v[84:85], v[84:85], v[88:89]
	s_nop 0
	v_pk_add_f32 v[84:85], v[84:85], v[90:91]
	ds_write2_b64 v82, v[92:93], v[84:85] offset0:32 offset1:48
	s_waitcnt lgkmcnt(0)
	s_barrier
	s_and_saveexec_b64 s[46:47], s[4:5]
	s_cbranch_execz .LBB42_128
; %bb.132:                              ;   in Loop: Header=BB42_129 Depth=1
	ds_read_b64 v[92:93], v77
	ds_read2_b64 v[84:87], v77 offset0:1 offset1:2
	ds_read2_b64 v[88:91], v77 offset0:3 offset1:4
	v_lshl_add_u64 v[96:97], v[22:23], 3, s[6:7]
	s_waitcnt lgkmcnt(1)
	v_add_f32_e32 v83, v84, v92
	v_add_f32_e32 v84, v85, v93
	;; [unrolled: 1-line block ×4, first 2 shown]
	ds_read2_b64 v[84:87], v77 offset0:5 offset1:6
	s_waitcnt lgkmcnt(1)
	v_add_f32_e32 v83, v83, v88
	v_add_f32_e32 v88, v92, v89
	;; [unrolled: 1-line block ×4, first 2 shown]
	ds_read2_b64 v[88:91], v77 offset0:7 offset1:8
	s_waitcnt lgkmcnt(1)
	v_pk_add_f32 v[84:85], v[92:93], v[84:85]
	ds_read2_b64 v[92:95], v77 offset0:9 offset1:10
	v_pk_add_f32 v[84:85], v[84:85], v[86:87]
	s_waitcnt lgkmcnt(1)
	v_pk_add_f32 v[84:85], v[84:85], v[88:89]
	s_nop 0
	v_pk_add_f32 v[88:89], v[84:85], v[90:91]
	ds_read2_b64 v[84:87], v77 offset0:11 offset1:12
	s_waitcnt lgkmcnt(1)
	v_pk_add_f32 v[92:93], v[88:89], v[92:93]
	ds_read2_b64 v[88:91], v77 offset0:13 offset1:14
	v_pk_add_f32 v[92:93], v[92:93], v[94:95]
	ds_read_b64 v[94:95], v78
	s_waitcnt lgkmcnt(2)
	v_pk_add_f32 v[84:85], v[92:93], v[84:85]
	s_nop 0
	v_pk_add_f32 v[84:85], v[84:85], v[86:87]
	s_waitcnt lgkmcnt(1)
	v_pk_add_f32 v[84:85], v[84:85], v[88:89]
	s_nop 0
	v_pk_add_f32 v[84:85], v[84:85], v[90:91]
	s_waitcnt lgkmcnt(0)
	v_pk_add_f32 v[84:85], v[84:85], v[94:95]
	global_store_dwordx2 v[96:97], v[84:85], off
	s_branch .LBB42_128
.LBB42_133:
	s_movk_i32 s0, 0x218
	v_mad_u32_u24 v0, v17, s0, v74
	s_or_b64 s[0:1], s[16:17], vcc
	s_xor_b64 s[0:1], s[0:1], -1
	ds_write_b64 v0, v[18:19]
	s_waitcnt lgkmcnt(0)
	s_barrier
	s_and_saveexec_b64 s[2:3], s[0:1]
	s_cbranch_execz .LBB42_135
; %bb.134:
	ds_read2_b64 v[0:3], v74 offset1:67
	ds_read2_b64 v[4:7], v74 offset0:134 offset1:201
	v_ashrrev_i32_e32 v17, 31, v16
	v_lshl_add_u64 v[8:9], v[16:17], 3, s[6:7]
	s_waitcnt lgkmcnt(1)
	v_pk_add_f32 v[0:1], v[2:3], v[0:1]
	s_waitcnt lgkmcnt(0)
	v_pk_add_f32 v[0:1], v[0:1], v[4:5]
	s_nop 0
	v_pk_add_f32 v[0:1], v[0:1], v[6:7]
	global_store_dwordx2 v[8:9], v[0:1], off
.LBB42_135:
	s_endpgm
	.section	.rodata,"a",@progbits
	.p2align	6, 0x0
	.amdhsa_kernel _ZL26rocblas_hemvn_kernel_lowerILb1ELi64ELi4ELi33ELi32ELi16EiPK19rocblas_complex_numIfEPKS3_PS1_EviT6_lT7_lT5_lS8_lS9_lS7_lT8_i
		.amdhsa_group_segment_fixed_size 9600
		.amdhsa_private_segment_fixed_size 0
		.amdhsa_kernarg_size 376
		.amdhsa_user_sgpr_count 2
		.amdhsa_user_sgpr_dispatch_ptr 0
		.amdhsa_user_sgpr_queue_ptr 0
		.amdhsa_user_sgpr_kernarg_segment_ptr 1
		.amdhsa_user_sgpr_dispatch_id 0
		.amdhsa_user_sgpr_kernarg_preload_length 0
		.amdhsa_user_sgpr_kernarg_preload_offset 0
		.amdhsa_user_sgpr_private_segment_size 0
		.amdhsa_uses_dynamic_stack 0
		.amdhsa_enable_private_segment 0
		.amdhsa_system_sgpr_workgroup_id_x 1
		.amdhsa_system_sgpr_workgroup_id_y 0
		.amdhsa_system_sgpr_workgroup_id_z 1
		.amdhsa_system_sgpr_workgroup_info 0
		.amdhsa_system_vgpr_workitem_id 1
		.amdhsa_next_free_vgpr 104
		.amdhsa_next_free_sgpr 48
		.amdhsa_accum_offset 104
		.amdhsa_reserve_vcc 1
		.amdhsa_float_round_mode_32 0
		.amdhsa_float_round_mode_16_64 0
		.amdhsa_float_denorm_mode_32 3
		.amdhsa_float_denorm_mode_16_64 3
		.amdhsa_dx10_clamp 1
		.amdhsa_ieee_mode 1
		.amdhsa_fp16_overflow 0
		.amdhsa_tg_split 0
		.amdhsa_exception_fp_ieee_invalid_op 0
		.amdhsa_exception_fp_denorm_src 0
		.amdhsa_exception_fp_ieee_div_zero 0
		.amdhsa_exception_fp_ieee_overflow 0
		.amdhsa_exception_fp_ieee_underflow 0
		.amdhsa_exception_fp_ieee_inexact 0
		.amdhsa_exception_int_div_zero 0
	.end_amdhsa_kernel
	.section	.text._ZL26rocblas_hemvn_kernel_lowerILb1ELi64ELi4ELi33ELi32ELi16EiPK19rocblas_complex_numIfEPKS3_PS1_EviT6_lT7_lT5_lS8_lS9_lS7_lT8_i,"axG",@progbits,_ZL26rocblas_hemvn_kernel_lowerILb1ELi64ELi4ELi33ELi32ELi16EiPK19rocblas_complex_numIfEPKS3_PS1_EviT6_lT7_lT5_lS8_lS9_lS7_lT8_i,comdat
.Lfunc_end42:
	.size	_ZL26rocblas_hemvn_kernel_lowerILb1ELi64ELi4ELi33ELi32ELi16EiPK19rocblas_complex_numIfEPKS3_PS1_EviT6_lT7_lT5_lS8_lS9_lS7_lT8_i, .Lfunc_end42-_ZL26rocblas_hemvn_kernel_lowerILb1ELi64ELi4ELi33ELi32ELi16EiPK19rocblas_complex_numIfEPKS3_PS1_EviT6_lT7_lT5_lS8_lS9_lS7_lT8_i
                                        ; -- End function
	.section	.AMDGPU.csdata,"",@progbits
; Kernel info:
; codeLenInByte = 7920
; NumSgprs: 54
; NumVgprs: 104
; NumAgprs: 0
; TotalNumVgprs: 104
; ScratchSize: 0
; MemoryBound: 1
; FloatMode: 240
; IeeeMode: 1
; LDSByteSize: 9600 bytes/workgroup (compile time only)
; SGPRBlocks: 6
; VGPRBlocks: 12
; NumSGPRsForWavesPerEU: 54
; NumVGPRsForWavesPerEU: 104
; AccumOffset: 104
; Occupancy: 4
; WaveLimiterHint : 1
; COMPUTE_PGM_RSRC2:SCRATCH_EN: 0
; COMPUTE_PGM_RSRC2:USER_SGPR: 2
; COMPUTE_PGM_RSRC2:TRAP_HANDLER: 0
; COMPUTE_PGM_RSRC2:TGID_X_EN: 1
; COMPUTE_PGM_RSRC2:TGID_Y_EN: 0
; COMPUTE_PGM_RSRC2:TGID_Z_EN: 1
; COMPUTE_PGM_RSRC2:TIDIG_COMP_CNT: 1
; COMPUTE_PGM_RSRC3_GFX90A:ACCUM_OFFSET: 25
; COMPUTE_PGM_RSRC3_GFX90A:TG_SPLIT: 0
	.section	.text._ZL36rocblas_hemvn_kernel_lower_block_sumILi64EiPK19rocblas_complex_numIfEPKPS1_S1_EviT1_lS7_lT2_lT0_lPT3_i,"axG",@progbits,_ZL36rocblas_hemvn_kernel_lower_block_sumILi64EiPK19rocblas_complex_numIfEPKPS1_S1_EviT1_lS7_lT2_lT0_lPT3_i,comdat
	.globl	_ZL36rocblas_hemvn_kernel_lower_block_sumILi64EiPK19rocblas_complex_numIfEPKPS1_S1_EviT1_lS7_lT2_lT0_lPT3_i ; -- Begin function _ZL36rocblas_hemvn_kernel_lower_block_sumILi64EiPK19rocblas_complex_numIfEPKPS1_S1_EviT1_lS7_lT2_lT0_lPT3_i
	.p2align	8
	.type	_ZL36rocblas_hemvn_kernel_lower_block_sumILi64EiPK19rocblas_complex_numIfEPKPS1_S1_EviT1_lS7_lT2_lT0_lPT3_i,@function
_ZL36rocblas_hemvn_kernel_lower_block_sumILi64EiPK19rocblas_complex_numIfEPKPS1_S1_EviT1_lS7_lT2_lT0_lPT3_i: ; @_ZL36rocblas_hemvn_kernel_lower_block_sumILi64EiPK19rocblas_complex_numIfEPKPS1_S1_EviT1_lS7_lT2_lT0_lPT3_i
; %bb.0:
	s_load_dwordx8 s[4:11], s[0:1], 0x8
	s_mov_b32 s12, s3
	s_mov_b32 s13, 0
	s_waitcnt lgkmcnt(0)
	s_mul_i32 s3, s3, s7
	s_mul_hi_u32 s7, s12, s6
	s_add_i32 s7, s7, s3
	s_mul_i32 s6, s12, s6
	s_lshl_b64 s[6:7], s[6:7], 3
	s_add_u32 s4, s4, s6
	s_mul_i32 s3, s12, s11
	s_mul_hi_u32 s6, s12, s10
	s_addc_u32 s5, s5, s7
	s_add_i32 s11, s6, s3
	s_mul_i32 s10, s12, s10
	s_load_dwordx2 s[6:7], s[4:5], 0x0
	s_lshl_b64 s[4:5], s[10:11], 3
	s_add_u32 s4, s8, s4
	s_addc_u32 s5, s9, s5
	s_load_dwordx2 s[8:9], s[4:5], 0x0
	s_waitcnt lgkmcnt(0)
	s_or_b32 s3, s6, s7
	s_bitset0_b32 s3, 31
	s_cmp_eq_u32 s3, 0
	s_cselect_b64 s[4:5], -1, 0
	v_cmp_eq_f32_e64 s[10:11], s8, 1.0
	v_cmp_eq_f32_e64 s[14:15], s9, 0
	s_and_b64 s[10:11], s[10:11], s[14:15]
	s_and_b64 s[10:11], s[4:5], s[10:11]
	s_and_b64 vcc, exec, s[10:11]
	s_cbranch_vccnz .LBB43_17
; %bb.1:
	s_load_dwordx4 s[16:19], s[0:1], 0x28
	s_load_dword s3, s[0:1], 0x38
	s_load_dword s14, s[0:1], 0x0
	s_lshl_b64 s[10:11], s[12:13], 3
	v_lshl_or_b32 v4, s2, 6, v0
	s_waitcnt lgkmcnt(0)
	s_add_u32 s10, s16, s10
	s_addc_u32 s11, s17, s11
	s_load_dwordx2 s[10:11], s[10:11], 0x0
	s_lshl_b64 s[18:19], s[18:19], 3
	s_mov_b64 s[16:17], -1
	s_waitcnt lgkmcnt(0)
	s_add_u32 s10, s10, s18
	s_addc_u32 s11, s11, s19
	s_andn2_b64 vcc, exec, s[4:5]
	v_cmp_gt_i32_e64 s[4:5], s14, v4
	s_cbranch_vccnz .LBB43_7
; %bb.2:
	s_and_saveexec_b64 s[16:17], s[4:5]
	s_cbranch_execz .LBB43_6
; %bb.3:
	v_cmp_neq_f32_e64 s[4:5], s8, 0
	v_cmp_neq_f32_e64 s[18:19], s9, 0
	v_mul_lo_u32 v0, v4, s3
	v_ashrrev_i32_e32 v1, 31, v0
	s_or_b64 s[4:5], s[4:5], s[18:19]
	s_andn2_b64 vcc, exec, s[4:5]
	v_mov_b32_e32 v2, 0
	v_lshl_add_u64 v[0:1], v[0:1], 3, s[10:11]
	v_mov_b32_e32 v3, 0
	s_cbranch_vccnz .LBB43_5
; %bb.4:
	global_load_dwordx2 v[6:7], v[0:1], off
	s_waitcnt vmcnt(0)
	v_pk_mul_f32 v[8:9], v[6:7], s[8:9] op_sel:[1,0]
	s_nop 0
	v_pk_fma_f32 v[2:3], v[6:7], s[8:9], v[8:9] op_sel:[0,0,1] op_sel_hi:[1,1,0] neg_lo:[0,0,1] neg_hi:[0,0,1]
	v_pk_fma_f32 v[6:7], v[6:7], s[8:9], v[8:9] op_sel:[0,0,1] op_sel_hi:[0,1,0]
	v_mov_b32_e32 v3, v7
.LBB43_5:
	global_store_dwordx2 v[0:1], v[2:3], off
.LBB43_6:
	s_or_b64 exec, exec, s[16:17]
	s_mov_b64 s[16:17], 0
.LBB43_7:
	s_andn2_b64 vcc, exec, s[16:17]
	s_cbranch_vccnz .LBB43_17
; %bb.8:
	v_cmp_gt_i32_e32 vcc, s14, v4
	s_and_saveexec_b64 s[4:5], vcc
	s_cbranch_execz .LBB43_17
; %bb.9:
	s_load_dword s4, s[0:1], 0x58
	v_mov_b32_e32 v1, 0
	v_mov_b32_e32 v0, v1
	s_waitcnt lgkmcnt(0)
	s_cmp_ge_i32 s2, s4
	s_cbranch_scc1 .LBB43_12
; %bb.10:
	s_ashr_i32 s15, s14, 31
	s_mul_i32 s5, s2, s14
	s_load_dwordx2 s[0:1], s[0:1], 0x48
	v_add_u32_e32 v0, s5, v4
	s_mul_hi_u32 s5, s14, s12
	s_mul_i32 s13, s15, s12
	s_add_i32 s5, s5, s13
	s_mul_i32 s12, s14, s12
	s_mul_i32 s5, s5, s4
	s_mul_hi_u32 s13, s12, s4
	s_add_i32 s13, s13, s5
	s_mul_i32 s12, s12, s4
	s_lshl_b64 s[12:13], s[12:13], 3
	s_waitcnt lgkmcnt(0)
	s_add_u32 s0, s0, s12
	v_ashrrev_i32_e32 v1, 31, v0
	s_addc_u32 s1, s1, s13
	v_lshl_add_u64 v[2:3], v[0:1], 3, s[0:1]
	v_mov_b32_e32 v0, 0
	s_lshl_b64 s[0:1], s[14:15], 3
	v_mov_b32_e32 v1, v0
.LBB43_11:                              ; =>This Inner Loop Header: Depth=1
	global_load_dwordx2 v[6:7], v[2:3], off
	s_add_i32 s2, s2, 1
	v_lshl_add_u64 v[2:3], v[2:3], 0, s[0:1]
	s_cmp_ge_i32 s2, s4
	s_waitcnt vmcnt(0)
	v_pk_add_f32 v[0:1], v[0:1], v[6:7]
	s_cbranch_scc0 .LBB43_11
.LBB43_12:
	v_cmp_neq_f32_e64 s[0:1], s8, 0
	v_cmp_neq_f32_e64 s[4:5], s9, 0
	s_or_b64 s[0:1], s[0:1], s[4:5]
	v_pk_mul_f32 v[6:7], v[0:1], s[6:7] op_sel:[1,0]
	v_mul_lo_u32 v4, v4, s3
	s_andn2_b64 vcc, exec, s[0:1]
	v_pk_fma_f32 v[2:3], v[0:1], s[6:7], v[6:7] op_sel:[0,0,1] op_sel_hi:[0,1,0]
	v_ashrrev_i32_e32 v5, 31, v4
	s_cbranch_vccz .LBB43_14
; %bb.13:
	v_pk_mul_f32 v[8:9], v[0:1], s[6:7] op_sel_hi:[0,1]
	v_sub_f32_e32 v2, v8, v7
	s_cbranch_execz .LBB43_15
	s_branch .LBB43_16
.LBB43_14:
.LBB43_15:
	v_lshl_add_u64 v[8:9], v[4:5], 3, s[10:11]
	global_load_dwordx2 v[8:9], v[8:9], off
	v_pk_fma_f32 v[0:1], v[0:1], s[6:7], v[6:7] op_sel:[0,0,1] op_sel_hi:[1,1,0] neg_lo:[0,0,1] neg_hi:[0,0,1]
	s_waitcnt vmcnt(0)
	v_pk_mul_f32 v[6:7], v[8:9], s[8:9] op_sel:[1,0]
	s_nop 0
	v_pk_fma_f32 v[10:11], v[8:9], s[8:9], v[6:7] op_sel:[0,0,1] op_sel_hi:[1,1,0] neg_lo:[0,0,1] neg_hi:[0,0,1]
	v_pk_fma_f32 v[6:7], v[8:9], s[8:9], v[6:7] op_sel:[0,0,1] op_sel_hi:[0,1,0]
	v_mov_b32_e32 v11, v7
	v_mov_b32_e32 v1, v3
	v_pk_add_f32 v[2:3], v[0:1], v[10:11]
.LBB43_16:
	v_lshl_add_u64 v[0:1], v[4:5], 3, s[10:11]
	global_store_dwordx2 v[0:1], v[2:3], off
.LBB43_17:
	s_endpgm
	.section	.rodata,"a",@progbits
	.p2align	6, 0x0
	.amdhsa_kernel _ZL36rocblas_hemvn_kernel_lower_block_sumILi64EiPK19rocblas_complex_numIfEPKPS1_S1_EviT1_lS7_lT2_lT0_lPT3_i
		.amdhsa_group_segment_fixed_size 0
		.amdhsa_private_segment_fixed_size 0
		.amdhsa_kernarg_size 344
		.amdhsa_user_sgpr_count 2
		.amdhsa_user_sgpr_dispatch_ptr 0
		.amdhsa_user_sgpr_queue_ptr 0
		.amdhsa_user_sgpr_kernarg_segment_ptr 1
		.amdhsa_user_sgpr_dispatch_id 0
		.amdhsa_user_sgpr_kernarg_preload_length 0
		.amdhsa_user_sgpr_kernarg_preload_offset 0
		.amdhsa_user_sgpr_private_segment_size 0
		.amdhsa_uses_dynamic_stack 0
		.amdhsa_enable_private_segment 0
		.amdhsa_system_sgpr_workgroup_id_x 1
		.amdhsa_system_sgpr_workgroup_id_y 0
		.amdhsa_system_sgpr_workgroup_id_z 1
		.amdhsa_system_sgpr_workgroup_info 0
		.amdhsa_system_vgpr_workitem_id 0
		.amdhsa_next_free_vgpr 12
		.amdhsa_next_free_sgpr 20
		.amdhsa_accum_offset 12
		.amdhsa_reserve_vcc 1
		.amdhsa_float_round_mode_32 0
		.amdhsa_float_round_mode_16_64 0
		.amdhsa_float_denorm_mode_32 3
		.amdhsa_float_denorm_mode_16_64 3
		.amdhsa_dx10_clamp 1
		.amdhsa_ieee_mode 1
		.amdhsa_fp16_overflow 0
		.amdhsa_tg_split 0
		.amdhsa_exception_fp_ieee_invalid_op 0
		.amdhsa_exception_fp_denorm_src 0
		.amdhsa_exception_fp_ieee_div_zero 0
		.amdhsa_exception_fp_ieee_overflow 0
		.amdhsa_exception_fp_ieee_underflow 0
		.amdhsa_exception_fp_ieee_inexact 0
		.amdhsa_exception_int_div_zero 0
	.end_amdhsa_kernel
	.section	.text._ZL36rocblas_hemvn_kernel_lower_block_sumILi64EiPK19rocblas_complex_numIfEPKPS1_S1_EviT1_lS7_lT2_lT0_lPT3_i,"axG",@progbits,_ZL36rocblas_hemvn_kernel_lower_block_sumILi64EiPK19rocblas_complex_numIfEPKPS1_S1_EviT1_lS7_lT2_lT0_lPT3_i,comdat
.Lfunc_end43:
	.size	_ZL36rocblas_hemvn_kernel_lower_block_sumILi64EiPK19rocblas_complex_numIfEPKPS1_S1_EviT1_lS7_lT2_lT0_lPT3_i, .Lfunc_end43-_ZL36rocblas_hemvn_kernel_lower_block_sumILi64EiPK19rocblas_complex_numIfEPKPS1_S1_EviT1_lS7_lT2_lT0_lPT3_i
                                        ; -- End function
	.section	.AMDGPU.csdata,"",@progbits
; Kernel info:
; codeLenInByte = 708
; NumSgprs: 26
; NumVgprs: 12
; NumAgprs: 0
; TotalNumVgprs: 12
; ScratchSize: 0
; MemoryBound: 0
; FloatMode: 240
; IeeeMode: 1
; LDSByteSize: 0 bytes/workgroup (compile time only)
; SGPRBlocks: 3
; VGPRBlocks: 1
; NumSGPRsForWavesPerEU: 26
; NumVGPRsForWavesPerEU: 12
; AccumOffset: 12
; Occupancy: 8
; WaveLimiterHint : 1
; COMPUTE_PGM_RSRC2:SCRATCH_EN: 0
; COMPUTE_PGM_RSRC2:USER_SGPR: 2
; COMPUTE_PGM_RSRC2:TRAP_HANDLER: 0
; COMPUTE_PGM_RSRC2:TGID_X_EN: 1
; COMPUTE_PGM_RSRC2:TGID_Y_EN: 0
; COMPUTE_PGM_RSRC2:TGID_Z_EN: 1
; COMPUTE_PGM_RSRC2:TIDIG_COMP_CNT: 0
; COMPUTE_PGM_RSRC3_GFX90A:ACCUM_OFFSET: 2
; COMPUTE_PGM_RSRC3_GFX90A:TG_SPLIT: 0
	.section	.text._ZL26rocblas_hemvn_kernel_lowerILb1ELi64ELi4ELi33ELi32ELi16El19rocblas_complex_numIfEPKPKS1_PS1_EviT6_lT7_lT5_lS8_lS9_lS7_lT8_i,"axG",@progbits,_ZL26rocblas_hemvn_kernel_lowerILb1ELi64ELi4ELi33ELi32ELi16El19rocblas_complex_numIfEPKPKS1_PS1_EviT6_lT7_lT5_lS8_lS9_lS7_lT8_i,comdat
	.globl	_ZL26rocblas_hemvn_kernel_lowerILb1ELi64ELi4ELi33ELi32ELi16El19rocblas_complex_numIfEPKPKS1_PS1_EviT6_lT7_lT5_lS8_lS9_lS7_lT8_i ; -- Begin function _ZL26rocblas_hemvn_kernel_lowerILb1ELi64ELi4ELi33ELi32ELi16El19rocblas_complex_numIfEPKPKS1_PS1_EviT6_lT7_lT5_lS8_lS9_lS7_lT8_i
	.p2align	8
	.type	_ZL26rocblas_hemvn_kernel_lowerILb1ELi64ELi4ELi33ELi32ELi16El19rocblas_complex_numIfEPKPKS1_PS1_EviT6_lT7_lT5_lS8_lS9_lS7_lT8_i,@function
_ZL26rocblas_hemvn_kernel_lowerILb1ELi64ELi4ELi33ELi32ELi16El19rocblas_complex_numIfEPKPKS1_PS1_EviT6_lT7_lT5_lS8_lS9_lS7_lT8_i: ; @_ZL26rocblas_hemvn_kernel_lowerILb1ELi64ELi4ELi33ELi32ELi16El19rocblas_complex_numIfEPKPKS1_PS1_EviT6_lT7_lT5_lS8_lS9_lS7_lT8_i
; %bb.0:
	s_load_dwordx2 s[4:5], s[0:1], 0x84
	s_add_u32 s14, s0, 0x78
	s_mov_b32 s28, s3
	s_addc_u32 s15, s1, 0
	s_waitcnt lgkmcnt(0)
	s_and_b32 s3, s5, 0xffff
	s_lshr_b32 s5, s4, 16
	s_and_b32 s4, s4, 0xffff
	s_mul_i32 s4, s5, s4
	s_mul_i32 s4, s4, s3
	s_cmpk_lg_i32 s4, 0x100
	s_cbranch_scc1 .LBB44_135
; %bb.1:
	s_load_dwordx2 s[8:9], s[0:1], 0x4
	s_load_dwordx4 s[4:7], s[0:1], 0x18
	s_load_dwordx2 s[24:25], s[0:1], 0x28
	s_waitcnt lgkmcnt(0)
	s_or_b32 s3, s8, s9
	s_bitset0_b32 s3, 31
	s_cmp_lg_u32 s3, 0
	s_cselect_b64 s[16:17], -1, 0
	s_and_b64 vcc, exec, s[16:17]
	s_cbranch_vccnz .LBB44_4
; %bb.2:
	s_load_dwordx2 s[8:9], s[0:1], 0x58
                                        ; implicit-def: $sgpr12_sgpr13
	s_waitcnt lgkmcnt(0)
	v_cmp_eq_f32_e64 s[10:11], s8, 1.0
	v_cmp_eq_f32_e64 s[8:9], s9, 0
	s_and_b64 s[8:9], s[10:11], s[8:9]
	s_mov_b64 s[10:11], 0
	s_andn2_b64 vcc, exec, s[8:9]
	s_mov_b64 s[8:9], 0
	s_cbranch_vccz .LBB44_5
; %bb.3:
	s_mov_b64 s[8:9], -1
	s_mov_b64 s[12:13], 0
	s_branch .LBB44_5
.LBB44_4:
	s_mov_b64 s[10:11], -1
	s_mov_b64 s[8:9], 0
                                        ; implicit-def: $sgpr12_sgpr13
.LBB44_5:
	s_and_b64 vcc, exec, s[10:11]
	s_cbranch_vccz .LBB44_7
; %bb.6:
	s_mov_b32 s29, 0
	s_lshl_b64 s[8:9], s[28:29], 3
	s_add_u32 s4, s4, s8
	s_addc_u32 s5, s5, s9
	s_load_dwordx2 s[4:5], s[4:5], 0x0
	s_lshl_b64 s[6:7], s[6:7], 3
	s_mov_b64 s[8:9], -1
	s_waitcnt lgkmcnt(0)
	s_add_u32 s12, s4, s6
	s_addc_u32 s13, s5, s7
.LBB44_7:
	s_andn2_b64 vcc, exec, s[8:9]
	s_cbranch_vccnz .LBB44_135
; %bb.8:
	s_load_dwordx4 s[8:11], s[0:1], 0x38
	s_load_dwordx2 s[22:23], s[0:1], 0x48
	v_cndmask_b32_e64 v1, 0, 1, s[16:17]
	v_cmp_ne_u32_e64 s[4:5], 1, v1
	s_andn2_b64 vcc, exec, s[16:17]
	s_mov_b64 s[6:7], 0
	s_cbranch_vccnz .LBB44_10
; %bb.9:
	s_mov_b32 s29, 0
	s_lshl_b64 s[6:7], s[28:29], 3
	s_waitcnt lgkmcnt(0)
	s_add_u32 s6, s8, s6
	s_addc_u32 s7, s9, s7
	s_load_dwordx2 s[6:7], s[6:7], 0x0
	s_lshl_b64 s[8:9], s[10:11], 3
	s_waitcnt lgkmcnt(0)
	s_add_u32 s6, s6, s8
	s_addc_u32 s7, s7, s9
.LBB44_10:
	s_and_b64 vcc, exec, s[4:5]
	s_cbranch_vccnz .LBB44_135
; %bb.11:
	s_load_dword s29, s[14:15], 0x0
	s_load_dword s3, s[0:1], 0x0
	v_and_b32_e32 v26, 0x3ff, v0
	s_lshl_b32 s34, s2, 6
	v_add_u32_e32 v16, s34, v26
	s_waitcnt lgkmcnt(0)
	s_add_i32 s4, s29, -1
	s_ashr_i32 s33, s3, 31
	s_lshr_b32 s5, s33, 26
	s_add_i32 s5, s3, s5
	s_andn2_b32 s5, s5, 63
	s_sub_i32 s5, s3, s5
	s_cmp_eq_u32 s2, s4
	v_ashrrev_i32_e32 v17, 31, v16
	v_bfe_u32 v76, v0, 10, 10
	s_cselect_b32 s30, s5, 0
	v_mul_lo_u32 v2, v17, s22
	v_mul_lo_u32 v3, v16, s23
	v_mad_u64_u32 v[0:1], s[4:5], v16, s22, 0
	v_add3_u32 v1, v1, v3, v2
	v_lshl_add_u64 v[20:21], v[0:1], 3, s[6:7]
	v_cmp_ne_u32_e64 s[4:5], 0, v76
	v_cmp_eq_u32_e64 s[18:19], 0, v76
	s_and_saveexec_b64 s[6:7], s[18:19]
	s_cbranch_execz .LBB44_16
; %bb.12:
	s_cmp_lg_u32 s30, 0
	s_cselect_b64 s[8:9], -1, 0
	v_cmp_le_i32_e32 vcc, s30, v26
	v_mov_b32_e32 v0, 0x2380
	s_and_b64 s[8:9], s[8:9], vcc
	v_lshl_add_u32 v0, v26, 3, v0
	s_and_saveexec_b64 s[10:11], s[8:9]
	s_xor_b64 s[8:9], exec, s[10:11]
	s_cbranch_execz .LBB44_14
; %bb.13:
	v_mov_b32_e32 v2, 0
	v_mov_b32_e32 v3, v2
	ds_write_b64 v0, v[2:3]
                                        ; implicit-def: $vgpr0
.LBB44_14:
	s_andn2_saveexec_b64 s[8:9], s[8:9]
	s_cbranch_execz .LBB44_16
; %bb.15:
	flat_load_dwordx2 v[2:3], v[20:21]
	s_waitcnt vmcnt(0) lgkmcnt(0)
	ds_write_b64 v0, v[2:3]
.LBB44_16:
	s_or_b64 exec, exec, s[6:7]
	s_ashr_i32 s35, s34, 31
	v_lshl_add_u32 v27, v76, 6, v26
	s_lshl_b64 s[6:7], s[34:35], 3
	v_and_b32_e32 v0, 31, v26
	v_lshrrev_b32_e32 v10, 5, v27
	s_add_u32 s8, s12, s6
	v_mov_b32_e32 v1, 0
	s_addc_u32 s9, s13, s7
	v_mad_u64_u32 v[22:23], s[6:7], v10, s24, v[0:1]
	v_mov_b32_e32 v2, v23
	v_mad_u64_u32 v[2:3], s[6:7], v10, s25, v[2:3]
	s_mul_i32 s6, s34, s25
	s_mul_hi_u32 s7, s34, s24
	s_add_i32 s6, s7, s6
	s_mul_i32 s7, s35, s24
	s_add_i32 s7, s6, s7
	s_mul_i32 s6, s34, s24
	s_lshl_b64 s[36:37], s[6:7], 3
	s_add_u32 s6, s36, s8
	s_addc_u32 s7, s37, s9
	s_cmp_lg_u32 s30, 0
	v_mov_b32_e32 v23, v2
	s_cselect_b64 s[38:39], -1, 0
	s_cmp_eq_u32 s30, 0
	v_lshl_add_u64 v[2:3], v[22:23], 3, s[6:7]
	s_cselect_b64 s[20:21], -1, 0
	s_and_b64 vcc, exec, s[38:39]
	s_cbranch_vccnz .LBB44_18
; %bb.17:
	flat_load_dwordx2 v[4:5], v[2:3]
	v_mul_u32_u24_e32 v1, 33, v10
	s_lshl_b64 s[6:7], s[24:25], 6
	v_add_lshl_u32 v1, v1, v0, 3
	v_lshl_add_u64 v[6:7], v[2:3], 0, s[6:7]
	s_mul_i32 s8, s25, 0xc0
	s_waitcnt vmcnt(0) lgkmcnt(0)
	ds_write_b64 v1, v[4:5]
	flat_load_dwordx2 v[4:5], v[6:7]
	v_lshl_add_u64 v[6:7], v[6:7], 0, s[6:7]
	s_waitcnt vmcnt(0) lgkmcnt(0)
	ds_write_b64 v1, v[4:5] offset:2112
	flat_load_dwordx2 v[4:5], v[6:7]
	v_mov_b32_e32 v6, 0xc0
	v_mad_u64_u32 v[6:7], s[6:7], s24, v6, v[2:3]
	v_add_u32_e32 v7, s8, v7
	s_waitcnt vmcnt(0) lgkmcnt(0)
	ds_write_b64 v1, v[4:5] offset:4224
	flat_load_dwordx2 v[4:5], v[6:7]
	s_waitcnt vmcnt(0) lgkmcnt(0)
	ds_write_b64 v1, v[4:5] offset:6336
	s_cbranch_execz .LBB44_19
	s_branch .LBB44_34
.LBB44_18:
.LBB44_19:
	v_lshlrev_b32_e32 v4, 3, v0
	v_sub_co_u32_e32 v6, vcc, v2, v4
	s_ashr_i32 s31, s30, 31
	s_nop 0
	v_subbrev_co_u32_e32 v7, vcc, 0, v3, vcc
	v_lshl_add_u64 v[6:7], s[30:31], 3, v[6:7]
	v_lshl_add_u64 v[6:7], v[6:7], 0, -8
	v_cmp_gt_i32_e32 vcc, s30, v0
	v_mov_b32_e32 v8, 0
	v_cmp_gt_i32_e64 s[6:7], s30, v10
	v_cndmask_b32_e32 v7, v7, v3, vcc
	v_cndmask_b32_e32 v6, v6, v2, vcc
	v_mov_b32_e32 v9, v8
	s_and_saveexec_b64 s[8:9], s[6:7]
	s_cbranch_execz .LBB44_21
; %bb.20:
	flat_load_dwordx2 v[8:9], v[6:7]
.LBB44_21:
	s_or_b64 exec, exec, s[8:9]
	v_mul_u32_u24_e32 v1, 33, v10
	v_add_u32_e32 v5, 8, v10
	v_add_lshl_u32 v1, v1, v0, 3
	v_cmp_le_i32_e64 s[6:7], s30, v5
	s_waitcnt vmcnt(0) lgkmcnt(0)
	ds_write_b64 v1, v[8:9]
	s_and_saveexec_b64 s[8:9], s[6:7]
	s_xor_b64 s[6:7], exec, s[8:9]
	s_cbranch_execz .LBB44_23
; %bb.22:
	v_mul_u32_u24_e32 v5, 33, v5
	v_mov_b32_e32 v8, 0
	v_add_lshl_u32 v5, v5, v0, 3
	v_mov_b32_e32 v9, v8
	ds_write_b64 v5, v[8:9]
.LBB44_23:
	s_andn2_saveexec_b64 s[6:7], s[6:7]
	s_cbranch_execz .LBB44_25
; %bb.24:
	s_lshl_b64 s[8:9], s[24:25], 6
	v_lshl_add_u64 v[8:9], v[6:7], 0, s[8:9]
	flat_load_dwordx2 v[8:9], v[8:9]
	s_waitcnt vmcnt(0) lgkmcnt(0)
	ds_write_b64 v1, v[8:9] offset:2112
.LBB44_25:
	s_or_b64 exec, exec, s[6:7]
	v_add_u32_e32 v5, 16, v10
	v_cmp_le_i32_e64 s[6:7], s30, v5
	s_and_saveexec_b64 s[8:9], s[6:7]
	s_xor_b64 s[6:7], exec, s[8:9]
	s_cbranch_execz .LBB44_27
; %bb.26:
	v_mov_b32_e32 v8, 0
	v_mov_b32_e32 v9, v8
	ds_write_b64 v1, v[8:9] offset:4224
.LBB44_27:
	s_andn2_saveexec_b64 s[6:7], s[6:7]
	s_cbranch_execz .LBB44_29
; %bb.28:
	s_lshl_b64 s[8:9], s[24:25], 7
	v_lshl_add_u64 v[8:9], v[6:7], 0, s[8:9]
	flat_load_dwordx2 v[8:9], v[8:9]
	s_waitcnt vmcnt(0) lgkmcnt(0)
	ds_write_b64 v1, v[8:9] offset:4224
.LBB44_29:
	s_or_b64 exec, exec, s[6:7]
	v_add_u32_e32 v5, 24, v10
	v_cmp_le_i32_e64 s[6:7], s30, v5
	s_and_saveexec_b64 s[8:9], s[6:7]
	s_xor_b64 s[6:7], exec, s[8:9]
	s_cbranch_execz .LBB44_31
; %bb.30:
	v_mov_b32_e32 v8, 0
	v_mov_b32_e32 v9, v8
	ds_write_b64 v1, v[8:9] offset:6336
                                        ; implicit-def: $vgpr1
.LBB44_31:
	s_andn2_saveexec_b64 s[6:7], s[6:7]
	s_cbranch_execz .LBB44_33
; %bb.32:
	v_mov_b32_e32 v5, 0xc0
	v_mad_u64_u32 v[8:9], s[8:9], s24, v5, v[6:7]
	s_mul_i32 s8, s25, 0xc0
	s_nop 0
	v_add_u32_e32 v9, s8, v9
	flat_load_dwordx2 v[8:9], v[8:9]
	s_waitcnt vmcnt(0) lgkmcnt(0)
	ds_write_b64 v1, v[8:9] offset:6336
.LBB44_33:
	s_or_b64 exec, exec, s[6:7]
	v_mov_b32_e32 v5, 0
	v_lshl_add_u64 v[4:5], v[6:7], 0, v[4:5]
	s_lshl_b64 s[6:7], s[30:31], 3
	v_mov_b32_e32 v1, s7
	v_subrev_co_u32_e64 v4, s[6:7], s6, v4
	s_nop 1
	v_subb_co_u32_e64 v5, s[6:7], v5, v1, s[6:7]
	v_lshl_add_u64 v[4:5], v[4:5], 0, 8
	v_cndmask_b32_e32 v3, v5, v3, vcc
	v_cndmask_b32_e32 v2, v4, v2, vcc
.LBB44_34:
	v_lshlrev_b32_e32 v8, 2, v10
	v_cmp_ge_u32_e64 s[8:9], v8, v0
	s_waitcnt lgkmcnt(0)
	s_barrier
	s_and_saveexec_b64 s[6:7], s[8:9]
	s_xor_b64 s[6:7], exec, s[6:7]
	s_cbranch_execz .LBB44_38
; %bb.35:
	v_cmp_eq_u32_e32 vcc, v8, v0
	s_and_saveexec_b64 s[10:11], vcc
	s_cbranch_execz .LBB44_37
; %bb.36:
	v_mul_u32_u24_e32 v1, 34, v0
	v_lshlrev_b32_e32 v1, 3, v1
	v_mov_b32_e32 v4, 0
	ds_write_b32 v1, v4 offset:4
.LBB44_37:
	s_or_b64 exec, exec, s[10:11]
.LBB44_38:
	s_or_saveexec_b64 s[6:7], s[6:7]
	v_mul_u32_u24_e32 v28, 33, v0
	v_add_lshl_u32 v1, v8, v28, 3
	s_xor_b64 exec, exec, s[6:7]
	s_cbranch_execz .LBB44_40
; %bb.39:
	v_mul_u32_u24_e32 v4, 0x84, v10
	v_add_lshl_u32 v4, v4, v0, 3
	ds_read_b64 v[4:5], v4
	s_waitcnt lgkmcnt(0)
	v_xor_b32_e32 v5, 0x80000000, v5
	ds_write_b64 v1, v[4:5]
.LBB44_40:
	s_or_b64 exec, exec, s[6:7]
	v_or_b32_e32 v9, 1, v8
	v_cmp_ge_u32_e64 s[10:11], v9, v0
	s_and_saveexec_b64 s[6:7], s[10:11]
	s_xor_b64 s[6:7], exec, s[6:7]
	s_cbranch_execz .LBB44_44
; %bb.41:
	v_cmp_eq_u32_e32 vcc, v9, v0
	s_and_saveexec_b64 s[12:13], vcc
	s_cbranch_execz .LBB44_43
; %bb.42:
	v_mul_u32_u24_e32 v4, 34, v0
	v_lshlrev_b32_e32 v4, 3, v4
	v_mov_b32_e32 v5, 0
	ds_write_b32 v4, v5 offset:4
.LBB44_43:
	s_or_b64 exec, exec, s[12:13]
.LBB44_44:
	s_or_saveexec_b64 s[6:7], s[6:7]
	v_mul_u32_u24_e32 v4, 33, v9
	s_xor_b64 exec, exec, s[6:7]
	s_cbranch_execz .LBB44_46
; %bb.45:
	v_add_lshl_u32 v5, v4, v0, 3
	ds_read_b64 v[6:7], v5
	s_waitcnt lgkmcnt(0)
	v_xor_b32_e32 v7, 0x80000000, v7
	ds_write_b64 v1, v[6:7] offset:8
.LBB44_46:
	s_or_b64 exec, exec, s[6:7]
	v_or_b32_e32 v11, 2, v8
	v_cmp_ge_u32_e64 s[12:13], v11, v0
	s_and_saveexec_b64 s[6:7], s[12:13]
	s_xor_b64 s[6:7], exec, s[6:7]
	s_cbranch_execz .LBB44_50
; %bb.47:
	v_cmp_eq_u32_e32 vcc, v11, v0
	s_and_saveexec_b64 s[14:15], vcc
	s_cbranch_execz .LBB44_49
; %bb.48:
	v_mul_u32_u24_e32 v5, 34, v0
	v_lshlrev_b32_e32 v5, 3, v5
	v_mov_b32_e32 v6, 0
	ds_write_b32 v5, v6 offset:4
.LBB44_49:
	s_or_b64 exec, exec, s[14:15]
.LBB44_50:
	s_andn2_saveexec_b64 s[6:7], s[6:7]
	s_cbranch_execz .LBB44_52
; %bb.51:
	v_mul_u32_u24_e32 v5, 33, v11
	v_add_lshl_u32 v5, v5, v0, 3
	ds_read_b64 v[6:7], v5
	s_waitcnt lgkmcnt(0)
	v_xor_b32_e32 v7, 0x80000000, v7
	ds_write_b64 v1, v[6:7] offset:16
.LBB44_52:
	s_or_b64 exec, exec, s[6:7]
	v_or_b32_e32 v12, 3, v8
	v_cmp_ge_u32_e64 s[14:15], v12, v0
	s_and_saveexec_b64 s[6:7], s[14:15]
	s_xor_b64 s[6:7], exec, s[6:7]
	s_cbranch_execz .LBB44_56
; %bb.53:
	v_cmp_eq_u32_e32 vcc, v12, v0
	s_and_saveexec_b64 s[16:17], vcc
	s_cbranch_execz .LBB44_55
; %bb.54:
	v_mul_u32_u24_e32 v5, 34, v0
	v_lshlrev_b32_e32 v5, 3, v5
	v_mov_b32_e32 v6, 0
	ds_write_b32 v5, v6 offset:4
.LBB44_55:
	s_or_b64 exec, exec, s[16:17]
.LBB44_56:
	s_andn2_saveexec_b64 s[6:7], s[6:7]
	s_cbranch_execz .LBB44_58
; %bb.57:
	v_mul_u32_u24_e32 v5, 33, v12
	v_add_lshl_u32 v5, v5, v0, 3
	ds_read_b64 v[6:7], v5
	s_waitcnt lgkmcnt(0)
	v_xor_b32_e32 v7, 0x80000000, v7
	ds_write_b64 v1, v[6:7] offset:24
.LBB44_58:
	s_or_b64 exec, exec, s[6:7]
	v_mul_u32_u24_e32 v5, 0x84, v10
	v_lshlrev_b32_e32 v15, 3, v8
	s_waitcnt lgkmcnt(0)
	s_barrier
	v_add_lshl_u32 v14, v5, v0, 3
	v_add_lshl_u32 v13, v4, v0, 3
	ds_read_b128 v[4:7], v15 offset:9088
	ds_read_b64 v[18:19], v14
	ds_read2_b64 v[30:33], v13 offset1:33
	ds_read_b64 v[24:25], v13 offset:528
	ds_read_b128 v[34:37], v15 offset:9104
	s_mov_b32 s16, 0
	s_waitcnt lgkmcnt(3)
	v_pk_mul_f32 v[38:39], v[4:5], v[18:19] op_sel:[0,1]
	s_mov_b32 s17, s16
	v_pk_fma_f32 v[40:41], v[4:5], v[18:19], v[38:39] op_sel:[0,0,1] op_sel_hi:[1,1,0] neg_lo:[0,0,1] neg_hi:[0,0,1]
	v_pk_fma_f32 v[4:5], v[4:5], v[18:19], v[38:39] op_sel:[0,0,1] op_sel_hi:[1,0,0]
	s_waitcnt lgkmcnt(2)
	v_pk_mul_f32 v[18:19], v[6:7], v[30:31] op_sel:[0,1]
	v_mov_b32_e32 v41, v5
	v_pk_fma_f32 v[38:39], v[6:7], v[30:31], v[18:19] op_sel:[0,0,1] op_sel_hi:[1,1,0] neg_lo:[0,0,1] neg_hi:[0,0,1]
	v_pk_fma_f32 v[6:7], v[6:7], v[30:31], v[18:19] op_sel:[0,0,1] op_sel_hi:[1,0,0]
	v_pk_add_f32 v[4:5], v[40:41], 0 op_sel_hi:[1,0]
	v_mov_b32_e32 v39, v7
	s_waitcnt lgkmcnt(0)
	v_pk_mul_f32 v[6:7], v[34:35], v[32:33] op_sel:[0,1]
	v_pk_add_f32 v[4:5], v[4:5], v[38:39]
	v_pk_fma_f32 v[18:19], v[34:35], v[32:33], v[6:7] op_sel:[0,0,1] op_sel_hi:[1,1,0] neg_lo:[0,0,1] neg_hi:[0,0,1]
	v_pk_fma_f32 v[6:7], v[34:35], v[32:33], v[6:7] op_sel:[0,0,1] op_sel_hi:[1,0,0]
	v_add_lshl_u32 v29, v10, v28, 3
	v_mov_b32_e32 v19, v7
	v_pk_mul_f32 v[6:7], v[36:37], v[24:25] op_sel:[0,1]
	v_pk_add_f32 v[4:5], v[4:5], v[18:19]
	v_pk_fma_f32 v[18:19], v[36:37], v[24:25], v[6:7] op_sel:[0,0,1] op_sel_hi:[1,1,0] neg_lo:[0,0,1] neg_hi:[0,0,1]
	v_pk_fma_f32 v[6:7], v[36:37], v[24:25], v[6:7] op_sel:[0,0,1] op_sel_hi:[1,0,0]
	v_cmp_gt_u32_e64 s[6:7], 32, v27
	v_mov_b32_e32 v19, v7
	v_pk_add_f32 v[4:5], v[4:5], v[18:19]
	v_mov_b64_e32 v[18:19], s[16:17]
	s_barrier
	ds_write_b64 v29, v[4:5]
	s_waitcnt lgkmcnt(0)
	s_barrier
	s_and_saveexec_b64 s[16:17], s[6:7]
	s_cbranch_execz .LBB44_60
; %bb.59:
	v_lshlrev_b32_e32 v18, 3, v28
	ds_read2_b64 v[4:7], v18 offset1:7
	ds_read2_b64 v[30:33], v18 offset0:1 offset1:2
	ds_read2_b64 v[34:37], v18 offset0:3 offset1:4
	s_waitcnt lgkmcnt(1)
	v_add_f32_e32 v4, v30, v4
	v_add_f32_e32 v5, v31, v5
	;; [unrolled: 1-line block ×4, first 2 shown]
	ds_read2_b64 v[30:33], v18 offset0:5 offset1:6
	s_waitcnt lgkmcnt(1)
	v_add_f32_e32 v4, v4, v34
	v_add_f32_e32 v5, v5, v35
	;; [unrolled: 1-line block ×4, first 2 shown]
	s_waitcnt lgkmcnt(0)
	v_add_f32_e32 v4, v4, v30
	v_add_f32_e32 v5, v5, v31
	;; [unrolled: 1-line block ×4, first 2 shown]
	v_pk_add_f32 v[18:19], v[4:5], v[6:7]
.LBB44_60:
	s_or_b64 exec, exec, s[16:17]
	s_lshl_b64 s[26:27], s[24:25], 8
	v_lshl_add_u64 v[4:5], v[2:3], 0, s[26:27]
	s_mov_b64 s[40:41], 0x100
	v_cndmask_b32_e64 v2, 0, 1, s[20:21]
	v_cmp_ne_u32_e64 s[16:17], 1, v2
	s_andn2_b64 vcc, exec, s[20:21]
	v_lshl_add_u64 v[2:3], v[4:5], 0, s[40:41]
	s_barrier
	s_cbranch_vccnz .LBB44_62
; %bb.61:
	flat_load_dwordx2 v[6:7], v[4:5] offset:256
	v_mul_u32_u24_e32 v24, 33, v10
	s_lshl_b64 s[20:21], s[24:25], 6
	v_add_lshl_u32 v30, v24, v0, 3
	v_lshl_add_u64 v[24:25], v[4:5], 0, s[20:21]
	s_mul_i32 s31, s25, 0xc0
	s_waitcnt vmcnt(0) lgkmcnt(0)
	ds_write_b64 v30, v[6:7]
	flat_load_dwordx2 v[6:7], v[24:25] offset:256
	v_lshl_add_u64 v[24:25], v[24:25], 0, s[20:21]
	s_waitcnt vmcnt(0) lgkmcnt(0)
	ds_write_b64 v30, v[6:7] offset:2112
	flat_load_dwordx2 v[6:7], v[24:25] offset:256
	v_mov_b32_e32 v24, 0xc0
	v_mad_u64_u32 v[4:5], s[20:21], s24, v24, v[4:5]
	v_add_u32_e32 v5, s31, v5
	s_waitcnt vmcnt(0) lgkmcnt(0)
	ds_write_b64 v30, v[6:7] offset:4224
	flat_load_dwordx2 v[4:5], v[4:5] offset:256
	s_waitcnt vmcnt(0) lgkmcnt(0)
	ds_write_b64 v30, v[4:5] offset:6336
	s_cbranch_execz .LBB44_63
	s_branch .LBB44_78
.LBB44_62:
.LBB44_63:
	v_or_b32_e32 v6, 32, v0
	v_lshlrev_b32_e32 v4, 3, v6
	v_sub_co_u32_e32 v4, vcc, v2, v4
	s_ashr_i32 s31, s30, 31
	s_nop 0
	v_subbrev_co_u32_e32 v5, vcc, 0, v3, vcc
	v_lshl_add_u64 v[4:5], s[30:31], 3, v[4:5]
	v_lshl_add_u64 v[4:5], v[4:5], 0, -8
	v_cmp_gt_i32_e32 vcc, s30, v6
	s_sub_i32 s42, s30, 32
	v_mov_b32_e32 v6, 0
	v_cndmask_b32_e32 v5, v5, v3, vcc
	v_cndmask_b32_e32 v4, v4, v2, vcc
	v_cmp_gt_i32_e64 s[20:21], s42, v10
	v_mov_b32_e32 v7, v6
	s_and_saveexec_b64 s[40:41], s[20:21]
	s_cbranch_execz .LBB44_65
; %bb.64:
	flat_load_dwordx2 v[6:7], v[4:5]
.LBB44_65:
	s_or_b64 exec, exec, s[40:41]
	v_mul_u32_u24_e32 v24, 33, v10
	v_add_lshl_u32 v24, v24, v0, 3
	s_waitcnt vmcnt(0) lgkmcnt(0)
	ds_write_b64 v24, v[6:7]
	v_add_u32_e32 v6, 8, v10
	v_cmp_le_i32_e64 s[20:21], s42, v6
	s_and_saveexec_b64 s[40:41], s[20:21]
	s_xor_b64 s[20:21], exec, s[40:41]
	s_cbranch_execz .LBB44_67
; %bb.66:
	v_mul_u32_u24_e32 v6, 33, v6
	v_add_lshl_u32 v25, v6, v0, 3
	v_mov_b32_e32 v6, 0
	v_mov_b32_e32 v7, v6
	ds_write_b64 v25, v[6:7]
.LBB44_67:
	s_andn2_saveexec_b64 s[20:21], s[20:21]
	s_cbranch_execz .LBB44_69
; %bb.68:
	s_lshl_b64 s[40:41], s[24:25], 6
	v_lshl_add_u64 v[6:7], v[4:5], 0, s[40:41]
	flat_load_dwordx2 v[6:7], v[6:7]
	s_waitcnt vmcnt(0) lgkmcnt(0)
	ds_write_b64 v24, v[6:7] offset:2112
.LBB44_69:
	s_or_b64 exec, exec, s[20:21]
	v_add_u32_e32 v6, 16, v10
	v_cmp_le_i32_e64 s[20:21], s42, v6
	s_and_saveexec_b64 s[40:41], s[20:21]
	s_xor_b64 s[20:21], exec, s[40:41]
	s_cbranch_execz .LBB44_71
; %bb.70:
	v_mov_b32_e32 v6, 0
	v_mov_b32_e32 v7, v6
	ds_write_b64 v24, v[6:7] offset:4224
.LBB44_71:
	s_andn2_saveexec_b64 s[20:21], s[20:21]
	s_cbranch_execz .LBB44_73
; %bb.72:
	s_lshl_b64 s[40:41], s[24:25], 7
	v_lshl_add_u64 v[6:7], v[4:5], 0, s[40:41]
	flat_load_dwordx2 v[6:7], v[6:7]
	s_waitcnt vmcnt(0) lgkmcnt(0)
	ds_write_b64 v24, v[6:7] offset:4224
.LBB44_73:
	s_or_b64 exec, exec, s[20:21]
	v_add_u32_e32 v6, 24, v10
	v_cmp_le_i32_e64 s[20:21], s42, v6
	s_and_saveexec_b64 s[40:41], s[20:21]
	s_xor_b64 s[20:21], exec, s[40:41]
	s_cbranch_execz .LBB44_75
; %bb.74:
	v_mov_b32_e32 v6, 0
	v_mov_b32_e32 v7, v6
	ds_write_b64 v24, v[6:7] offset:6336
                                        ; implicit-def: $vgpr24
.LBB44_75:
	s_andn2_saveexec_b64 s[20:21], s[20:21]
	s_cbranch_execz .LBB44_77
; %bb.76:
	v_mov_b32_e32 v6, 0xc0
	v_mad_u64_u32 v[6:7], s[40:41], s24, v6, v[4:5]
	s_mul_i32 s40, s25, 0xc0
	s_nop 0
	v_add_u32_e32 v7, s40, v7
	flat_load_dwordx2 v[6:7], v[6:7]
	s_waitcnt vmcnt(0) lgkmcnt(0)
	ds_write_b64 v24, v[6:7] offset:6336
.LBB44_77:
	s_or_b64 exec, exec, s[20:21]
	v_lshlrev_b32_e32 v6, 3, v0
	v_mov_b32_e32 v7, 0
	v_lshl_add_u64 v[4:5], v[4:5], 0, v[6:7]
	s_lshl_b64 s[20:21], s[30:31], 3
	v_mov_b32_e32 v6, s21
	v_subrev_co_u32_e64 v4, s[20:21], s20, v4
	s_nop 1
	v_subb_co_u32_e64 v5, s[20:21], v5, v6, s[20:21]
	s_mov_b64 s[20:21], 0x108
	s_nop 0
	v_lshl_add_u64 v[4:5], v[4:5], 0, s[20:21]
	v_cndmask_b32_e32 v3, v5, v3, vcc
	v_cndmask_b32_e32 v2, v4, v2, vcc
.LBB44_78:
	v_add_u32_e32 v6, 0x2380, v15
	s_lshl_b64 s[20:21], s[24:25], 5
	s_waitcnt lgkmcnt(0)
	s_barrier
	s_and_saveexec_b64 s[40:41], s[8:9]
	s_xor_b64 s[8:9], exec, s[40:41]
	s_cbranch_execnz .LBB44_91
; %bb.79:
	s_andn2_saveexec_b64 s[8:9], s[8:9]
	s_cbranch_execnz .LBB44_94
.LBB44_80:
	s_or_b64 exec, exec, s[8:9]
	s_and_saveexec_b64 s[8:9], s[10:11]
	s_xor_b64 s[8:9], exec, s[8:9]
	s_cbranch_execnz .LBB44_95
.LBB44_81:
	s_andn2_saveexec_b64 s[8:9], s[8:9]
	s_cbranch_execnz .LBB44_98
.LBB44_82:
	s_or_b64 exec, exec, s[8:9]
	s_and_saveexec_b64 s[8:9], s[12:13]
	s_xor_b64 s[8:9], exec, s[8:9]
	s_cbranch_execnz .LBB44_99
.LBB44_83:
	s_andn2_saveexec_b64 s[8:9], s[8:9]
	s_cbranch_execnz .LBB44_102
.LBB44_84:
	s_or_b64 exec, exec, s[8:9]
	s_and_saveexec_b64 s[8:9], s[14:15]
	s_xor_b64 s[8:9], exec, s[8:9]
	s_cbranch_execnz .LBB44_103
.LBB44_85:
	s_andn2_saveexec_b64 s[8:9], s[8:9]
	s_cbranch_execz .LBB44_87
.LBB44_86:
	ds_read_b64 v[4:5], v13 offset:528
	s_waitcnt lgkmcnt(0)
	v_xor_b32_e32 v5, 0x80000000, v5
	ds_write_b64 v1, v[4:5] offset:24
.LBB44_87:
	s_or_b64 exec, exec, s[8:9]
	s_waitcnt lgkmcnt(0)
	s_barrier
	ds_read_b64 v[4:5], v14
	ds_read_b128 v[30:33], v6 offset:256
	ds_read2_b64 v[34:37], v13 offset1:33
	ds_read_b64 v[8:9], v13 offset:528
	ds_read_b128 v[12:15], v6 offset:272
	v_cmp_eq_u32_e64 s[8:9], 1, v10
	s_waitcnt lgkmcnt(3)
	v_pk_mul_f32 v[24:25], v[30:31], v[4:5] op_sel:[0,1]
	s_waitcnt lgkmcnt(0)
	v_pk_fma_f32 v[38:39], v[30:31], v[4:5], v[24:25] op_sel:[0,0,1] op_sel_hi:[1,1,0] neg_lo:[0,0,1] neg_hi:[0,0,1]
	v_pk_fma_f32 v[4:5], v[30:31], v[4:5], v[24:25] op_sel:[0,0,1] op_sel_hi:[1,0,0]
	v_pk_mul_f32 v[24:25], v[32:33], v[34:35] op_sel:[0,1]
	v_mov_b32_e32 v39, v5
	v_pk_fma_f32 v[30:31], v[32:33], v[34:35], v[24:25] op_sel:[0,0,1] op_sel_hi:[1,1,0] neg_lo:[0,0,1] neg_hi:[0,0,1]
	v_pk_fma_f32 v[24:25], v[32:33], v[34:35], v[24:25] op_sel:[0,0,1] op_sel_hi:[1,0,0]
	v_pk_add_f32 v[4:5], v[38:39], 0 op_sel_hi:[1,0]
	v_mov_b32_e32 v31, v25
	v_pk_mul_f32 v[24:25], v[12:13], v[36:37] op_sel:[0,1]
	v_pk_add_f32 v[4:5], v[4:5], v[30:31]
	v_pk_fma_f32 v[30:31], v[12:13], v[36:37], v[24:25] op_sel:[0,0,1] op_sel_hi:[1,1,0] neg_lo:[0,0,1] neg_hi:[0,0,1]
	v_pk_fma_f32 v[12:13], v[12:13], v[36:37], v[24:25] op_sel:[0,0,1] op_sel_hi:[1,0,0]
	s_barrier
	v_mov_b32_e32 v31, v13
	v_pk_mul_f32 v[12:13], v[14:15], v[8:9] op_sel:[0,1]
	v_pk_add_f32 v[4:5], v[4:5], v[30:31]
	v_pk_fma_f32 v[24:25], v[14:15], v[8:9], v[12:13] op_sel:[0,0,1] op_sel_hi:[1,1,0] neg_lo:[0,0,1] neg_hi:[0,0,1]
	v_pk_fma_f32 v[8:9], v[14:15], v[8:9], v[12:13] op_sel:[0,0,1] op_sel_hi:[1,0,0]
	s_nop 0
	v_mov_b32_e32 v25, v9
	v_pk_add_f32 v[4:5], v[4:5], v[24:25]
	ds_write_b64 v29, v[4:5]
	s_waitcnt lgkmcnt(0)
	s_barrier
	s_and_saveexec_b64 s[10:11], s[8:9]
	s_cbranch_execz .LBB44_89
; %bb.88:
	v_lshlrev_b32_e32 v4, 3, v28
	ds_read2_b64 v[12:15], v4 offset1:7
	ds_read2_b64 v[30:33], v4 offset0:1 offset1:2
	ds_read2_b64 v[34:37], v4 offset0:3 offset1:4
	s_waitcnt lgkmcnt(1)
	v_add_f32_e32 v5, v30, v12
	v_add_f32_e32 v7, v31, v13
	v_add_f32_e32 v5, v5, v32
	v_add_f32_e32 v7, v7, v33
	ds_read2_b64 v[30:33], v4 offset0:5 offset1:6
	s_waitcnt lgkmcnt(1)
	v_add_f32_e32 v4, v5, v34
	v_add_f32_e32 v5, v7, v35
	;; [unrolled: 1-line block ×4, first 2 shown]
	s_waitcnt lgkmcnt(0)
	v_add_f32_e32 v4, v4, v30
	v_add_f32_e32 v5, v5, v31
	v_pk_add_f32 v[4:5], v[4:5], v[32:33]
	s_nop 0
	v_pk_add_f32 v[18:19], v[4:5], v[14:15]
.LBB44_89:
	s_or_b64 exec, exec, s[10:11]
	s_lshl_b64 s[10:11], s[20:21], 3
	v_mov_b32_e32 v4, s11
	v_subrev_co_u32_e64 v24, s[10:11], s10, v2
	s_and_b64 vcc, exec, s[16:17]
	s_nop 0
	v_subb_co_u32_e64 v25, s[10:11], v3, v4, s[10:11]
	s_barrier
	s_cbranch_vccnz .LBB44_106
; %bb.90:
	flat_load_dwordx2 v[2:3], v[24:25]
	v_mad_u32_u24 v7, v10, 33, v0
	s_lshl_b64 s[10:11], s[24:25], 6
	v_lshlrev_b32_e32 v11, 3, v7
	v_lshl_add_u64 v[4:5], v[24:25], 0, s[10:11]
	s_mul_i32 s12, s25, 0xc0
	v_add_u32_e32 v8, 24, v10
	v_add_u32_e32 v9, 0x318, v7
	s_waitcnt vmcnt(0) lgkmcnt(0)
	ds_write_b64 v11, v[2:3]
	flat_load_dwordx2 v[2:3], v[4:5]
	v_lshl_add_u64 v[4:5], v[4:5], 0, s[10:11]
	s_waitcnt vmcnt(0) lgkmcnt(0)
	ds_write_b64 v11, v[2:3] offset:2112
	flat_load_dwordx2 v[2:3], v[4:5]
	v_mov_b32_e32 v4, 0xc0
	v_mad_u64_u32 v[4:5], s[10:11], s24, v4, v[24:25]
	v_add_u32_e32 v5, s12, v5
	s_waitcnt vmcnt(0) lgkmcnt(0)
	ds_write_b64 v11, v[2:3] offset:4224
	flat_load_dwordx2 v[12:13], v[4:5]
	v_add_u32_e32 v4, 8, v10
	v_add_u32_e32 v5, 16, v10
	;; [unrolled: 1-line block ×4, first 2 shown]
	s_waitcnt vmcnt(0) lgkmcnt(0)
	ds_write_b64 v11, v[12:13] offset:6336
	s_cbranch_execz .LBB44_107
	s_branch .LBB44_122
.LBB44_91:
	v_cmp_eq_u32_e32 vcc, v8, v0
	s_and_saveexec_b64 s[40:41], vcc
	s_cbranch_execz .LBB44_93
; %bb.92:
	v_mul_u32_u24_e32 v4, 34, v0
	v_lshlrev_b32_e32 v4, 3, v4
	v_mov_b32_e32 v5, 0
	ds_write_b32 v4, v5 offset:4
.LBB44_93:
	s_or_b64 exec, exec, s[40:41]
	s_andn2_saveexec_b64 s[8:9], s[8:9]
	s_cbranch_execz .LBB44_80
.LBB44_94:
	ds_read_b64 v[4:5], v14
	s_waitcnt lgkmcnt(0)
	v_xor_b32_e32 v5, 0x80000000, v5
	ds_write_b64 v1, v[4:5]
	s_or_b64 exec, exec, s[8:9]
	s_and_saveexec_b64 s[8:9], s[10:11]
	s_xor_b64 s[8:9], exec, s[8:9]
	s_cbranch_execz .LBB44_81
.LBB44_95:
	v_cmp_eq_u32_e32 vcc, v9, v0
	s_and_saveexec_b64 s[10:11], vcc
	s_cbranch_execz .LBB44_97
; %bb.96:
	v_mul_u32_u24_e32 v4, 34, v0
	v_lshlrev_b32_e32 v4, 3, v4
	v_mov_b32_e32 v5, 0
	ds_write_b32 v4, v5 offset:4
.LBB44_97:
	s_or_b64 exec, exec, s[10:11]
	s_andn2_saveexec_b64 s[8:9], s[8:9]
	s_cbranch_execz .LBB44_82
.LBB44_98:
	ds_read_b64 v[4:5], v13
	s_waitcnt lgkmcnt(0)
	v_xor_b32_e32 v5, 0x80000000, v5
	ds_write_b64 v1, v[4:5] offset:8
	s_or_b64 exec, exec, s[8:9]
	s_and_saveexec_b64 s[8:9], s[12:13]
	s_xor_b64 s[8:9], exec, s[8:9]
	s_cbranch_execz .LBB44_83
.LBB44_99:
	v_cmp_eq_u32_e32 vcc, v11, v0
	s_and_saveexec_b64 s[10:11], vcc
	s_cbranch_execz .LBB44_101
; %bb.100:
	v_mul_u32_u24_e32 v4, 34, v0
	v_lshlrev_b32_e32 v4, 3, v4
	v_mov_b32_e32 v5, 0
	ds_write_b32 v4, v5 offset:4
.LBB44_101:
	s_or_b64 exec, exec, s[10:11]
	s_andn2_saveexec_b64 s[8:9], s[8:9]
	s_cbranch_execz .LBB44_84
.LBB44_102:
	ds_read_b64 v[4:5], v13 offset:264
	s_waitcnt lgkmcnt(0)
	v_xor_b32_e32 v5, 0x80000000, v5
	ds_write_b64 v1, v[4:5] offset:16
	s_or_b64 exec, exec, s[8:9]
	s_and_saveexec_b64 s[8:9], s[14:15]
	s_xor_b64 s[8:9], exec, s[8:9]
	s_cbranch_execz .LBB44_85
.LBB44_103:
	v_cmp_eq_u32_e32 vcc, v12, v0
	s_and_saveexec_b64 s[10:11], vcc
	s_cbranch_execz .LBB44_105
; %bb.104:
	v_mul_u32_u24_e32 v4, 34, v0
	v_lshlrev_b32_e32 v4, 3, v4
	v_mov_b32_e32 v5, 0
	ds_write_b32 v4, v5 offset:4
.LBB44_105:
	s_or_b64 exec, exec, s[10:11]
	s_andn2_saveexec_b64 s[8:9], s[8:9]
	s_cbranch_execnz .LBB44_86
	s_branch .LBB44_87
.LBB44_106:
                                        ; implicit-def: $vgpr7
                                        ; implicit-def: $vgpr4
                                        ; implicit-def: $vgpr2
                                        ; implicit-def: $vgpr5
                                        ; implicit-def: $vgpr3
                                        ; implicit-def: $vgpr8
                                        ; implicit-def: $vgpr9
.LBB44_107:
	v_or_b32_e32 v4, 32, v0
	v_lshlrev_b32_e32 v2, 3, v4
	v_sub_co_u32_e32 v2, vcc, v24, v2
	s_ashr_i32 s31, s30, 31
	s_nop 0
	v_subbrev_co_u32_e32 v3, vcc, 0, v25, vcc
	v_lshl_add_u64 v[2:3], s[30:31], 3, v[2:3]
	v_lshl_add_u64 v[2:3], v[2:3], 0, -8
	v_cmp_gt_i32_e32 vcc, s30, v4
	v_mov_b32_e32 v4, 0
	v_cmp_gt_i32_e64 s[10:11], s30, v10
	v_cndmask_b32_e32 v3, v3, v25, vcc
	v_cndmask_b32_e32 v2, v2, v24, vcc
	v_mov_b32_e32 v5, v4
	s_and_saveexec_b64 s[12:13], s[10:11]
	s_cbranch_execz .LBB44_109
; %bb.108:
	flat_load_dwordx2 v[4:5], v[2:3]
.LBB44_109:
	s_or_b64 exec, exec, s[12:13]
	v_mad_u32_u24 v7, v10, 33, v0
	v_lshlrev_b32_e32 v11, 3, v7
	s_waitcnt vmcnt(0) lgkmcnt(0)
	ds_write_b64 v11, v[4:5]
	v_add_u32_e32 v4, 8, v10
	v_cmp_le_i32_e64 s[10:11], s30, v4
	s_and_saveexec_b64 s[12:13], s[10:11]
	s_xor_b64 s[10:11], exec, s[12:13]
	s_cbranch_execz .LBB44_111
; %bb.110:
	v_mul_u32_u24_e32 v5, 33, v4
	v_mov_b32_e32 v8, 0
	v_add_lshl_u32 v5, v5, v0, 3
	v_mov_b32_e32 v9, v8
	ds_write_b64 v5, v[8:9]
.LBB44_111:
	s_andn2_saveexec_b64 s[10:11], s[10:11]
	s_cbranch_execz .LBB44_113
; %bb.112:
	s_lshl_b64 s[12:13], s[24:25], 6
	v_lshl_add_u64 v[8:9], v[2:3], 0, s[12:13]
	flat_load_dwordx2 v[8:9], v[8:9]
	s_waitcnt vmcnt(0) lgkmcnt(0)
	ds_write_b64 v11, v[8:9] offset:2112
.LBB44_113:
	s_or_b64 exec, exec, s[10:11]
	v_add_u32_e32 v5, 16, v10
	v_cmp_le_i32_e64 s[10:11], s30, v5
	s_and_saveexec_b64 s[12:13], s[10:11]
	s_xor_b64 s[10:11], exec, s[12:13]
	s_cbranch_execz .LBB44_115
; %bb.114:
	v_mul_u32_u24_e32 v8, 33, v5
	v_add_lshl_u32 v12, v8, v0, 3
	v_mov_b32_e32 v8, 0
	v_mov_b32_e32 v9, v8
	ds_write_b64 v12, v[8:9]
.LBB44_115:
	s_andn2_saveexec_b64 s[10:11], s[10:11]
	s_cbranch_execz .LBB44_117
; %bb.116:
	s_lshl_b64 s[12:13], s[24:25], 7
	v_lshl_add_u64 v[8:9], v[2:3], 0, s[12:13]
	flat_load_dwordx2 v[8:9], v[8:9]
	s_waitcnt vmcnt(0) lgkmcnt(0)
	ds_write_b64 v11, v[8:9] offset:4224
.LBB44_117:
	s_or_b64 exec, exec, s[10:11]
	v_add_u32_e32 v8, 24, v10
	v_cmp_le_i32_e64 s[10:11], s30, v8
                                        ; implicit-def: $vgpr9
	s_and_saveexec_b64 s[12:13], s[10:11]
	s_xor_b64 s[10:11], exec, s[12:13]
	s_cbranch_execz .LBB44_119
; %bb.118:
	v_mov_b32_e32 v12, 0
	v_add_u32_e32 v9, 0x318, v7
	v_mov_b32_e32 v13, v12
	ds_write_b64 v11, v[12:13] offset:6336
                                        ; implicit-def: $vgpr11
.LBB44_119:
	s_andn2_saveexec_b64 s[10:11], s[10:11]
	s_cbranch_execz .LBB44_121
; %bb.120:
	v_mov_b32_e32 v9, 0xc0
	v_mad_u64_u32 v[12:13], s[12:13], s24, v9, v[2:3]
	s_mul_i32 s12, s25, 0xc0
	s_nop 0
	v_add_u32_e32 v13, s12, v13
	flat_load_dwordx2 v[12:13], v[12:13]
	v_add_u32_e32 v9, 0x318, v7
	s_waitcnt vmcnt(0) lgkmcnt(0)
	ds_write_b64 v11, v[12:13] offset:6336
.LBB44_121:
	s_or_b64 exec, exec, s[10:11]
	v_lshlrev_b32_e32 v12, 3, v0
	v_mov_b32_e32 v13, 0
	v_lshl_add_u64 v[2:3], v[2:3], 0, v[12:13]
	s_lshl_b64 s[10:11], s[30:31], 3
	v_mov_b32_e32 v0, s11
	v_subrev_co_u32_e64 v2, s[10:11], s10, v2
	s_nop 1
	v_subb_co_u32_e64 v3, s[10:11], v3, v0, s[10:11]
	s_mov_b64 s[10:11], 0x108
	s_nop 0
	v_lshl_add_u64 v[2:3], v[2:3], 0, s[10:11]
	v_cndmask_b32_e32 v25, v3, v25, vcc
	v_cndmask_b32_e32 v24, v2, v24, vcc
	v_add_u32_e32 v2, 0x108, v7
	v_add_u32_e32 v3, 0x210, v7
.LBB44_122:
	v_lshlrev_b32_e32 v0, 3, v7
	s_waitcnt lgkmcnt(0)
	s_barrier
	ds_read_b64 v[30:31], v0
	v_lshlrev_b32_e32 v7, 3, v10
	v_lshlrev_b32_e32 v12, 3, v2
	;; [unrolled: 1-line block ×7, first 2 shown]
	ds_read_b64 v[32:33], v0
	ds_read2_b64 v[8:11], v1 offset1:1
	ds_read2_b64 v[0:3], v1 offset0:2 offset1:3
	ds_read_b64 v[34:35], v4 offset:9088
	ds_read_b64 v[36:37], v12
	ds_read_b64 v[38:39], v7 offset:9088
	ds_read_b128 v[12:15], v6 offset:256
	ds_read_b128 v[4:7], v6 offset:272
	ds_read_b64 v[40:41], v40 offset:9088
	ds_read_b64 v[42:43], v42
	ds_read_b64 v[44:45], v44 offset:9088
	s_waitcnt lgkmcnt(5)
	v_pk_mul_f32 v[46:47], v[38:39], v[30:31] op_sel:[0,1]
	s_waitcnt lgkmcnt(0)
	v_pk_fma_f32 v[48:49], v[38:39], v[30:31], v[46:47] op_sel:[0,0,1] op_sel_hi:[1,1,0] neg_lo:[0,0,1] neg_hi:[0,0,1]
	v_pk_fma_f32 v[30:31], v[38:39], v[30:31], v[46:47] op_sel:[0,0,1] op_sel_hi:[1,0,0]
	v_pk_mul_f32 v[38:39], v[34:35], v[36:37] op_sel:[0,1]
	v_mov_b32_e32 v49, v31
	v_pk_fma_f32 v[46:47], v[34:35], v[36:37], v[38:39] op_sel:[0,0,1] op_sel_hi:[1,1,0] neg_lo:[0,0,1] neg_hi:[0,0,1]
	v_pk_fma_f32 v[34:35], v[34:35], v[36:37], v[38:39] op_sel:[0,0,1] op_sel_hi:[1,0,0]
	v_pk_add_f32 v[30:31], v[48:49], 0 op_sel_hi:[1,0]
	v_mov_b32_e32 v47, v35
	v_pk_mul_f32 v[34:35], v[44:45], v[32:33] op_sel:[0,1]
	v_pk_add_f32 v[30:31], v[30:31], v[46:47]
	v_pk_fma_f32 v[36:37], v[44:45], v[32:33], v[34:35] op_sel:[0,0,1] op_sel_hi:[1,1,0] neg_lo:[0,0,1] neg_hi:[0,0,1]
	v_pk_fma_f32 v[32:33], v[44:45], v[32:33], v[34:35] op_sel:[0,0,1] op_sel_hi:[1,0,0]
	s_barrier
	v_mov_b32_e32 v37, v33
	v_pk_mul_f32 v[32:33], v[40:41], v[42:43] op_sel:[0,1]
	v_pk_add_f32 v[30:31], v[30:31], v[36:37]
	v_pk_fma_f32 v[34:35], v[40:41], v[42:43], v[32:33] op_sel:[0,0,1] op_sel_hi:[1,1,0] neg_lo:[0,0,1] neg_hi:[0,0,1]
	v_pk_fma_f32 v[32:33], v[40:41], v[42:43], v[32:33] op_sel:[0,0,1] op_sel_hi:[1,0,0]
	s_nop 0
	v_mov_b32_e32 v35, v33
	v_pk_add_f32 v[30:31], v[30:31], v[34:35]
	ds_write_b64 v29, v[30:31]
	s_waitcnt lgkmcnt(0)
	s_barrier
	s_and_saveexec_b64 s[10:11], s[8:9]
	s_cbranch_execz .LBB44_124
; %bb.123:
	v_lshlrev_b32_e32 v42, 3, v28
	ds_read2_b64 v[30:33], v42 offset1:1
	ds_read2_b64 v[34:37], v42 offset0:2 offset1:3
	ds_read2_b64 v[38:41], v42 offset0:4 offset1:5
	s_waitcnt lgkmcnt(2)
	v_pk_add_f32 v[18:19], v[18:19], v[30:31]
	s_nop 0
	v_pk_add_f32 v[18:19], v[18:19], v[32:33]
	ds_read2_b64 v[30:33], v42 offset0:6 offset1:7
	s_waitcnt lgkmcnt(2)
	v_pk_add_f32 v[18:19], v[18:19], v[34:35]
	s_nop 0
	v_pk_add_f32 v[18:19], v[18:19], v[36:37]
	s_waitcnt lgkmcnt(1)
	v_pk_add_f32 v[18:19], v[18:19], v[38:39]
	s_nop 0
	v_pk_add_f32 v[18:19], v[18:19], v[40:41]
	s_waitcnt lgkmcnt(0)
	v_pk_add_f32 v[18:19], v[18:19], v[30:31]
	s_nop 0
	v_pk_add_f32 v[18:19], v[18:19], v[32:33]
.LBB44_124:
	s_or_b64 exec, exec, s[10:11]
	v_pk_mul_f32 v[30:31], v[8:9], v[12:13] op_sel:[1,0]
	s_nop 0
	v_pk_fma_f32 v[32:33], v[8:9], v[12:13], v[30:31] op_sel:[0,0,1] op_sel_hi:[1,1,0]
	v_pk_fma_f32 v[8:9], v[8:9], v[12:13], v[30:31] op_sel:[0,0,1] op_sel_hi:[0,1,0] neg_lo:[0,0,1] neg_hi:[0,0,1]
	v_mov_b32_e32 v12, v11
	v_pk_mul_f32 v[12:13], v[12:13], v[14:15] op_sel_hi:[0,1]
	v_pk_fma_f32 v[30:31], v[10:11], v[14:15], v[12:13] op_sel:[0,0,1] op_sel_hi:[1,1,0]
	v_pk_fma_f32 v[10:11], v[10:11], v[14:15], v[12:13] op_sel:[0,0,1] op_sel_hi:[0,1,0] neg_lo:[0,0,1] neg_hi:[0,0,1]
	v_mov_b32_e32 v33, v9
	v_mov_b32_e32 v31, v11
	v_pk_mul_f32 v[10:11], v[0:1], v[4:5] op_sel:[1,0]
	v_pk_add_f32 v[8:9], v[32:33], 0 op_sel_hi:[1,0]
	v_pk_fma_f32 v[12:13], v[0:1], v[4:5], v[10:11] op_sel:[0,0,1] op_sel_hi:[1,1,0]
	v_pk_fma_f32 v[0:1], v[0:1], v[4:5], v[10:11] op_sel:[0,0,1] op_sel_hi:[0,1,0] neg_lo:[0,0,1] neg_hi:[0,0,1]
	v_mov_b32_e32 v4, v3
	v_pk_add_f32 v[8:9], v[8:9], v[30:31]
	v_mov_b32_e32 v13, v1
	v_pk_mul_f32 v[4:5], v[4:5], v[6:7] op_sel_hi:[0,1]
	v_pk_add_f32 v[0:1], v[8:9], v[12:13]
	v_pk_fma_f32 v[8:9], v[2:3], v[6:7], v[4:5] op_sel:[0,0,1] op_sel_hi:[1,1,0]
	v_pk_fma_f32 v[2:3], v[2:3], v[6:7], v[4:5] op_sel:[0,0,1] op_sel_hi:[0,1,0] neg_lo:[0,0,1] neg_hi:[0,0,1]
	v_mov_b32_e32 v9, v3
	v_pk_add_f32 v[0:1], v[0:1], v[8:9]
	s_barrier
	ds_write_b64 v29, v[0:1]
	s_waitcnt lgkmcnt(0)
	s_barrier
	s_and_saveexec_b64 s[8:9], s[6:7]
	s_cbranch_execz .LBB44_126
; %bb.125:
	v_lshlrev_b32_e32 v14, 3, v28
	ds_read2_b64 v[0:3], v14 offset1:1
	ds_read2_b64 v[4:7], v14 offset0:2 offset1:3
	ds_read2_b64 v[8:11], v14 offset0:4 offset1:5
	s_waitcnt lgkmcnt(2)
	v_pk_add_f32 v[0:1], v[18:19], v[0:1]
	s_nop 0
	v_pk_add_f32 v[12:13], v[0:1], v[2:3]
	ds_read2_b64 v[0:3], v14 offset0:6 offset1:7
	s_waitcnt lgkmcnt(2)
	v_pk_add_f32 v[4:5], v[12:13], v[4:5]
	s_nop 0
	v_pk_add_f32 v[4:5], v[4:5], v[6:7]
	s_waitcnt lgkmcnt(1)
	v_pk_add_f32 v[4:5], v[4:5], v[8:9]
	s_nop 0
	v_pk_add_f32 v[4:5], v[4:5], v[10:11]
	;; [unrolled: 4-line block ×3, first 2 shown]
.LBB44_126:
	s_or_b64 exec, exec, s[8:9]
	s_load_dwordx2 s[0:1], s[0:1], 0x68
	s_mul_hi_u32 s6, s3, s28
	s_mul_i32 s33, s33, s28
	s_add_i32 s6, s6, s33
	s_mul_i32 s8, s3, s28
	s_mul_i32 s6, s6, s29
	s_mul_hi_u32 s7, s8, s29
	s_add_i32 s7, s7, s6
	s_mul_i32 s6, s8, s29
	s_lshl_b64 s[6:7], s[6:7], 3
	s_waitcnt lgkmcnt(0)
	s_add_u32 s6, s0, s6
	s_mul_i32 s0, s2, s3
	s_addc_u32 s7, s1, s7
	s_ashr_i32 s1, s0, 31
	s_lshl_b64 s[0:1], s[0:1], 3
	s_add_u32 s6, s6, s0
	v_cmp_le_i32_e32 vcc, s30, v26
	s_addc_u32 s7, s7, s1
	s_and_b64 vcc, s[38:39], vcc
	s_cmp_lt_i32 s2, 1
	v_lshlrev_b32_e32 v4, 3, v26
	s_barrier
	s_cbranch_scc1 .LBB44_133
; %bb.127:
	s_mul_i32 s0, s34, s23
	s_mul_hi_u32 s1, s34, s22
	s_add_i32 s0, s1, s0
	s_mul_i32 s1, s35, s22
	s_add_i32 s1, s0, s1
	s_mul_i32 s0, s34, s22
	s_lshl_b64 s[0:1], s[0:1], 3
	v_mov_b32_e32 v0, s1
	v_subrev_co_u32_e64 v6, s[0:1], s0, v20
	v_lshlrev_b32_e32 v5, 2, v76
	s_nop 0
	v_subb_co_u32_e64 v7, s[0:1], v21, v0, s[0:1]
	v_mov_b32_e32 v0, s37
	v_subrev_co_u32_e64 v2, s[0:1], s36, v24
	s_ashr_i32 s31, s30, 31
	s_nop 0
	v_subb_co_u32_e64 v3, s[0:1], v25, v0, s[0:1]
	v_lshlrev_b64 v[0:1], 3, v[22:23]
	v_sub_co_u32_e64 v0, s[0:1], v2, v0
	v_and_b32_e32 v12, 15, v26
	s_nop 0
	v_subb_co_u32_e64 v1, s[0:1], v3, v1, s[0:1]
	v_mad_u64_u32 v[2:3], s[0:1], v5, s24, 0
	v_mov_b32_e32 v8, v3
	v_mad_u64_u32 v[8:9], s[0:1], v5, s25, v[8:9]
	v_mov_b32_e32 v3, v8
	s_movk_i32 s0, 0xff00
	v_lshl_add_u64 v[0:1], v[2:3], 3, v[0:1]
	s_mov_b32 s1, -1
	v_lshl_add_u64 v[0:1], v[0:1], 0, s[0:1]
	v_mov_b32_e32 v9, 0
	v_lshl_add_u64 v[2:3], s[30:31], 3, v[0:1]
	v_mov_b32_e32 v5, v9
	v_lshl_add_u64 v[2:3], v[2:3], 0, -8
	v_lshl_add_u64 v[0:1], v[0:1], 0, v[4:5]
	v_cndmask_b32_e32 v10, v0, v2, vcc
	v_and_b32_e32 v0, 48, v26
	v_cndmask_b32_e32 v11, v1, v3, vcc
	v_lshlrev_b32_e32 v1, 3, v0
	s_movk_i32 s3, 0x218
	v_lshrrev_b32_e32 v13, 4, v27
	v_mad_u32_u24 v78, v12, s3, v1
	v_or_b32_e32 v1, 0x78, v4
	v_mad_u32_u24 v79, v12, s3, v1
	v_lshlrev_b32_e32 v1, 5, v13
	v_mad_u32_u24 v80, v12, s3, v1
	v_mov_b32_e32 v1, 0x2180
	v_lshl_add_u32 v81, v76, 5, v1
	v_lshlrev_b32_e32 v1, 3, v13
	v_mad_u32_u24 v83, v12, s3, v1
	s_mul_i32 s3, s25, 24
	s_mul_hi_u32 s14, s24, 24
	s_add_i32 s15, s14, s3
	s_mul_i32 s3, s25, 0x90
	s_mul_hi_u32 s16, s24, 0x90
	s_add_i32 s17, s16, s3
	s_mul_i32 s3, s25, 0x98
	s_mul_hi_u32 s20, s24, 0x98
	s_add_i32 s21, s20, s3
	s_mul_i32 s3, s25, 0x110
	s_mul_hi_u32 s28, s24, 0x110
	s_add_i32 s29, s28, s3
	s_mul_i32 s3, s25, 0x118
	s_mul_hi_u32 s30, s24, 0x118
	s_add_i32 s31, s30, s3
	s_mul_i32 s3, s25, 0x190
	s_mul_hi_u32 s33, s24, 0x190
	s_add_i32 s35, s33, s3
	s_mul_i32 s3, s25, 0x198
	s_mul_hi_u32 s33, s24, 0x198
	s_add_i32 s37, s33, s3
	s_mul_i32 s3, s25, 0x188
	s_mul_hi_u32 s33, s24, 0x188
	s_add_i32 s39, s33, s3
	s_mul_i32 s3, s25, 0x180
	s_mul_hi_u32 s33, s24, 0x180
	s_add_i32 s41, s33, s3
	s_mul_i32 s3, s25, 0x108
	s_mul_hi_u32 s33, s24, 0x108
	s_movk_i32 s8, 0x860
	s_add_i32 s43, s33, s3
	s_mul_i32 s3, s25, 0x88
	s_mul_hi_u32 s33, s24, 0x88
	v_add_u32_e32 v5, 0x2180, v4
	v_add_u32_e32 v77, 0x2380, v4
	v_cmp_gt_u32_e64 s[0:1], 64, v27
	v_mad_u32_u24 v82, v76, s8, v4
	s_lshl_b64 s[8:9], s[24:25], 3
	s_lshl_b64 s[10:11], s[24:25], 9
	s_lshl_b64 s[12:13], s[24:25], 4
	s_mul_i32 s14, s24, 24
	s_mul_i32 s16, s24, 0x90
	;; [unrolled: 1-line block ×10, first 2 shown]
	s_add_i32 s45, s33, s3
	s_mul_i32 s44, s24, 0x88
	s_lshl_b64 s[24:25], s[24:25], 7
	v_or_b32_e32 v84, v0, v12
	s_mov_b32 s3, 0
	s_branch .LBB44_129
.LBB44_128:                             ;   in Loop: Header=BB44_129 Depth=1
	s_or_b64 exec, exec, s[46:47]
	v_mul_f32_e32 v8, v12, v14
	v_fma_f32 v8, -v13, v15, v8
	v_pk_mul_f32 v[12:13], v[12:13], v[14:15] op_sel:[1,0] op_sel_hi:[0,1]
	v_add_f32_e32 v12, v12, v13
	v_add_f32_e32 v14, v19, v12
	v_mul_f32_e32 v12, v20, v22
	v_add_f32_e32 v8, v18, v8
	v_fma_f32 v12, -v21, v23, v12
	v_add_f32_e32 v8, v8, v12
	v_pk_mul_f32 v[12:13], v[20:21], v[22:23] op_sel:[1,0] op_sel_hi:[0,1]
	v_add_f32_e32 v12, v12, v13
	v_add_f32_e32 v14, v14, v12
	v_mul_f32_e32 v12, v24, v26
	v_fma_f32 v12, -v25, v27, v12
	v_add_f32_e32 v8, v8, v12
	v_pk_mul_f32 v[12:13], v[24:25], v[26:27] op_sel:[1,0] op_sel_hi:[0,1]
	v_add_f32_e32 v12, v12, v13
	v_add_f32_e32 v14, v14, v12
	v_mul_f32_e32 v12, v28, v30
	;; [unrolled: 6-line block ×4, first 2 shown]
	v_fma_f32 v12, -v37, v39, v12
	v_pk_mul_f32 v[14:15], v[36:37], v[38:39] op_sel:[1,0] op_sel_hi:[0,1]
	v_add_f32_e32 v12, v8, v12
	v_add_f32_e32 v8, v14, v15
	;; [unrolled: 1-line block ×3, first 2 shown]
	v_mov_b32_e32 v8, v43
	v_pk_mul_f32 v[14:15], v[40:41], v[8:9] op_sel:[1,0] op_sel_hi:[0,1]
	v_pk_fma_f32 v[14:15], v[40:41], v[42:43], v[14:15] neg_lo:[0,0,1] neg_hi:[0,0,1]
	v_pk_mul_f32 v[18:19], v[40:41], v[42:43] op_sel:[1,0] op_sel_hi:[0,1]
	v_mov_b32_e32 v15, v18
	v_pk_mul_f32 v[22:23], v[44:45], v[46:47] op_sel:[1,0] op_sel_hi:[0,1]
	v_pk_fma_f32 v[18:19], v[40:41], v[42:43], v[14:15] op_sel:[1,0,0] op_sel_hi:[0,1,1]
	v_mov_b32_e32 v8, v47
	v_mov_b32_e32 v15, v22
	v_pk_mul_f32 v[20:21], v[44:45], v[8:9] op_sel:[1,0] op_sel_hi:[0,1]
	v_pk_fma_f32 v[22:23], v[44:45], v[46:47], v[14:15] op_sel:[1,0,0] op_sel_hi:[0,1,1]
	v_mov_b32_e32 v15, v19
	v_pk_fma_f32 v[20:21], v[44:45], v[46:47], v[20:21] neg_lo:[0,0,1] neg_hi:[0,0,1]
	v_pk_add_f32 v[12:13], v[12:13], v[14:15]
	v_pk_mul_f32 v[14:15], v[48:49], v[52:53] op_sel:[1,1] op_sel_hi:[0,1]
	v_mov_b32_e32 v21, v23
	v_pk_mul_f32 v[18:19], v[56:57], v[0:1] op_sel:[0,1]
	v_pk_fma_f32 v[24:25], v[48:49], v[52:53], v[14:15] neg_lo:[0,0,1] neg_hi:[0,0,1]
	v_pk_fma_f32 v[14:15], v[48:49], v[52:53], v[14:15] op_sel_hi:[1,0,1]
	v_pk_add_f32 v[12:13], v[12:13], v[20:21]
	v_mov_b32_e32 v8, v3
	v_mov_b32_e32 v25, v15
	v_pk_fma_f32 v[14:15], v[56:57], v[0:1], v[18:19] op_sel:[0,0,1] op_sel_hi:[1,1,0] neg_lo:[0,0,1] neg_hi:[0,0,1]
	v_pk_fma_f32 v[0:1], v[56:57], v[0:1], v[18:19] op_sel:[0,0,1] op_sel_hi:[1,0,0]
	v_pk_mul_f32 v[20:21], v[54:55], v[8:9] op_sel_hi:[1,0]
	v_pk_add_f32 v[12:13], v[12:13], v[24:25]
	v_mov_b32_e32 v15, v1
	v_pk_add_f32 v[0:1], v[12:13], v[14:15]
	v_pk_fma_f32 v[12:13], v[54:55], v[2:3], v[20:21] op_sel:[0,0,1] op_sel_hi:[1,1,0] neg_lo:[0,0,1] neg_hi:[0,0,1]
	v_pk_fma_f32 v[2:3], v[54:55], v[2:3], v[20:21] op_sel:[0,0,1] op_sel_hi:[1,0,0]
	v_pk_mul_f32 v[22:23], v[50:51], v[58:59] op_sel:[0,1]
	v_mov_b32_e32 v13, v3
	v_pk_add_f32 v[0:1], v[0:1], v[12:13]
	v_pk_fma_f32 v[2:3], v[50:51], v[58:59], v[22:23] op_sel:[0,0,1] op_sel_hi:[1,1,0] neg_lo:[0,0,1] neg_hi:[0,0,1]
	v_pk_fma_f32 v[12:13], v[50:51], v[58:59], v[22:23] op_sel:[0,0,1] op_sel_hi:[1,0,0]
	v_pk_mul_f32 v[14:15], v[64:65], v[72:73] op_sel:[0,1]
	v_mov_b32_e32 v3, v13
	v_pk_add_f32 v[0:1], v[0:1], v[2:3]
	v_pk_mul_f32 v[2:3], v[62:63], v[68:69] op_sel:[0,1]
	v_pk_mul_f32 v[12:13], v[66:67], v[74:75] op_sel:[0,1]
	v_pk_fma_f32 v[20:21], v[62:63], v[68:69], v[2:3] op_sel:[0,0,1] op_sel_hi:[1,1,0] neg_lo:[0,0,1] neg_hi:[0,0,1]
	v_pk_fma_f32 v[2:3], v[62:63], v[68:69], v[2:3] op_sel:[0,0,1] op_sel_hi:[1,0,0]
	v_pk_mul_f32 v[18:19], v[60:61], v[70:71] op_sel:[0,1]
	v_mov_b32_e32 v21, v3
	v_pk_fma_f32 v[2:3], v[66:67], v[74:75], v[12:13] op_sel:[0,0,1] op_sel_hi:[1,1,0] neg_lo:[0,0,1] neg_hi:[0,0,1]
	v_pk_fma_f32 v[12:13], v[66:67], v[74:75], v[12:13] op_sel:[0,0,1] op_sel_hi:[1,0,0]
	v_pk_add_f32 v[0:1], v[0:1], v[20:21]
	v_mov_b32_e32 v3, v13
	v_pk_fma_f32 v[12:13], v[64:65], v[72:73], v[14:15] op_sel:[0,0,1] op_sel_hi:[1,1,0] neg_lo:[0,0,1] neg_hi:[0,0,1]
	v_pk_fma_f32 v[14:15], v[64:65], v[72:73], v[14:15] op_sel:[0,0,1] op_sel_hi:[1,0,0]
	v_pk_add_f32 v[0:1], v[0:1], v[2:3]
	;; [unrolled: 4-line block ×3, first 2 shown]
	v_mov_b32_e32 v15, v19
	s_add_i32 s3, s3, 64
	s_add_i32 s2, s2, -1
	v_pk_add_f32 v[18:19], v[0:1], v[14:15]
	s_cmp_eq_u32 s2, 0
	v_lshl_add_u64 v[10:11], v[10:11], 0, s[10:11]
	s_barrier
	s_cbranch_scc1 .LBB44_133
.LBB44_129:                             ; =>This Inner Loop Header: Depth=1
	s_and_saveexec_b64 s[46:47], s[18:19]
	s_cbranch_execz .LBB44_131
; %bb.130:                              ;   in Loop: Header=BB44_129 Depth=1
	s_mul_i32 s33, s3, s23
	s_mul_hi_u32 s48, s3, s22
	s_add_i32 s49, s48, s33
	s_mul_i32 s48, s3, s22
	v_lshl_add_u64 v[0:1], s[48:49], 3, v[6:7]
	flat_load_dwordx2 v[0:1], v[0:1]
	s_waitcnt vmcnt(0) lgkmcnt(0)
	ds_write_b64 v5, v[0:1]
.LBB44_131:                             ;   in Loop: Header=BB44_129 Depth=1
	s_or_b64 exec, exec, s[46:47]
	s_waitcnt lgkmcnt(0)
	s_barrier
	flat_load_dwordx2 v[12:13], v[10:11]
	ds_read_b64 v[0:1], v77
	ds_read_b64 v[14:15], v81
	v_lshl_add_u64 v[2:3], v[10:11], 0, s[8:9]
	v_lshl_add_u64 v[62:63], v[10:11], 0, s[40:41]
	s_waitcnt vmcnt(0) lgkmcnt(0)
	v_mul_f32_e32 v20, v13, v1
	v_mul_f32_e32 v8, v13, v0
	v_fmac_f32_e32 v20, v12, v0
	v_fma_f32 v21, v12, v1, -v8
	ds_write_b64 v82, v[20:21]
	flat_load_dwordx2 v[20:21], v[2:3]
	v_lshl_add_u64 v[2:3], v[10:11], 0, s[12:13]
	ds_read_b64 v[22:23], v81 offset:8
	s_waitcnt vmcnt(0) lgkmcnt(0)
	v_mul_f32_e32 v24, v21, v1
	v_mul_f32_e32 v8, v21, v0
	v_fmac_f32_e32 v24, v20, v0
	v_fma_f32 v25, v20, v1, -v8
	ds_write_b64 v82, v[24:25] offset:536
	flat_load_dwordx2 v[24:25], v[2:3]
	v_lshl_add_u64 v[2:3], v[10:11], 0, s[14:15]
	ds_read_b64 v[26:27], v81 offset:16
	s_waitcnt vmcnt(0) lgkmcnt(0)
	v_mul_f32_e32 v28, v25, v1
	v_mul_f32_e32 v8, v25, v0
	v_fmac_f32_e32 v28, v24, v0
	v_fma_f32 v29, v24, v1, -v8
	ds_write_b64 v82, v[28:29] offset:1072
	;; [unrolled: 9-line block ×3, first 2 shown]
	s_waitcnt lgkmcnt(0)
	s_barrier
	ds_read2_b64 v[68:71], v80 offset1:1
	ds_read2_b64 v[72:75], v80 offset0:2 offset1:3
	s_waitcnt lgkmcnt(0)
	s_barrier
	flat_load_dwordx2 v[32:33], v[2:3]
	ds_read_b64 v[0:1], v77
	ds_read_b64 v[34:35], v81 offset:128
	v_lshl_add_u64 v[2:3], v[10:11], 0, s[44:45]
	v_pk_add_f32 v[68:69], v[68:69], 0 op_sel_hi:[1,0]
	s_waitcnt vmcnt(0) lgkmcnt(0)
	v_mul_f32_e32 v36, v33, v1
	v_mul_f32_e32 v8, v33, v0
	v_fmac_f32_e32 v36, v32, v0
	v_fma_f32 v37, v32, v1, -v8
	ds_write_b64 v82, v[36:37]
	flat_load_dwordx2 v[36:37], v[2:3]
	v_lshl_add_u64 v[2:3], v[10:11], 0, s[16:17]
	ds_read_b64 v[38:39], v81 offset:136
	v_pk_add_f32 v[68:69], v[68:69], v[70:71]
	s_waitcnt vmcnt(0) lgkmcnt(0)
	v_mul_f32_e32 v40, v37, v1
	v_mul_f32_e32 v8, v37, v0
	v_fmac_f32_e32 v40, v36, v0
	v_fma_f32 v41, v36, v1, -v8
	ds_write_b64 v82, v[40:41] offset:536
	flat_load_dwordx2 v[40:41], v[2:3]
	v_lshl_add_u64 v[2:3], v[10:11], 0, s[20:21]
	ds_read_b64 v[42:43], v81 offset:144
	v_pk_add_f32 v[68:69], v[68:69], v[72:73]
	s_waitcnt vmcnt(0) lgkmcnt(0)
	v_mul_f32_e32 v44, v41, v1
	v_mul_f32_e32 v8, v41, v0
	v_fmac_f32_e32 v44, v40, v0
	v_fma_f32 v45, v40, v1, -v8
	ds_write_b64 v82, v[44:45] offset:1072
	;; [unrolled: 10-line block ×3, first 2 shown]
	s_waitcnt lgkmcnt(0)
	s_barrier
	ds_read2_b64 v[86:89], v80 offset1:1
	ds_read2_b64 v[90:93], v80 offset0:2 offset1:3
	s_waitcnt lgkmcnt(0)
	s_barrier
	flat_load_dwordx2 v[48:49], v[2:3]
	ds_read_b64 v[60:61], v77
	ds_read_b64 v[52:53], v81 offset:256
	v_lshl_add_u64 v[0:1], v[10:11], 0, s[42:43]
	v_pk_add_f32 v[68:69], v[86:87], 0 op_sel_hi:[1,0]
	s_waitcnt vmcnt(0) lgkmcnt(0)
	v_mul_f32_e32 v2, v49, v61
	v_mul_f32_e32 v3, v49, v60
	v_fmac_f32_e32 v2, v48, v60
	v_fma_f32 v3, v48, v61, -v3
	ds_write_b64 v82, v[2:3]
	flat_load_dwordx2 v[56:57], v[0:1]
	v_lshl_add_u64 v[0:1], v[10:11], 0, s[28:29]
	flat_load_dwordx2 v[54:55], v[0:1]
	v_lshl_add_u64 v[0:1], v[10:11], 0, s[30:31]
	flat_load_dwordx2 v[50:51], v[0:1]
	ds_read2_b64 v[0:3], v81 offset0:33 offset1:34
	ds_read_b64 v[58:59], v81 offset:280
	v_pk_add_f32 v[68:69], v[68:69], v[88:89]
	s_waitcnt vmcnt(0) lgkmcnt(0)
	v_mul_f32_e32 v64, v57, v61
	v_mul_f32_e32 v8, v57, v60
	;; [unrolled: 1-line block ×6, first 2 shown]
	v_fma_f32 v65, v56, v61, -v8
	v_fma_f32 v67, v54, v61, -v67
	;; [unrolled: 1-line block ×3, first 2 shown]
	v_fmac_f32_e32 v64, v56, v60
	v_fmac_f32_e32 v66, v54, v60
	;; [unrolled: 1-line block ×3, first 2 shown]
	ds_write2_b64 v82, v[64:65], v[66:67] offset0:67 offset1:134
	ds_write_b64 v82, v[94:95] offset:1608
	s_waitcnt lgkmcnt(0)
	s_barrier
	ds_read2_b64 v[94:97], v80 offset1:1
	ds_read2_b64 v[98:101], v80 offset0:2 offset1:3
	s_waitcnt lgkmcnt(0)
	s_barrier
	flat_load_dwordx2 v[62:63], v[62:63]
	v_lshl_add_u64 v[60:61], v[10:11], 0, s[38:39]
	flat_load_dwordx2 v[66:67], v[60:61]
	v_lshl_add_u64 v[60:61], v[10:11], 0, s[34:35]
	;; [unrolled: 2-line block ×3, first 2 shown]
	flat_load_dwordx2 v[60:61], v[60:61]
	v_pk_add_f32 v[68:69], v[68:69], v[90:91]
	v_pk_add_f32 v[72:73], v[94:95], 0 op_sel_hi:[1,0]
	v_pk_add_f32 v[104:105], v[68:69], v[92:93]
	ds_read_b64 v[70:71], v77
	ds_read_b64 v[68:69], v81 offset:384
	v_pk_add_f32 v[72:73], v[72:73], v[96:97]
	s_waitcnt vmcnt(0) lgkmcnt(0)
	v_mul_f32_e32 v8, v63, v70
	v_pk_add_f32 v[72:73], v[72:73], v[98:99]
	v_mul_f32_e32 v74, v67, v70
	v_pk_add_f32 v[94:95], v[72:73], v[100:101]
	v_mul_f32_e32 v72, v63, v71
	v_mul_f32_e32 v86, v67, v71
	v_fma_f32 v73, v62, v71, -v8
	v_fmac_f32_e32 v72, v62, v70
	v_mul_f32_e32 v75, v65, v70
	v_mul_f32_e32 v88, v65, v71
	v_fma_f32 v87, v66, v71, -v74
	v_fmac_f32_e32 v86, v66, v70
	ds_write_b64 v82, v[72:73]
	v_mul_f32_e32 v85, v61, v70
	v_mul_f32_e32 v90, v61, v71
	v_fma_f32 v89, v64, v71, -v75
	v_fmac_f32_e32 v88, v64, v70
	ds_read_b64 v[74:75], v81 offset:392
	ds_write_b64 v82, v[86:87] offset:536
	v_fma_f32 v91, v60, v71, -v85
	v_fmac_f32_e32 v90, v60, v70
	ds_read_b64 v[72:73], v81 offset:400
	ds_write_b64 v82, v[88:89] offset:1072
	ds_read_b64 v[70:71], v81 offset:408
	ds_write_b64 v82, v[90:91] offset:1608
	s_waitcnt lgkmcnt(0)
	s_barrier
	ds_read2_b64 v[86:89], v80 offset1:1
	ds_read2_b64 v[90:93], v80 offset0:2 offset1:3
	s_waitcnt lgkmcnt(0)
	s_barrier
	v_pk_add_f32 v[86:87], v[86:87], 0 op_sel_hi:[1,0]
	ds_write2_b64 v83, v[102:103], v[104:105] offset1:16
	v_pk_add_f32 v[86:87], v[86:87], v[88:89]
	s_nop 0
	v_pk_add_f32 v[86:87], v[86:87], v[90:91]
	s_nop 0
	v_pk_add_f32 v[86:87], v[86:87], v[92:93]
	ds_write2_b64 v83, v[94:95], v[86:87] offset0:32 offset1:48
	s_waitcnt lgkmcnt(0)
	s_barrier
	s_and_saveexec_b64 s[46:47], s[0:1]
	s_cbranch_execz .LBB44_128
; %bb.132:                              ;   in Loop: Header=BB44_129 Depth=1
	ds_read_b64 v[94:95], v78
	ds_read2_b64 v[86:89], v78 offset0:1 offset1:2
	ds_read2_b64 v[90:93], v78 offset0:3 offset1:4
	s_waitcnt lgkmcnt(1)
	v_add_f32_e32 v8, v86, v94
	v_add_f32_e32 v85, v87, v95
	;; [unrolled: 1-line block ×4, first 2 shown]
	ds_read2_b64 v[86:89], v78 offset0:5 offset1:6
	s_waitcnt lgkmcnt(1)
	v_add_f32_e32 v8, v8, v90
	v_add_f32_e32 v85, v85, v91
	;; [unrolled: 1-line block ×4, first 2 shown]
	ds_read2_b64 v[90:93], v78 offset0:7 offset1:8
	s_waitcnt lgkmcnt(1)
	v_pk_add_f32 v[86:87], v[94:95], v[86:87]
	ds_read2_b64 v[94:97], v78 offset0:9 offset1:10
	v_pk_add_f32 v[86:87], v[86:87], v[88:89]
	v_add_u32_e32 v8, s3, v84
	s_waitcnt lgkmcnt(1)
	v_pk_add_f32 v[86:87], v[86:87], v[90:91]
	v_lshl_add_u64 v[98:99], v[8:9], 3, s[6:7]
	v_pk_add_f32 v[90:91], v[86:87], v[92:93]
	ds_read2_b64 v[86:89], v78 offset0:11 offset1:12
	s_waitcnt lgkmcnt(1)
	v_pk_add_f32 v[94:95], v[90:91], v[94:95]
	ds_read2_b64 v[90:93], v78 offset0:13 offset1:14
	v_pk_add_f32 v[94:95], v[94:95], v[96:97]
	ds_read_b64 v[96:97], v79
	s_waitcnt lgkmcnt(2)
	v_pk_add_f32 v[86:87], v[94:95], v[86:87]
	s_nop 0
	v_pk_add_f32 v[86:87], v[86:87], v[88:89]
	s_waitcnt lgkmcnt(1)
	v_pk_add_f32 v[86:87], v[86:87], v[90:91]
	s_nop 0
	v_pk_add_f32 v[86:87], v[86:87], v[92:93]
	s_waitcnt lgkmcnt(0)
	v_pk_add_f32 v[86:87], v[86:87], v[96:97]
	global_store_dwordx2 v[98:99], v[86:87], off
	s_branch .LBB44_128
.LBB44_133:
	s_movk_i32 s0, 0x218
	v_mad_u32_u24 v0, v76, s0, v4
	s_or_b64 s[0:1], s[4:5], vcc
	s_xor_b64 s[0:1], s[0:1], -1
	ds_write_b64 v0, v[18:19]
	s_waitcnt lgkmcnt(0)
	s_barrier
	s_and_saveexec_b64 s[2:3], s[0:1]
	s_cbranch_execz .LBB44_135
; %bb.134:
	ds_read2_b64 v[0:3], v4 offset1:67
	ds_read2_b64 v[4:7], v4 offset0:134 offset1:201
	v_lshl_add_u64 v[8:9], v[16:17], 3, s[6:7]
	s_waitcnt lgkmcnt(1)
	v_pk_add_f32 v[0:1], v[2:3], v[0:1]
	s_waitcnt lgkmcnt(0)
	v_pk_add_f32 v[0:1], v[0:1], v[4:5]
	s_nop 0
	v_pk_add_f32 v[0:1], v[0:1], v[6:7]
	global_store_dwordx2 v[8:9], v[0:1], off
.LBB44_135:
	s_endpgm
	.section	.rodata,"a",@progbits
	.p2align	6, 0x0
	.amdhsa_kernel _ZL26rocblas_hemvn_kernel_lowerILb1ELi64ELi4ELi33ELi32ELi16El19rocblas_complex_numIfEPKPKS1_PS1_EviT6_lT7_lT5_lS8_lS9_lS7_lT8_i
		.amdhsa_group_segment_fixed_size 9600
		.amdhsa_private_segment_fixed_size 0
		.amdhsa_kernarg_size 376
		.amdhsa_user_sgpr_count 2
		.amdhsa_user_sgpr_dispatch_ptr 0
		.amdhsa_user_sgpr_queue_ptr 0
		.amdhsa_user_sgpr_kernarg_segment_ptr 1
		.amdhsa_user_sgpr_dispatch_id 0
		.amdhsa_user_sgpr_kernarg_preload_length 0
		.amdhsa_user_sgpr_kernarg_preload_offset 0
		.amdhsa_user_sgpr_private_segment_size 0
		.amdhsa_uses_dynamic_stack 0
		.amdhsa_enable_private_segment 0
		.amdhsa_system_sgpr_workgroup_id_x 1
		.amdhsa_system_sgpr_workgroup_id_y 0
		.amdhsa_system_sgpr_workgroup_id_z 1
		.amdhsa_system_sgpr_workgroup_info 0
		.amdhsa_system_vgpr_workitem_id 1
		.amdhsa_next_free_vgpr 106
		.amdhsa_next_free_sgpr 50
		.amdhsa_accum_offset 108
		.amdhsa_reserve_vcc 1
		.amdhsa_float_round_mode_32 0
		.amdhsa_float_round_mode_16_64 0
		.amdhsa_float_denorm_mode_32 3
		.amdhsa_float_denorm_mode_16_64 3
		.amdhsa_dx10_clamp 1
		.amdhsa_ieee_mode 1
		.amdhsa_fp16_overflow 0
		.amdhsa_tg_split 0
		.amdhsa_exception_fp_ieee_invalid_op 0
		.amdhsa_exception_fp_denorm_src 0
		.amdhsa_exception_fp_ieee_div_zero 0
		.amdhsa_exception_fp_ieee_overflow 0
		.amdhsa_exception_fp_ieee_underflow 0
		.amdhsa_exception_fp_ieee_inexact 0
		.amdhsa_exception_int_div_zero 0
	.end_amdhsa_kernel
	.section	.text._ZL26rocblas_hemvn_kernel_lowerILb1ELi64ELi4ELi33ELi32ELi16El19rocblas_complex_numIfEPKPKS1_PS1_EviT6_lT7_lT5_lS8_lS9_lS7_lT8_i,"axG",@progbits,_ZL26rocblas_hemvn_kernel_lowerILb1ELi64ELi4ELi33ELi32ELi16El19rocblas_complex_numIfEPKPKS1_PS1_EviT6_lT7_lT5_lS8_lS9_lS7_lT8_i,comdat
.Lfunc_end44:
	.size	_ZL26rocblas_hemvn_kernel_lowerILb1ELi64ELi4ELi33ELi32ELi16El19rocblas_complex_numIfEPKPKS1_PS1_EviT6_lT7_lT5_lS8_lS9_lS7_lT8_i, .Lfunc_end44-_ZL26rocblas_hemvn_kernel_lowerILb1ELi64ELi4ELi33ELi32ELi16El19rocblas_complex_numIfEPKPKS1_PS1_EviT6_lT7_lT5_lS8_lS9_lS7_lT8_i
                                        ; -- End function
	.section	.AMDGPU.csdata,"",@progbits
; Kernel info:
; codeLenInByte = 8152
; NumSgprs: 56
; NumVgprs: 106
; NumAgprs: 0
; TotalNumVgprs: 106
; ScratchSize: 0
; MemoryBound: 1
; FloatMode: 240
; IeeeMode: 1
; LDSByteSize: 9600 bytes/workgroup (compile time only)
; SGPRBlocks: 6
; VGPRBlocks: 13
; NumSGPRsForWavesPerEU: 56
; NumVGPRsForWavesPerEU: 106
; AccumOffset: 108
; Occupancy: 4
; WaveLimiterHint : 0
; COMPUTE_PGM_RSRC2:SCRATCH_EN: 0
; COMPUTE_PGM_RSRC2:USER_SGPR: 2
; COMPUTE_PGM_RSRC2:TRAP_HANDLER: 0
; COMPUTE_PGM_RSRC2:TGID_X_EN: 1
; COMPUTE_PGM_RSRC2:TGID_Y_EN: 0
; COMPUTE_PGM_RSRC2:TGID_Z_EN: 1
; COMPUTE_PGM_RSRC2:TIDIG_COMP_CNT: 1
; COMPUTE_PGM_RSRC3_GFX90A:ACCUM_OFFSET: 26
; COMPUTE_PGM_RSRC3_GFX90A:TG_SPLIT: 0
	.section	.text._ZL36rocblas_hemvn_kernel_lower_block_sumILi64El19rocblas_complex_numIfEPKPS1_S1_EviT1_lS5_lT2_lT0_lPT3_i,"axG",@progbits,_ZL36rocblas_hemvn_kernel_lower_block_sumILi64El19rocblas_complex_numIfEPKPS1_S1_EviT1_lS5_lT2_lT0_lPT3_i,comdat
	.globl	_ZL36rocblas_hemvn_kernel_lower_block_sumILi64El19rocblas_complex_numIfEPKPS1_S1_EviT1_lS5_lT2_lT0_lPT3_i ; -- Begin function _ZL36rocblas_hemvn_kernel_lower_block_sumILi64El19rocblas_complex_numIfEPKPS1_S1_EviT1_lS5_lT2_lT0_lPT3_i
	.p2align	8
	.type	_ZL36rocblas_hemvn_kernel_lower_block_sumILi64El19rocblas_complex_numIfEPKPS1_S1_EviT1_lS5_lT2_lT0_lPT3_i,@function
_ZL36rocblas_hemvn_kernel_lower_block_sumILi64El19rocblas_complex_numIfEPKPS1_S1_EviT1_lS5_lT2_lT0_lPT3_i: ; @_ZL36rocblas_hemvn_kernel_lower_block_sumILi64El19rocblas_complex_numIfEPKPS1_S1_EviT1_lS5_lT2_lT0_lPT3_i
; %bb.0:
	s_load_dwordx4 s[8:11], s[0:1], 0x0
	s_load_dwordx2 s[12:13], s[0:1], 0x18
	s_mov_b32 s16, s3
	s_mov_b32 s17, 0
	s_waitcnt lgkmcnt(0)
	s_or_b32 s3, s9, s10
	s_bitset0_b32 s3, 31
	s_cmp_eq_u32 s3, 0
	v_cmp_eq_f32_e64 s[4:5], s12, 1.0
	v_cmp_eq_f32_e64 s[6:7], s13, 0
	s_cselect_b64 s[18:19], -1, 0
	s_and_b64 s[4:5], s[4:5], s[6:7]
	s_and_b64 s[4:5], s[18:19], s[4:5]
	s_and_b64 vcc, exec, s[4:5]
	s_cbranch_vccnz .LBB45_17
; %bb.1:
	s_mov_b32 s15, s10
	s_load_dwordx2 s[10:11], s[0:1], 0x28
	s_load_dwordx4 s[4:7], s[0:1], 0x30
	s_lshl_b64 s[20:21], s[16:17], 3
	v_lshl_or_b32 v8, s2, 6, v0
	s_mov_b32 s14, s9
	s_waitcnt lgkmcnt(0)
	s_add_u32 s10, s10, s20
	s_addc_u32 s11, s11, s21
	s_load_dwordx2 s[10:11], s[10:11], 0x0
	s_lshl_b64 s[4:5], s[4:5], 3
	s_mov_b64 s[20:21], -1
	s_waitcnt lgkmcnt(0)
	s_add_u32 s10, s10, s4
	s_addc_u32 s11, s11, s5
	s_andn2_b64 vcc, exec, s[18:19]
	v_cmp_gt_i32_e64 s[4:5], s8, v8
	s_cbranch_vccnz .LBB45_7
; %bb.2:
	s_and_saveexec_b64 s[18:19], s[4:5]
	s_cbranch_execz .LBB45_6
; %bb.3:
	v_ashrrev_i32_e32 v0, 31, v8
	v_cmp_neq_f32_e64 s[4:5], s12, 0
	v_cmp_neq_f32_e64 s[20:21], s13, 0
	v_mul_lo_u32 v2, v8, s7
	v_mul_lo_u32 v3, v0, s6
	v_mad_u64_u32 v[0:1], s[22:23], v8, s6, 0
	v_add3_u32 v1, v1, v2, v3
	s_or_b64 s[4:5], s[4:5], s[20:21]
	s_andn2_b64 vcc, exec, s[4:5]
	v_mov_b32_e32 v2, 0
	v_lshl_add_u64 v[0:1], v[0:1], 3, s[10:11]
	v_mov_b32_e32 v3, 0
	s_cbranch_vccnz .LBB45_5
; %bb.4:
	global_load_dwordx2 v[4:5], v[0:1], off
	s_waitcnt vmcnt(0)
	v_pk_mul_f32 v[6:7], v[4:5], s[12:13] op_sel:[1,0]
	s_nop 0
	v_pk_fma_f32 v[2:3], v[4:5], s[12:13], v[6:7] op_sel:[0,0,1] op_sel_hi:[1,1,0] neg_lo:[0,0,1] neg_hi:[0,0,1]
	v_pk_fma_f32 v[4:5], v[4:5], s[12:13], v[6:7] op_sel:[0,0,1] op_sel_hi:[0,1,0]
	v_mov_b32_e32 v3, v5
.LBB45_5:
	global_store_dwordx2 v[0:1], v[2:3], off
.LBB45_6:
	s_or_b64 exec, exec, s[18:19]
	s_mov_b64 s[20:21], 0
.LBB45_7:
	s_andn2_b64 vcc, exec, s[20:21]
	s_cbranch_vccnz .LBB45_17
; %bb.8:
	v_cmp_gt_i32_e32 vcc, s8, v8
	s_and_saveexec_b64 s[4:5], vcc
	s_cbranch_execz .LBB45_17
; %bb.9:
	s_load_dword s3, s[0:1], 0x58
	v_mov_b32_e32 v1, 0
	v_mov_b32_e32 v0, v1
	s_waitcnt lgkmcnt(0)
	s_cmp_ge_i32 s2, s3
	s_cbranch_scc1 .LBB45_12
; %bb.10:
	s_ashr_i32 s9, s8, 31
	s_mul_i32 s4, s2, s8
	s_load_dwordx2 s[0:1], s[0:1], 0x48
	v_add_u32_e32 v0, s4, v8
	s_mul_hi_u32 s4, s8, s16
	s_mul_i32 s5, s9, s16
	s_add_i32 s4, s4, s5
	s_mul_i32 s16, s8, s16
	s_mul_i32 s4, s4, s3
	s_mul_hi_u32 s5, s16, s3
	s_add_i32 s5, s5, s4
	s_mul_i32 s4, s16, s3
	s_lshl_b64 s[4:5], s[4:5], 3
	s_waitcnt lgkmcnt(0)
	s_add_u32 s0, s0, s4
	v_ashrrev_i32_e32 v1, 31, v0
	s_addc_u32 s1, s1, s5
	v_lshl_add_u64 v[2:3], v[0:1], 3, s[0:1]
	v_mov_b32_e32 v0, 0
	s_lshl_b64 s[0:1], s[8:9], 3
	v_mov_b32_e32 v1, v0
.LBB45_11:                              ; =>This Inner Loop Header: Depth=1
	global_load_dwordx2 v[4:5], v[2:3], off
	s_add_i32 s2, s2, 1
	v_lshl_add_u64 v[2:3], v[2:3], 0, s[0:1]
	s_cmp_ge_i32 s2, s3
	s_waitcnt vmcnt(0)
	v_pk_add_f32 v[0:1], v[0:1], v[4:5]
	s_cbranch_scc0 .LBB45_11
.LBB45_12:
	v_cmp_neq_f32_e64 s[0:1], s12, 0
	v_cmp_neq_f32_e64 s[2:3], s13, 0
	s_or_b64 s[0:1], s[0:1], s[2:3]
	v_pk_mul_f32 v[6:7], v[0:1], s[14:15] op_sel:[1,0]
	v_ashrrev_i32_e32 v4, 31, v8
	s_andn2_b64 vcc, exec, s[0:1]
	v_pk_fma_f32 v[2:3], v[0:1], s[14:15], v[6:7] op_sel:[0,0,1] op_sel_hi:[0,1,0]
	v_mul_lo_u32 v9, v8, s7
	v_mul_lo_u32 v10, v4, s6
	s_cbranch_vccz .LBB45_14
; %bb.13:
	v_pk_mul_f32 v[12:13], v[0:1], s[14:15] op_sel_hi:[0,1]
	v_mad_u64_u32 v[4:5], s[0:1], v8, s6, 0
	v_add3_u32 v5, v5, v9, v10
	v_sub_f32_e32 v2, v12, v7
	s_cbranch_execz .LBB45_15
	s_branch .LBB45_16
.LBB45_14:
                                        ; implicit-def: $vgpr4_vgpr5
.LBB45_15:
	v_mad_u64_u32 v[4:5], s[0:1], v8, s6, 0
	v_add3_u32 v5, v5, v9, v10
	v_lshl_add_u64 v[8:9], v[4:5], 3, s[10:11]
	global_load_dwordx2 v[8:9], v[8:9], off
	v_pk_fma_f32 v[0:1], v[0:1], s[14:15], v[6:7] op_sel:[0,0,1] op_sel_hi:[1,1,0] neg_lo:[0,0,1] neg_hi:[0,0,1]
	s_waitcnt vmcnt(0)
	v_pk_mul_f32 v[6:7], v[8:9], s[12:13] op_sel:[1,0]
	s_nop 0
	v_pk_fma_f32 v[10:11], v[8:9], s[12:13], v[6:7] op_sel:[0,0,1] op_sel_hi:[1,1,0] neg_lo:[0,0,1] neg_hi:[0,0,1]
	v_pk_fma_f32 v[6:7], v[8:9], s[12:13], v[6:7] op_sel:[0,0,1] op_sel_hi:[0,1,0]
	v_mov_b32_e32 v11, v7
	v_mov_b32_e32 v1, v3
	v_pk_add_f32 v[2:3], v[0:1], v[10:11]
.LBB45_16:
	v_lshl_add_u64 v[0:1], v[4:5], 3, s[10:11]
	global_store_dwordx2 v[0:1], v[2:3], off
.LBB45_17:
	s_endpgm
	.section	.rodata,"a",@progbits
	.p2align	6, 0x0
	.amdhsa_kernel _ZL36rocblas_hemvn_kernel_lower_block_sumILi64El19rocblas_complex_numIfEPKPS1_S1_EviT1_lS5_lT2_lT0_lPT3_i
		.amdhsa_group_segment_fixed_size 0
		.amdhsa_private_segment_fixed_size 0
		.amdhsa_kernarg_size 344
		.amdhsa_user_sgpr_count 2
		.amdhsa_user_sgpr_dispatch_ptr 0
		.amdhsa_user_sgpr_queue_ptr 0
		.amdhsa_user_sgpr_kernarg_segment_ptr 1
		.amdhsa_user_sgpr_dispatch_id 0
		.amdhsa_user_sgpr_kernarg_preload_length 0
		.amdhsa_user_sgpr_kernarg_preload_offset 0
		.amdhsa_user_sgpr_private_segment_size 0
		.amdhsa_uses_dynamic_stack 0
		.amdhsa_enable_private_segment 0
		.amdhsa_system_sgpr_workgroup_id_x 1
		.amdhsa_system_sgpr_workgroup_id_y 0
		.amdhsa_system_sgpr_workgroup_id_z 1
		.amdhsa_system_sgpr_workgroup_info 0
		.amdhsa_system_vgpr_workitem_id 0
		.amdhsa_next_free_vgpr 14
		.amdhsa_next_free_sgpr 24
		.amdhsa_accum_offset 16
		.amdhsa_reserve_vcc 1
		.amdhsa_float_round_mode_32 0
		.amdhsa_float_round_mode_16_64 0
		.amdhsa_float_denorm_mode_32 3
		.amdhsa_float_denorm_mode_16_64 3
		.amdhsa_dx10_clamp 1
		.amdhsa_ieee_mode 1
		.amdhsa_fp16_overflow 0
		.amdhsa_tg_split 0
		.amdhsa_exception_fp_ieee_invalid_op 0
		.amdhsa_exception_fp_denorm_src 0
		.amdhsa_exception_fp_ieee_div_zero 0
		.amdhsa_exception_fp_ieee_overflow 0
		.amdhsa_exception_fp_ieee_underflow 0
		.amdhsa_exception_fp_ieee_inexact 0
		.amdhsa_exception_int_div_zero 0
	.end_amdhsa_kernel
	.section	.text._ZL36rocblas_hemvn_kernel_lower_block_sumILi64El19rocblas_complex_numIfEPKPS1_S1_EviT1_lS5_lT2_lT0_lPT3_i,"axG",@progbits,_ZL36rocblas_hemvn_kernel_lower_block_sumILi64El19rocblas_complex_numIfEPKPS1_S1_EviT1_lS5_lT2_lT0_lPT3_i,comdat
.Lfunc_end45:
	.size	_ZL36rocblas_hemvn_kernel_lower_block_sumILi64El19rocblas_complex_numIfEPKPS1_S1_EviT1_lS5_lT2_lT0_lPT3_i, .Lfunc_end45-_ZL36rocblas_hemvn_kernel_lower_block_sumILi64El19rocblas_complex_numIfEPKPS1_S1_EviT1_lS5_lT2_lT0_lPT3_i
                                        ; -- End function
	.section	.AMDGPU.csdata,"",@progbits
; Kernel info:
; codeLenInByte = 704
; NumSgprs: 30
; NumVgprs: 14
; NumAgprs: 0
; TotalNumVgprs: 14
; ScratchSize: 0
; MemoryBound: 0
; FloatMode: 240
; IeeeMode: 1
; LDSByteSize: 0 bytes/workgroup (compile time only)
; SGPRBlocks: 3
; VGPRBlocks: 1
; NumSGPRsForWavesPerEU: 30
; NumVGPRsForWavesPerEU: 14
; AccumOffset: 16
; Occupancy: 8
; WaveLimiterHint : 1
; COMPUTE_PGM_RSRC2:SCRATCH_EN: 0
; COMPUTE_PGM_RSRC2:USER_SGPR: 2
; COMPUTE_PGM_RSRC2:TRAP_HANDLER: 0
; COMPUTE_PGM_RSRC2:TGID_X_EN: 1
; COMPUTE_PGM_RSRC2:TGID_Y_EN: 0
; COMPUTE_PGM_RSRC2:TGID_Z_EN: 1
; COMPUTE_PGM_RSRC2:TIDIG_COMP_CNT: 0
; COMPUTE_PGM_RSRC3_GFX90A:ACCUM_OFFSET: 3
; COMPUTE_PGM_RSRC3_GFX90A:TG_SPLIT: 0
	.section	.text._ZL26rocblas_hemvn_kernel_lowerILb1ELi64ELi4ELi33ELi32ELi16Ei19rocblas_complex_numIfEPKPKS1_PS1_EviT6_lT7_lT5_lS8_lS9_lS7_lT8_i,"axG",@progbits,_ZL26rocblas_hemvn_kernel_lowerILb1ELi64ELi4ELi33ELi32ELi16Ei19rocblas_complex_numIfEPKPKS1_PS1_EviT6_lT7_lT5_lS8_lS9_lS7_lT8_i,comdat
	.globl	_ZL26rocblas_hemvn_kernel_lowerILb1ELi64ELi4ELi33ELi32ELi16Ei19rocblas_complex_numIfEPKPKS1_PS1_EviT6_lT7_lT5_lS8_lS9_lS7_lT8_i ; -- Begin function _ZL26rocblas_hemvn_kernel_lowerILb1ELi64ELi4ELi33ELi32ELi16Ei19rocblas_complex_numIfEPKPKS1_PS1_EviT6_lT7_lT5_lS8_lS9_lS7_lT8_i
	.p2align	8
	.type	_ZL26rocblas_hemvn_kernel_lowerILb1ELi64ELi4ELi33ELi32ELi16Ei19rocblas_complex_numIfEPKPKS1_PS1_EviT6_lT7_lT5_lS8_lS9_lS7_lT8_i,@function
_ZL26rocblas_hemvn_kernel_lowerILb1ELi64ELi4ELi33ELi32ELi16Ei19rocblas_complex_numIfEPKPKS1_PS1_EviT6_lT7_lT5_lS8_lS9_lS7_lT8_i: ; @_ZL26rocblas_hemvn_kernel_lowerILb1ELi64ELi4ELi33ELi32ELi16Ei19rocblas_complex_numIfEPKPKS1_PS1_EviT6_lT7_lT5_lS8_lS9_lS7_lT8_i
; %bb.0:
	s_load_dwordx2 s[4:5], s[0:1], 0x84
	s_add_u32 s8, s0, 0x78
	s_mov_b32 s22, s3
	s_addc_u32 s9, s1, 0
	s_waitcnt lgkmcnt(0)
	s_and_b32 s3, s5, 0xffff
	s_lshr_b32 s5, s4, 16
	s_and_b32 s4, s4, 0xffff
	s_mul_i32 s4, s5, s4
	s_mul_i32 s4, s4, s3
	s_cmpk_lg_i32 s4, 0x100
	s_cbranch_scc1 .LBB46_135
; %bb.1:
	s_load_dwordx2 s[4:5], s[0:1], 0x4
	s_waitcnt lgkmcnt(0)
	s_or_b32 s3, s4, s5
	s_bitset0_b32 s3, 31
	s_cmp_lg_u32 s3, 0
	s_cselect_b64 s[10:11], -1, 0
	s_and_b64 vcc, exec, s[10:11]
	s_cbranch_vccnz .LBB46_4
; %bb.2:
	s_load_dwordx2 s[4:5], s[0:1], 0x58
	s_mov_b64 s[12:13], 0
	s_waitcnt lgkmcnt(0)
	v_cmp_eq_f32_e64 s[6:7], s4, 1.0
	v_cmp_eq_f32_e64 s[4:5], s5, 0
	s_and_b64 s[4:5], s[6:7], s[4:5]
	s_andn2_b64 vcc, exec, s[4:5]
	s_mov_b64 s[4:5], 0
                                        ; implicit-def: $sgpr6_sgpr7
	s_cbranch_vccz .LBB46_5
; %bb.3:
	s_mov_b64 s[4:5], -1
	s_mov_b64 s[6:7], 0
	s_branch .LBB46_5
.LBB46_4:
	s_mov_b64 s[12:13], -1
	s_mov_b64 s[4:5], 0
                                        ; implicit-def: $sgpr6_sgpr7
.LBB46_5:
	s_and_b64 vcc, exec, s[12:13]
	s_cbranch_vccz .LBB46_7
; %bb.6:
	s_load_dwordx4 s[4:7], s[0:1], 0x18
	s_mov_b32 s23, 0
	s_lshl_b64 s[12:13], s[22:23], 3
	s_waitcnt lgkmcnt(0)
	s_add_u32 s4, s4, s12
	s_addc_u32 s5, s5, s13
	s_load_dwordx2 s[4:5], s[4:5], 0x0
	s_lshl_b64 s[6:7], s[6:7], 3
	s_waitcnt lgkmcnt(0)
	s_add_u32 s6, s4, s6
	s_addc_u32 s7, s5, s7
	s_mov_b64 s[4:5], -1
.LBB46_7:
	s_andn2_b64 vcc, exec, s[4:5]
	s_cbranch_vccnz .LBB46_135
; %bb.8:
	v_cndmask_b32_e64 v1, 0, 1, s[10:11]
	v_cmp_ne_u32_e64 s[4:5], 1, v1
	s_andn2_b64 vcc, exec, s[10:11]
	s_mov_b64 s[10:11], 0
	s_cbranch_vccnz .LBB46_10
; %bb.9:
	s_load_dwordx4 s[12:15], s[0:1], 0x38
	s_mov_b32 s23, 0
	s_lshl_b64 s[10:11], s[22:23], 3
	s_waitcnt lgkmcnt(0)
	s_add_u32 s10, s12, s10
	s_addc_u32 s11, s13, s11
	s_load_dwordx2 s[10:11], s[10:11], 0x0
	s_lshl_b64 s[12:13], s[14:15], 3
	s_waitcnt lgkmcnt(0)
	s_add_u32 s10, s10, s12
	s_addc_u32 s11, s11, s13
.LBB46_10:
	s_and_b64 vcc, exec, s[4:5]
	s_cbranch_vccnz .LBB46_135
; %bb.11:
	s_load_dword s33, s[8:9], 0x0
	s_load_dword s23, s[0:1], 0x0
	;; [unrolled: 1-line block ×3, first 2 shown]
	v_and_b32_e32 v26, 0x3ff, v0
	s_lshl_b32 s28, s2, 6
	v_add_u32_e32 v16, s28, v26
	s_waitcnt lgkmcnt(0)
	s_ashr_i32 s40, s23, 31
	s_lshr_b32 s5, s40, 26
	s_add_i32 s5, s23, s5
	s_andn2_b32 s5, s5, 63
	v_bfe_u32 v17, v0, 10, 10
	s_add_i32 s4, s33, -1
	s_sub_i32 s5, s23, s5
	v_mul_lo_u32 v0, v16, s3
	s_cmp_eq_u32 s2, s4
	v_ashrrev_i32_e32 v1, 31, v0
	s_cselect_b32 s26, s5, 0
	v_lshl_add_u64 v[20:21], v[0:1], 3, s[10:11]
	v_cmp_ne_u32_e64 s[4:5], 0, v17
	v_cmp_eq_u32_e64 s[18:19], 0, v17
	s_and_saveexec_b64 s[8:9], s[18:19]
	s_cbranch_execz .LBB46_16
; %bb.12:
	s_cmp_lg_u32 s26, 0
	s_cselect_b64 s[10:11], -1, 0
	v_cmp_le_i32_e32 vcc, s26, v26
	v_mov_b32_e32 v0, 0x2380
	s_and_b64 s[10:11], s[10:11], vcc
	v_lshl_add_u32 v0, v26, 3, v0
	s_and_saveexec_b64 s[12:13], s[10:11]
	s_xor_b64 s[10:11], exec, s[12:13]
	s_cbranch_execz .LBB46_14
; %bb.13:
	v_mov_b32_e32 v2, 0
	v_mov_b32_e32 v3, v2
	ds_write_b64 v0, v[2:3]
                                        ; implicit-def: $vgpr0
.LBB46_14:
	s_andn2_saveexec_b64 s[10:11], s[10:11]
	s_cbranch_execz .LBB46_16
; %bb.15:
	flat_load_dwordx2 v[2:3], v[20:21]
	s_waitcnt vmcnt(0) lgkmcnt(0)
	ds_write_b64 v0, v[2:3]
.LBB46_16:
	s_or_b64 exec, exec, s[8:9]
	s_load_dword s24, s[0:1], 0x28
	s_ashr_i32 s29, s28, 31
	v_lshl_add_u32 v27, v17, 6, v26
	s_lshl_b64 s[8:9], s[28:29], 3
	v_and_b32_e32 v0, 31, v26
	v_lshrrev_b32_e32 v1, 5, v27
	s_add_u32 s8, s6, s8
	s_addc_u32 s9, s7, s9
	s_waitcnt lgkmcnt(0)
	v_mad_u64_u32 v[22:23], s[6:7], v1, s24, v[0:1]
	s_mul_i32 s6, s28, s24
	s_ashr_i32 s7, s6, 31
	s_lshl_b64 s[30:31], s[6:7], 3
	s_add_u32 s6, s30, s8
	s_addc_u32 s7, s31, s9
	s_cmp_lg_u32 s26, 0
	v_ashrrev_i32_e32 v23, 31, v22
	s_cselect_b64 s[34:35], -1, 0
	s_cmp_eq_u32 s26, 0
	v_lshl_add_u64 v[2:3], v[22:23], 3, s[6:7]
	s_cselect_b64 s[20:21], -1, 0
	s_and_b64 vcc, exec, s[34:35]
	s_cbranch_vccnz .LBB46_18
; %bb.17:
	flat_load_dwordx2 v[4:5], v[2:3]
	v_mul_u32_u24_e32 v6, 33, v1
	s_lshl_b32 s6, s24, 3
	v_add_lshl_u32 v8, v6, v0, 3
	s_ashr_i32 s7, s6, 31
	v_lshl_add_u64 v[6:7], s[6:7], 3, v[2:3]
	s_ashr_i32 s25, s24, 31
	s_lshl_b64 s[6:7], s[24:25], 6
	s_waitcnt vmcnt(0) lgkmcnt(0)
	ds_write_b64 v8, v[4:5]
	flat_load_dwordx2 v[4:5], v[6:7]
	v_lshl_add_u64 v[6:7], v[6:7], 0, s[6:7]
	s_waitcnt vmcnt(0) lgkmcnt(0)
	ds_write_b64 v8, v[4:5] offset:2112
	flat_load_dwordx2 v[4:5], v[6:7]
	v_lshl_add_u64 v[6:7], v[6:7], 0, s[6:7]
	s_waitcnt vmcnt(0) lgkmcnt(0)
	ds_write_b64 v8, v[4:5] offset:4224
	flat_load_dwordx2 v[4:5], v[6:7]
	s_waitcnt vmcnt(0) lgkmcnt(0)
	ds_write_b64 v8, v[4:5] offset:6336
	s_cbranch_execz .LBB46_19
	s_branch .LBB46_34
.LBB46_18:
.LBB46_19:
	v_lshlrev_b32_e32 v4, 3, v0
	v_sub_co_u32_e32 v6, vcc, v2, v4
	s_ashr_i32 s27, s26, 31
	s_nop 0
	v_subbrev_co_u32_e32 v7, vcc, 0, v3, vcc
	v_lshl_add_u64 v[6:7], s[26:27], 3, v[6:7]
	v_lshl_add_u64 v[6:7], v[6:7], 0, -8
	v_cmp_gt_i32_e32 vcc, s26, v0
	v_mov_b32_e32 v8, 0
	v_cmp_gt_i32_e64 s[6:7], s26, v1
	v_cndmask_b32_e32 v7, v7, v3, vcc
	v_cndmask_b32_e32 v6, v6, v2, vcc
	v_mov_b32_e32 v9, v8
	s_and_saveexec_b64 s[8:9], s[6:7]
	s_cbranch_execz .LBB46_21
; %bb.20:
	flat_load_dwordx2 v[8:9], v[6:7]
.LBB46_21:
	s_or_b64 exec, exec, s[8:9]
	v_mul_u32_u24_e32 v5, 33, v1
	v_add_lshl_u32 v5, v5, v0, 3
	s_waitcnt vmcnt(0) lgkmcnt(0)
	ds_write_b64 v5, v[8:9]
	v_add_u32_e32 v8, 8, v1
	v_cmp_le_i32_e64 s[6:7], s26, v8
	s_and_saveexec_b64 s[8:9], s[6:7]
	s_xor_b64 s[6:7], exec, s[8:9]
	s_cbranch_execz .LBB46_23
; %bb.22:
	v_mul_u32_u24_e32 v8, 33, v8
	v_add_lshl_u32 v10, v8, v0, 3
	v_mov_b32_e32 v8, 0
	v_mov_b32_e32 v9, v8
	ds_write_b64 v10, v[8:9]
.LBB46_23:
	s_andn2_saveexec_b64 s[6:7], s[6:7]
	s_cbranch_execz .LBB46_25
; %bb.24:
	s_lshl_b32 s8, s24, 3
	s_ashr_i32 s9, s8, 31
	v_lshl_add_u64 v[8:9], s[8:9], 3, v[6:7]
	flat_load_dwordx2 v[8:9], v[8:9]
	s_waitcnt vmcnt(0) lgkmcnt(0)
	ds_write_b64 v5, v[8:9] offset:2112
.LBB46_25:
	s_or_b64 exec, exec, s[6:7]
	v_add_u32_e32 v8, 16, v1
	v_cmp_le_i32_e64 s[6:7], s26, v8
	s_and_saveexec_b64 s[8:9], s[6:7]
	s_xor_b64 s[6:7], exec, s[8:9]
	s_cbranch_execz .LBB46_27
; %bb.26:
	v_mov_b32_e32 v8, 0
	v_mov_b32_e32 v9, v8
	ds_write_b64 v5, v[8:9] offset:4224
.LBB46_27:
	s_andn2_saveexec_b64 s[6:7], s[6:7]
	s_cbranch_execz .LBB46_29
; %bb.28:
	s_lshl_b32 s8, s24, 4
	s_ashr_i32 s9, s8, 31
	v_lshl_add_u64 v[8:9], s[8:9], 3, v[6:7]
	flat_load_dwordx2 v[8:9], v[8:9]
	s_waitcnt vmcnt(0) lgkmcnt(0)
	ds_write_b64 v5, v[8:9] offset:4224
.LBB46_29:
	s_or_b64 exec, exec, s[6:7]
	v_add_u32_e32 v8, 24, v1
	v_cmp_le_i32_e64 s[6:7], s26, v8
	s_and_saveexec_b64 s[8:9], s[6:7]
	s_xor_b64 s[6:7], exec, s[8:9]
	s_cbranch_execz .LBB46_31
; %bb.30:
	v_mov_b32_e32 v8, 0
	v_mov_b32_e32 v9, v8
	ds_write_b64 v5, v[8:9] offset:6336
                                        ; implicit-def: $vgpr5
.LBB46_31:
	s_andn2_saveexec_b64 s[6:7], s[6:7]
	s_cbranch_execz .LBB46_33
; %bb.32:
	s_mul_i32 s8, s24, 24
	s_ashr_i32 s9, s8, 31
	v_lshl_add_u64 v[8:9], s[8:9], 3, v[6:7]
	flat_load_dwordx2 v[8:9], v[8:9]
	s_waitcnt vmcnt(0) lgkmcnt(0)
	ds_write_b64 v5, v[8:9] offset:6336
.LBB46_33:
	s_or_b64 exec, exec, s[6:7]
	v_mov_b32_e32 v5, 0
	v_lshl_add_u64 v[4:5], v[6:7], 0, v[4:5]
	s_lshl_b64 s[6:7], s[26:27], 3
	v_mov_b32_e32 v6, s7
	v_subrev_co_u32_e64 v4, s[6:7], s6, v4
	s_nop 1
	v_subb_co_u32_e64 v5, s[6:7], v5, v6, s[6:7]
	v_lshl_add_u64 v[4:5], v[4:5], 0, 8
	v_cndmask_b32_e32 v3, v5, v3, vcc
	v_cndmask_b32_e32 v2, v4, v2, vcc
.LBB46_34:
	v_lshlrev_b32_e32 v8, 2, v1
	v_cmp_ge_u32_e64 s[8:9], v8, v0
	s_waitcnt lgkmcnt(0)
	s_barrier
	s_and_saveexec_b64 s[6:7], s[8:9]
	s_xor_b64 s[6:7], exec, s[6:7]
	s_cbranch_execz .LBB46_38
; %bb.35:
	v_cmp_eq_u32_e32 vcc, v8, v0
	s_and_saveexec_b64 s[10:11], vcc
	s_cbranch_execz .LBB46_37
; %bb.36:
	v_mul_u32_u24_e32 v4, 34, v0
	v_lshlrev_b32_e32 v4, 3, v4
	v_mov_b32_e32 v5, 0
	ds_write_b32 v4, v5 offset:4
.LBB46_37:
	s_or_b64 exec, exec, s[10:11]
.LBB46_38:
	s_or_saveexec_b64 s[6:7], s[6:7]
	v_mul_u32_u24_e32 v28, 33, v0
	v_add_lshl_u32 v12, v8, v28, 3
	s_xor_b64 exec, exec, s[6:7]
	s_cbranch_execz .LBB46_40
; %bb.39:
	v_mul_u32_u24_e32 v4, 0x84, v1
	v_add_lshl_u32 v4, v4, v0, 3
	ds_read_b64 v[4:5], v4
	s_waitcnt lgkmcnt(0)
	v_xor_b32_e32 v5, 0x80000000, v5
	ds_write_b64 v12, v[4:5]
.LBB46_40:
	s_or_b64 exec, exec, s[6:7]
	v_or_b32_e32 v9, 1, v8
	v_cmp_ge_u32_e64 s[10:11], v9, v0
	s_and_saveexec_b64 s[6:7], s[10:11]
	s_xor_b64 s[6:7], exec, s[6:7]
	s_cbranch_execz .LBB46_44
; %bb.41:
	v_cmp_eq_u32_e32 vcc, v9, v0
	s_and_saveexec_b64 s[12:13], vcc
	s_cbranch_execz .LBB46_43
; %bb.42:
	v_mul_u32_u24_e32 v4, 34, v0
	v_lshlrev_b32_e32 v4, 3, v4
	v_mov_b32_e32 v5, 0
	ds_write_b32 v4, v5 offset:4
.LBB46_43:
	s_or_b64 exec, exec, s[12:13]
.LBB46_44:
	s_or_saveexec_b64 s[6:7], s[6:7]
	v_mul_u32_u24_e32 v4, 33, v9
	s_xor_b64 exec, exec, s[6:7]
	s_cbranch_execz .LBB46_46
; %bb.45:
	v_add_lshl_u32 v5, v4, v0, 3
	ds_read_b64 v[6:7], v5
	s_waitcnt lgkmcnt(0)
	v_xor_b32_e32 v7, 0x80000000, v7
	ds_write_b64 v12, v[6:7] offset:8
.LBB46_46:
	s_or_b64 exec, exec, s[6:7]
	v_or_b32_e32 v10, 2, v8
	v_cmp_ge_u32_e64 s[12:13], v10, v0
	s_and_saveexec_b64 s[6:7], s[12:13]
	s_xor_b64 s[6:7], exec, s[6:7]
	s_cbranch_execz .LBB46_50
; %bb.47:
	v_cmp_eq_u32_e32 vcc, v10, v0
	s_and_saveexec_b64 s[14:15], vcc
	s_cbranch_execz .LBB46_49
; %bb.48:
	v_mul_u32_u24_e32 v5, 34, v0
	v_lshlrev_b32_e32 v5, 3, v5
	v_mov_b32_e32 v6, 0
	ds_write_b32 v5, v6 offset:4
.LBB46_49:
	s_or_b64 exec, exec, s[14:15]
.LBB46_50:
	s_andn2_saveexec_b64 s[6:7], s[6:7]
	s_cbranch_execz .LBB46_52
; %bb.51:
	v_mul_u32_u24_e32 v5, 33, v10
	v_add_lshl_u32 v5, v5, v0, 3
	ds_read_b64 v[6:7], v5
	s_waitcnt lgkmcnt(0)
	v_xor_b32_e32 v7, 0x80000000, v7
	ds_write_b64 v12, v[6:7] offset:16
.LBB46_52:
	s_or_b64 exec, exec, s[6:7]
	v_or_b32_e32 v11, 3, v8
	v_cmp_ge_u32_e64 s[14:15], v11, v0
	s_and_saveexec_b64 s[6:7], s[14:15]
	s_xor_b64 s[6:7], exec, s[6:7]
	s_cbranch_execz .LBB46_56
; %bb.53:
	v_cmp_eq_u32_e32 vcc, v11, v0
	s_and_saveexec_b64 s[16:17], vcc
	s_cbranch_execz .LBB46_55
; %bb.54:
	v_mul_u32_u24_e32 v5, 34, v0
	v_lshlrev_b32_e32 v5, 3, v5
	v_mov_b32_e32 v6, 0
	ds_write_b32 v5, v6 offset:4
.LBB46_55:
	s_or_b64 exec, exec, s[16:17]
.LBB46_56:
	s_andn2_saveexec_b64 s[6:7], s[6:7]
	s_cbranch_execz .LBB46_58
; %bb.57:
	v_mul_u32_u24_e32 v5, 33, v11
	v_add_lshl_u32 v5, v5, v0, 3
	ds_read_b64 v[6:7], v5
	s_waitcnt lgkmcnt(0)
	v_xor_b32_e32 v7, 0x80000000, v7
	ds_write_b64 v12, v[6:7] offset:24
.LBB46_58:
	s_or_b64 exec, exec, s[6:7]
	v_mul_u32_u24_e32 v5, 0x84, v1
	v_lshlrev_b32_e32 v15, 3, v8
	s_waitcnt lgkmcnt(0)
	s_barrier
	v_add_lshl_u32 v14, v5, v0, 3
	v_add_lshl_u32 v13, v4, v0, 3
	ds_read_b128 v[4:7], v15 offset:9088
	ds_read_b64 v[18:19], v14
	ds_read2_b64 v[30:33], v13 offset1:33
	ds_read_b64 v[24:25], v13 offset:528
	ds_read_b128 v[34:37], v15 offset:9104
	s_mov_b32 s16, 0
	s_waitcnt lgkmcnt(3)
	v_pk_mul_f32 v[38:39], v[4:5], v[18:19] op_sel:[0,1]
	s_mov_b32 s17, s16
	v_pk_fma_f32 v[40:41], v[4:5], v[18:19], v[38:39] op_sel:[0,0,1] op_sel_hi:[1,1,0] neg_lo:[0,0,1] neg_hi:[0,0,1]
	v_pk_fma_f32 v[4:5], v[4:5], v[18:19], v[38:39] op_sel:[0,0,1] op_sel_hi:[1,0,0]
	s_waitcnt lgkmcnt(2)
	v_pk_mul_f32 v[18:19], v[6:7], v[30:31] op_sel:[0,1]
	v_mov_b32_e32 v41, v5
	v_pk_fma_f32 v[38:39], v[6:7], v[30:31], v[18:19] op_sel:[0,0,1] op_sel_hi:[1,1,0] neg_lo:[0,0,1] neg_hi:[0,0,1]
	v_pk_fma_f32 v[6:7], v[6:7], v[30:31], v[18:19] op_sel:[0,0,1] op_sel_hi:[1,0,0]
	v_pk_add_f32 v[4:5], v[40:41], 0 op_sel_hi:[1,0]
	v_mov_b32_e32 v39, v7
	s_waitcnt lgkmcnt(0)
	v_pk_mul_f32 v[6:7], v[34:35], v[32:33] op_sel:[0,1]
	v_pk_add_f32 v[4:5], v[4:5], v[38:39]
	v_pk_fma_f32 v[18:19], v[34:35], v[32:33], v[6:7] op_sel:[0,0,1] op_sel_hi:[1,1,0] neg_lo:[0,0,1] neg_hi:[0,0,1]
	v_pk_fma_f32 v[6:7], v[34:35], v[32:33], v[6:7] op_sel:[0,0,1] op_sel_hi:[1,0,0]
	v_add_lshl_u32 v29, v1, v28, 3
	v_mov_b32_e32 v19, v7
	v_pk_mul_f32 v[6:7], v[36:37], v[24:25] op_sel:[0,1]
	v_pk_add_f32 v[4:5], v[4:5], v[18:19]
	v_pk_fma_f32 v[18:19], v[36:37], v[24:25], v[6:7] op_sel:[0,0,1] op_sel_hi:[1,1,0] neg_lo:[0,0,1] neg_hi:[0,0,1]
	v_pk_fma_f32 v[6:7], v[36:37], v[24:25], v[6:7] op_sel:[0,0,1] op_sel_hi:[1,0,0]
	v_cmp_gt_u32_e64 s[6:7], 32, v27
	v_mov_b32_e32 v19, v7
	v_pk_add_f32 v[4:5], v[4:5], v[18:19]
	v_mov_b64_e32 v[18:19], s[16:17]
	s_barrier
	ds_write_b64 v29, v[4:5]
	s_waitcnt lgkmcnt(0)
	s_barrier
	s_and_saveexec_b64 s[16:17], s[6:7]
	s_cbranch_execz .LBB46_60
; %bb.59:
	v_lshlrev_b32_e32 v18, 3, v28
	ds_read2_b64 v[4:7], v18 offset1:7
	ds_read2_b64 v[30:33], v18 offset0:1 offset1:2
	ds_read2_b64 v[34:37], v18 offset0:3 offset1:4
	s_waitcnt lgkmcnt(1)
	v_add_f32_e32 v4, v30, v4
	v_add_f32_e32 v5, v31, v5
	;; [unrolled: 1-line block ×4, first 2 shown]
	ds_read2_b64 v[30:33], v18 offset0:5 offset1:6
	s_waitcnt lgkmcnt(1)
	v_add_f32_e32 v4, v4, v34
	v_add_f32_e32 v5, v5, v35
	v_add_f32_e32 v4, v4, v36
	v_add_f32_e32 v5, v5, v37
	s_waitcnt lgkmcnt(0)
	v_add_f32_e32 v4, v4, v30
	v_add_f32_e32 v5, v5, v31
	;; [unrolled: 1-line block ×4, first 2 shown]
	v_pk_add_f32 v[18:19], v[4:5], v[6:7]
.LBB46_60:
	s_or_b64 exec, exec, s[16:17]
	s_lshl_b32 s36, s24, 5
	s_ashr_i32 s37, s36, 31
	v_lshl_add_u64 v[4:5], s[36:37], 3, v[2:3]
	s_mov_b64 s[38:39], 0x100
	v_cndmask_b32_e64 v2, 0, 1, s[20:21]
	v_cmp_ne_u32_e64 s[16:17], 1, v2
	s_andn2_b64 vcc, exec, s[20:21]
	v_lshl_add_u64 v[2:3], v[4:5], 0, s[38:39]
	s_barrier
	s_cbranch_vccnz .LBB46_62
; %bb.61:
	flat_load_dwordx2 v[6:7], v[4:5] offset:256
	v_mul_u32_u24_e32 v24, 33, v1
	s_lshl_b32 s20, s24, 3
	v_add_lshl_u32 v24, v24, v0, 3
	s_ashr_i32 s21, s20, 31
	v_lshl_add_u64 v[4:5], s[20:21], 3, v[4:5]
	s_ashr_i32 s25, s24, 31
	s_lshl_b64 s[20:21], s[24:25], 6
	s_waitcnt vmcnt(0) lgkmcnt(0)
	ds_write_b64 v24, v[6:7]
	flat_load_dwordx2 v[6:7], v[4:5] offset:256
	v_lshl_add_u64 v[4:5], v[4:5], 0, s[20:21]
	s_waitcnt vmcnt(0) lgkmcnt(0)
	ds_write_b64 v24, v[6:7] offset:2112
	flat_load_dwordx2 v[6:7], v[4:5] offset:256
	v_lshl_add_u64 v[4:5], v[4:5], 0, s[20:21]
	s_waitcnt vmcnt(0) lgkmcnt(0)
	ds_write_b64 v24, v[6:7] offset:4224
	flat_load_dwordx2 v[4:5], v[4:5] offset:256
	s_waitcnt vmcnt(0) lgkmcnt(0)
	ds_write_b64 v24, v[4:5] offset:6336
	s_cbranch_execz .LBB46_63
	s_branch .LBB46_78
.LBB46_62:
.LBB46_63:
	v_or_b32_e32 v6, 32, v0
	v_lshlrev_b32_e32 v4, 3, v6
	v_sub_co_u32_e32 v4, vcc, v2, v4
	s_ashr_i32 s27, s26, 31
	s_nop 0
	v_subbrev_co_u32_e32 v5, vcc, 0, v3, vcc
	v_lshl_add_u64 v[4:5], s[26:27], 3, v[4:5]
	v_lshl_add_u64 v[4:5], v[4:5], 0, -8
	v_cmp_gt_i32_e32 vcc, s26, v6
	s_sub_i32 s25, s26, 32
	v_mov_b32_e32 v6, 0
	v_cndmask_b32_e32 v5, v5, v3, vcc
	v_cndmask_b32_e32 v4, v4, v2, vcc
	v_cmp_gt_i32_e64 s[20:21], s25, v1
	v_mov_b32_e32 v7, v6
	s_and_saveexec_b64 s[38:39], s[20:21]
	s_cbranch_execz .LBB46_65
; %bb.64:
	flat_load_dwordx2 v[6:7], v[4:5]
.LBB46_65:
	s_or_b64 exec, exec, s[38:39]
	v_mul_u32_u24_e32 v24, 33, v1
	v_add_lshl_u32 v24, v24, v0, 3
	s_waitcnt vmcnt(0) lgkmcnt(0)
	ds_write_b64 v24, v[6:7]
	v_add_u32_e32 v6, 8, v1
	v_cmp_le_i32_e64 s[20:21], s25, v6
	s_and_saveexec_b64 s[38:39], s[20:21]
	s_xor_b64 s[20:21], exec, s[38:39]
	s_cbranch_execz .LBB46_67
; %bb.66:
	v_mul_u32_u24_e32 v6, 33, v6
	v_add_lshl_u32 v25, v6, v0, 3
	v_mov_b32_e32 v6, 0
	v_mov_b32_e32 v7, v6
	ds_write_b64 v25, v[6:7]
.LBB46_67:
	s_andn2_saveexec_b64 s[20:21], s[20:21]
	s_cbranch_execz .LBB46_69
; %bb.68:
	s_lshl_b32 s38, s24, 3
	s_ashr_i32 s39, s38, 31
	v_lshl_add_u64 v[6:7], s[38:39], 3, v[4:5]
	flat_load_dwordx2 v[6:7], v[6:7]
	s_waitcnt vmcnt(0) lgkmcnt(0)
	ds_write_b64 v24, v[6:7] offset:2112
.LBB46_69:
	s_or_b64 exec, exec, s[20:21]
	v_add_u32_e32 v6, 16, v1
	v_cmp_le_i32_e64 s[20:21], s25, v6
	s_and_saveexec_b64 s[38:39], s[20:21]
	s_xor_b64 s[20:21], exec, s[38:39]
	s_cbranch_execz .LBB46_71
; %bb.70:
	v_mul_u32_u24_e32 v6, 33, v6
	v_add_lshl_u32 v25, v6, v0, 3
	v_mov_b32_e32 v6, 0
	v_mov_b32_e32 v7, v6
	ds_write_b64 v25, v[6:7]
.LBB46_71:
	s_andn2_saveexec_b64 s[20:21], s[20:21]
	s_cbranch_execz .LBB46_73
; %bb.72:
	s_lshl_b32 s38, s24, 4
	s_ashr_i32 s39, s38, 31
	v_lshl_add_u64 v[6:7], s[38:39], 3, v[4:5]
	flat_load_dwordx2 v[6:7], v[6:7]
	s_waitcnt vmcnt(0) lgkmcnt(0)
	ds_write_b64 v24, v[6:7] offset:4224
.LBB46_73:
	s_or_b64 exec, exec, s[20:21]
	v_add_u32_e32 v6, 24, v1
	v_cmp_le_i32_e64 s[20:21], s25, v6
	s_and_saveexec_b64 s[38:39], s[20:21]
	s_xor_b64 s[20:21], exec, s[38:39]
	s_cbranch_execz .LBB46_75
; %bb.74:
	v_mov_b32_e32 v6, 0
	v_mov_b32_e32 v7, v6
	ds_write_b64 v24, v[6:7] offset:6336
                                        ; implicit-def: $vgpr24
.LBB46_75:
	s_andn2_saveexec_b64 s[20:21], s[20:21]
	s_cbranch_execz .LBB46_77
; %bb.76:
	s_mul_i32 s38, s24, 24
	s_ashr_i32 s39, s38, 31
	v_lshl_add_u64 v[6:7], s[38:39], 3, v[4:5]
	flat_load_dwordx2 v[6:7], v[6:7]
	s_waitcnt vmcnt(0) lgkmcnt(0)
	ds_write_b64 v24, v[6:7] offset:6336
.LBB46_77:
	s_or_b64 exec, exec, s[20:21]
	v_lshlrev_b32_e32 v6, 3, v0
	v_mov_b32_e32 v7, 0
	v_lshl_add_u64 v[4:5], v[4:5], 0, v[6:7]
	s_lshl_b64 s[20:21], s[26:27], 3
	v_mov_b32_e32 v6, s21
	v_subrev_co_u32_e64 v4, s[20:21], s20, v4
	s_nop 1
	v_subb_co_u32_e64 v5, s[20:21], v5, v6, s[20:21]
	s_mov_b64 s[20:21], 0x108
	s_nop 0
	v_lshl_add_u64 v[4:5], v[4:5], 0, s[20:21]
	v_cndmask_b32_e32 v3, v5, v3, vcc
	v_cndmask_b32_e32 v2, v4, v2, vcc
.LBB46_78:
	v_add_u32_e32 v6, 0x2380, v15
	s_waitcnt lgkmcnt(0)
	s_barrier
	s_and_saveexec_b64 s[20:21], s[8:9]
	s_xor_b64 s[8:9], exec, s[20:21]
	s_cbranch_execnz .LBB46_91
; %bb.79:
	s_andn2_saveexec_b64 s[8:9], s[8:9]
	s_cbranch_execnz .LBB46_94
.LBB46_80:
	s_or_b64 exec, exec, s[8:9]
	s_and_saveexec_b64 s[8:9], s[10:11]
	s_xor_b64 s[8:9], exec, s[8:9]
	s_cbranch_execnz .LBB46_95
.LBB46_81:
	s_andn2_saveexec_b64 s[8:9], s[8:9]
	s_cbranch_execnz .LBB46_98
.LBB46_82:
	s_or_b64 exec, exec, s[8:9]
	s_and_saveexec_b64 s[8:9], s[12:13]
	s_xor_b64 s[8:9], exec, s[8:9]
	s_cbranch_execnz .LBB46_99
.LBB46_83:
	s_andn2_saveexec_b64 s[8:9], s[8:9]
	s_cbranch_execnz .LBB46_102
.LBB46_84:
	s_or_b64 exec, exec, s[8:9]
	s_and_saveexec_b64 s[8:9], s[14:15]
	s_xor_b64 s[8:9], exec, s[8:9]
	s_cbranch_execnz .LBB46_103
.LBB46_85:
	s_andn2_saveexec_b64 s[8:9], s[8:9]
	s_cbranch_execz .LBB46_87
.LBB46_86:
	ds_read_b64 v[4:5], v13 offset:528
	s_waitcnt lgkmcnt(0)
	v_xor_b32_e32 v5, 0x80000000, v5
	ds_write_b64 v12, v[4:5] offset:24
.LBB46_87:
	s_or_b64 exec, exec, s[8:9]
	s_waitcnt lgkmcnt(0)
	s_barrier
	ds_read_b64 v[4:5], v14
	ds_read_b128 v[8:11], v6 offset:256
	ds_read2_b64 v[30:33], v13 offset1:33
	ds_read_b64 v[14:15], v13 offset:528
	ds_read_b128 v[34:37], v6 offset:272
	v_cmp_eq_u32_e64 s[8:9], 1, v1
	s_waitcnt lgkmcnt(3)
	v_pk_mul_f32 v[24:25], v[8:9], v[4:5] op_sel:[0,1]
	s_waitcnt lgkmcnt(0)
	v_pk_fma_f32 v[38:39], v[8:9], v[4:5], v[24:25] op_sel:[0,0,1] op_sel_hi:[1,1,0] neg_lo:[0,0,1] neg_hi:[0,0,1]
	v_pk_fma_f32 v[4:5], v[8:9], v[4:5], v[24:25] op_sel:[0,0,1] op_sel_hi:[1,0,0]
	v_pk_mul_f32 v[8:9], v[10:11], v[30:31] op_sel:[0,1]
	v_mov_b32_e32 v39, v5
	v_pk_fma_f32 v[24:25], v[10:11], v[30:31], v[8:9] op_sel:[0,0,1] op_sel_hi:[1,1,0] neg_lo:[0,0,1] neg_hi:[0,0,1]
	v_pk_fma_f32 v[8:9], v[10:11], v[30:31], v[8:9] op_sel:[0,0,1] op_sel_hi:[1,0,0]
	v_pk_add_f32 v[4:5], v[38:39], 0 op_sel_hi:[1,0]
	v_mov_b32_e32 v25, v9
	v_pk_mul_f32 v[8:9], v[34:35], v[32:33] op_sel:[0,1]
	v_pk_add_f32 v[4:5], v[4:5], v[24:25]
	v_pk_fma_f32 v[10:11], v[34:35], v[32:33], v[8:9] op_sel:[0,0,1] op_sel_hi:[1,1,0] neg_lo:[0,0,1] neg_hi:[0,0,1]
	v_pk_fma_f32 v[8:9], v[34:35], v[32:33], v[8:9] op_sel:[0,0,1] op_sel_hi:[1,0,0]
	s_barrier
	v_mov_b32_e32 v11, v9
	v_pk_mul_f32 v[8:9], v[36:37], v[14:15] op_sel:[0,1]
	v_pk_add_f32 v[4:5], v[4:5], v[10:11]
	v_pk_fma_f32 v[10:11], v[36:37], v[14:15], v[8:9] op_sel:[0,0,1] op_sel_hi:[1,1,0] neg_lo:[0,0,1] neg_hi:[0,0,1]
	v_pk_fma_f32 v[8:9], v[36:37], v[14:15], v[8:9] op_sel:[0,0,1] op_sel_hi:[1,0,0]
	s_nop 0
	v_mov_b32_e32 v11, v9
	v_pk_add_f32 v[4:5], v[4:5], v[10:11]
	ds_write_b64 v29, v[4:5]
	s_waitcnt lgkmcnt(0)
	s_barrier
	s_and_saveexec_b64 s[10:11], s[8:9]
	s_cbranch_execz .LBB46_89
; %bb.88:
	v_lshlrev_b32_e32 v4, 3, v28
	ds_read2_b64 v[8:11], v4 offset1:7
	ds_read2_b64 v[30:33], v4 offset0:1 offset1:2
	ds_read2_b64 v[34:37], v4 offset0:3 offset1:4
	s_waitcnt lgkmcnt(1)
	v_add_f32_e32 v5, v30, v8
	v_add_f32_e32 v7, v31, v9
	;; [unrolled: 1-line block ×4, first 2 shown]
	ds_read2_b64 v[30:33], v4 offset0:5 offset1:6
	s_waitcnt lgkmcnt(1)
	v_add_f32_e32 v4, v5, v34
	v_add_f32_e32 v5, v7, v35
	;; [unrolled: 1-line block ×4, first 2 shown]
	s_waitcnt lgkmcnt(0)
	v_add_f32_e32 v4, v4, v30
	v_add_f32_e32 v5, v5, v31
	v_pk_add_f32 v[4:5], v[4:5], v[32:33]
	s_nop 0
	v_pk_add_f32 v[18:19], v[4:5], v[10:11]
.LBB46_89:
	s_or_b64 exec, exec, s[10:11]
	s_lshl_b64 s[10:11], s[36:37], 3
	v_mov_b32_e32 v4, s11
	v_subrev_co_u32_e64 v24, s[10:11], s10, v2
	s_and_b64 vcc, exec, s[16:17]
	s_nop 0
	v_subb_co_u32_e64 v25, s[10:11], v3, v4, s[10:11]
	s_barrier
	s_cbranch_vccnz .LBB46_106
; %bb.90:
	flat_load_dwordx2 v[2:3], v[24:25]
	v_mad_u32_u24 v7, v1, 33, v0
	s_lshl_b32 s10, s24, 3
	v_lshlrev_b32_e32 v13, 3, v7
	s_ashr_i32 s11, s10, 31
	v_lshl_add_u64 v[4:5], s[10:11], 3, v[24:25]
	s_ashr_i32 s25, s24, 31
	s_lshl_b64 s[10:11], s[24:25], 6
	v_add_u32_e32 v8, 24, v1
	v_add_u32_e32 v9, 0x318, v7
	s_waitcnt vmcnt(0) lgkmcnt(0)
	ds_write_b64 v13, v[2:3]
	flat_load_dwordx2 v[2:3], v[4:5]
	v_lshl_add_u64 v[4:5], v[4:5], 0, s[10:11]
	s_waitcnt vmcnt(0) lgkmcnt(0)
	ds_write_b64 v13, v[2:3] offset:2112
	flat_load_dwordx2 v[2:3], v[4:5]
	v_lshl_add_u64 v[4:5], v[4:5], 0, s[10:11]
	s_waitcnt vmcnt(0) lgkmcnt(0)
	ds_write_b64 v13, v[2:3] offset:4224
	flat_load_dwordx2 v[10:11], v[4:5]
	v_add_u32_e32 v4, 8, v1
	v_add_u32_e32 v5, 16, v1
	;; [unrolled: 1-line block ×4, first 2 shown]
	s_waitcnt vmcnt(0) lgkmcnt(0)
	ds_write_b64 v13, v[10:11] offset:6336
	s_cbranch_execz .LBB46_107
	s_branch .LBB46_122
.LBB46_91:
	v_cmp_eq_u32_e32 vcc, v8, v0
	s_and_saveexec_b64 s[20:21], vcc
	s_cbranch_execz .LBB46_93
; %bb.92:
	v_mul_u32_u24_e32 v4, 34, v0
	v_lshlrev_b32_e32 v4, 3, v4
	v_mov_b32_e32 v5, 0
	ds_write_b32 v4, v5 offset:4
.LBB46_93:
	s_or_b64 exec, exec, s[20:21]
	s_andn2_saveexec_b64 s[8:9], s[8:9]
	s_cbranch_execz .LBB46_80
.LBB46_94:
	ds_read_b64 v[4:5], v14
	s_waitcnt lgkmcnt(0)
	v_xor_b32_e32 v5, 0x80000000, v5
	ds_write_b64 v12, v[4:5]
	s_or_b64 exec, exec, s[8:9]
	s_and_saveexec_b64 s[8:9], s[10:11]
	s_xor_b64 s[8:9], exec, s[8:9]
	s_cbranch_execz .LBB46_81
.LBB46_95:
	v_cmp_eq_u32_e32 vcc, v9, v0
	s_and_saveexec_b64 s[10:11], vcc
	s_cbranch_execz .LBB46_97
; %bb.96:
	v_mul_u32_u24_e32 v4, 34, v0
	v_lshlrev_b32_e32 v4, 3, v4
	v_mov_b32_e32 v5, 0
	ds_write_b32 v4, v5 offset:4
.LBB46_97:
	s_or_b64 exec, exec, s[10:11]
	s_andn2_saveexec_b64 s[8:9], s[8:9]
	s_cbranch_execz .LBB46_82
.LBB46_98:
	ds_read_b64 v[4:5], v13
	s_waitcnt lgkmcnt(0)
	v_xor_b32_e32 v5, 0x80000000, v5
	ds_write_b64 v12, v[4:5] offset:8
	s_or_b64 exec, exec, s[8:9]
	s_and_saveexec_b64 s[8:9], s[12:13]
	s_xor_b64 s[8:9], exec, s[8:9]
	s_cbranch_execz .LBB46_83
.LBB46_99:
	v_cmp_eq_u32_e32 vcc, v10, v0
	s_and_saveexec_b64 s[10:11], vcc
	s_cbranch_execz .LBB46_101
; %bb.100:
	v_mul_u32_u24_e32 v4, 34, v0
	v_lshlrev_b32_e32 v4, 3, v4
	v_mov_b32_e32 v5, 0
	ds_write_b32 v4, v5 offset:4
.LBB46_101:
	s_or_b64 exec, exec, s[10:11]
	s_andn2_saveexec_b64 s[8:9], s[8:9]
	s_cbranch_execz .LBB46_84
.LBB46_102:
	ds_read_b64 v[4:5], v13 offset:264
	s_waitcnt lgkmcnt(0)
	v_xor_b32_e32 v5, 0x80000000, v5
	ds_write_b64 v12, v[4:5] offset:16
	s_or_b64 exec, exec, s[8:9]
	s_and_saveexec_b64 s[8:9], s[14:15]
	s_xor_b64 s[8:9], exec, s[8:9]
	s_cbranch_execz .LBB46_85
.LBB46_103:
	v_cmp_eq_u32_e32 vcc, v11, v0
	s_and_saveexec_b64 s[10:11], vcc
	s_cbranch_execz .LBB46_105
; %bb.104:
	v_mul_u32_u24_e32 v4, 34, v0
	v_lshlrev_b32_e32 v4, 3, v4
	v_mov_b32_e32 v5, 0
	ds_write_b32 v4, v5 offset:4
.LBB46_105:
	s_or_b64 exec, exec, s[10:11]
	s_andn2_saveexec_b64 s[8:9], s[8:9]
	s_cbranch_execnz .LBB46_86
	s_branch .LBB46_87
.LBB46_106:
                                        ; implicit-def: $vgpr7
                                        ; implicit-def: $vgpr4
                                        ; implicit-def: $vgpr2
                                        ; implicit-def: $vgpr5
                                        ; implicit-def: $vgpr3
                                        ; implicit-def: $vgpr8
                                        ; implicit-def: $vgpr9
.LBB46_107:
	v_or_b32_e32 v4, 32, v0
	v_lshlrev_b32_e32 v2, 3, v4
	v_sub_co_u32_e32 v2, vcc, v24, v2
	s_ashr_i32 s27, s26, 31
	s_nop 0
	v_subbrev_co_u32_e32 v3, vcc, 0, v25, vcc
	v_lshl_add_u64 v[2:3], s[26:27], 3, v[2:3]
	v_lshl_add_u64 v[2:3], v[2:3], 0, -8
	v_cmp_gt_i32_e32 vcc, s26, v4
	v_mov_b32_e32 v4, 0
	v_cmp_gt_i32_e64 s[10:11], s26, v1
	v_cndmask_b32_e32 v3, v3, v25, vcc
	v_cndmask_b32_e32 v2, v2, v24, vcc
	v_mov_b32_e32 v5, v4
	s_and_saveexec_b64 s[12:13], s[10:11]
	s_cbranch_execz .LBB46_109
; %bb.108:
	flat_load_dwordx2 v[4:5], v[2:3]
.LBB46_109:
	s_or_b64 exec, exec, s[12:13]
	v_mad_u32_u24 v7, v1, 33, v0
	v_lshlrev_b32_e32 v10, 3, v7
	s_waitcnt vmcnt(0) lgkmcnt(0)
	ds_write_b64 v10, v[4:5]
	v_add_u32_e32 v4, 8, v1
	v_cmp_le_i32_e64 s[10:11], s26, v4
	s_and_saveexec_b64 s[12:13], s[10:11]
	s_xor_b64 s[10:11], exec, s[12:13]
	s_cbranch_execz .LBB46_111
; %bb.110:
	v_mul_u32_u24_e32 v5, 33, v4
	v_mov_b32_e32 v8, 0
	v_add_lshl_u32 v5, v5, v0, 3
	v_mov_b32_e32 v9, v8
	ds_write_b64 v5, v[8:9]
.LBB46_111:
	s_andn2_saveexec_b64 s[10:11], s[10:11]
	s_cbranch_execz .LBB46_113
; %bb.112:
	s_lshl_b32 s12, s24, 3
	s_ashr_i32 s13, s12, 31
	v_lshl_add_u64 v[8:9], s[12:13], 3, v[2:3]
	flat_load_dwordx2 v[8:9], v[8:9]
	s_waitcnt vmcnt(0) lgkmcnt(0)
	ds_write_b64 v10, v[8:9] offset:2112
.LBB46_113:
	s_or_b64 exec, exec, s[10:11]
	v_add_u32_e32 v5, 16, v1
	v_cmp_le_i32_e64 s[10:11], s26, v5
	s_and_saveexec_b64 s[12:13], s[10:11]
	s_xor_b64 s[10:11], exec, s[12:13]
	s_cbranch_execz .LBB46_115
; %bb.114:
	v_mul_u32_u24_e32 v8, 33, v5
	v_add_lshl_u32 v11, v8, v0, 3
	v_mov_b32_e32 v8, 0
	v_mov_b32_e32 v9, v8
	ds_write_b64 v11, v[8:9]
.LBB46_115:
	s_andn2_saveexec_b64 s[10:11], s[10:11]
	s_cbranch_execz .LBB46_117
; %bb.116:
	s_lshl_b32 s12, s24, 4
	s_ashr_i32 s13, s12, 31
	v_lshl_add_u64 v[8:9], s[12:13], 3, v[2:3]
	flat_load_dwordx2 v[8:9], v[8:9]
	s_waitcnt vmcnt(0) lgkmcnt(0)
	ds_write_b64 v10, v[8:9] offset:4224
.LBB46_117:
	s_or_b64 exec, exec, s[10:11]
	v_add_u32_e32 v8, 24, v1
	v_cmp_le_i32_e64 s[10:11], s26, v8
                                        ; implicit-def: $vgpr9
	s_and_saveexec_b64 s[12:13], s[10:11]
	s_xor_b64 s[10:11], exec, s[12:13]
	s_cbranch_execz .LBB46_119
; %bb.118:
	v_mad_u32_u24 v9, v8, 33, v0
	v_mov_b32_e32 v10, 0
	v_lshlrev_b32_e32 v13, 3, v9
	v_mov_b32_e32 v11, v10
	ds_write_b64 v13, v[10:11]
                                        ; implicit-def: $vgpr10
.LBB46_119:
	s_andn2_saveexec_b64 s[10:11], s[10:11]
	s_cbranch_execz .LBB46_121
; %bb.120:
	s_mul_i32 s12, s24, 24
	s_ashr_i32 s13, s12, 31
	v_lshl_add_u64 v[14:15], s[12:13], 3, v[2:3]
	flat_load_dwordx2 v[14:15], v[14:15]
	v_add_u32_e32 v9, 0x318, v7
	s_waitcnt vmcnt(0) lgkmcnt(0)
	ds_write_b64 v10, v[14:15] offset:6336
.LBB46_121:
	s_or_b64 exec, exec, s[10:11]
	v_lshlrev_b32_e32 v10, 3, v0
	v_mov_b32_e32 v11, 0
	v_lshl_add_u64 v[2:3], v[2:3], 0, v[10:11]
	s_lshl_b64 s[10:11], s[26:27], 3
	v_mov_b32_e32 v0, s11
	v_subrev_co_u32_e64 v2, s[10:11], s10, v2
	s_nop 1
	v_subb_co_u32_e64 v3, s[10:11], v3, v0, s[10:11]
	s_mov_b64 s[10:11], 0x108
	s_nop 0
	v_lshl_add_u64 v[2:3], v[2:3], 0, s[10:11]
	v_cndmask_b32_e32 v25, v3, v25, vcc
	v_cndmask_b32_e32 v24, v2, v24, vcc
	v_add_u32_e32 v2, 0x108, v7
	v_add_u32_e32 v3, 0x210, v7
.LBB46_122:
	v_lshlrev_b32_e32 v0, 3, v7
	s_waitcnt lgkmcnt(0)
	s_barrier
	ds_read_b64 v[30:31], v0
	v_lshlrev_b32_e32 v7, 3, v1
	v_lshlrev_b32_e32 v13, 3, v2
	;; [unrolled: 1-line block ×7, first 2 shown]
	ds_read_b64 v[32:33], v0
	ds_read2_b64 v[8:11], v12 offset1:1
	ds_read2_b64 v[0:3], v12 offset0:2 offset1:3
	ds_read_b64 v[34:35], v4 offset:9088
	ds_read_b64 v[36:37], v13
	ds_read_b64 v[38:39], v7 offset:9088
	ds_read_b128 v[12:15], v6 offset:256
	ds_read_b128 v[4:7], v6 offset:272
	ds_read_b64 v[40:41], v40 offset:9088
	ds_read_b64 v[42:43], v42
	ds_read_b64 v[44:45], v44 offset:9088
	s_waitcnt lgkmcnt(5)
	v_pk_mul_f32 v[46:47], v[38:39], v[30:31] op_sel:[0,1]
	s_waitcnt lgkmcnt(0)
	v_pk_fma_f32 v[48:49], v[38:39], v[30:31], v[46:47] op_sel:[0,0,1] op_sel_hi:[1,1,0] neg_lo:[0,0,1] neg_hi:[0,0,1]
	v_pk_fma_f32 v[30:31], v[38:39], v[30:31], v[46:47] op_sel:[0,0,1] op_sel_hi:[1,0,0]
	v_pk_mul_f32 v[38:39], v[34:35], v[36:37] op_sel:[0,1]
	v_mov_b32_e32 v49, v31
	v_pk_fma_f32 v[46:47], v[34:35], v[36:37], v[38:39] op_sel:[0,0,1] op_sel_hi:[1,1,0] neg_lo:[0,0,1] neg_hi:[0,0,1]
	v_pk_fma_f32 v[34:35], v[34:35], v[36:37], v[38:39] op_sel:[0,0,1] op_sel_hi:[1,0,0]
	v_pk_add_f32 v[30:31], v[48:49], 0 op_sel_hi:[1,0]
	v_mov_b32_e32 v47, v35
	v_pk_mul_f32 v[34:35], v[44:45], v[32:33] op_sel:[0,1]
	v_pk_add_f32 v[30:31], v[30:31], v[46:47]
	v_pk_fma_f32 v[36:37], v[44:45], v[32:33], v[34:35] op_sel:[0,0,1] op_sel_hi:[1,1,0] neg_lo:[0,0,1] neg_hi:[0,0,1]
	v_pk_fma_f32 v[32:33], v[44:45], v[32:33], v[34:35] op_sel:[0,0,1] op_sel_hi:[1,0,0]
	s_barrier
	v_mov_b32_e32 v37, v33
	v_pk_mul_f32 v[32:33], v[40:41], v[42:43] op_sel:[0,1]
	v_pk_add_f32 v[30:31], v[30:31], v[36:37]
	v_pk_fma_f32 v[34:35], v[40:41], v[42:43], v[32:33] op_sel:[0,0,1] op_sel_hi:[1,1,0] neg_lo:[0,0,1] neg_hi:[0,0,1]
	v_pk_fma_f32 v[32:33], v[40:41], v[42:43], v[32:33] op_sel:[0,0,1] op_sel_hi:[1,0,0]
	s_nop 0
	v_mov_b32_e32 v35, v33
	v_pk_add_f32 v[30:31], v[30:31], v[34:35]
	ds_write_b64 v29, v[30:31]
	s_waitcnt lgkmcnt(0)
	s_barrier
	s_and_saveexec_b64 s[10:11], s[8:9]
	s_cbranch_execz .LBB46_124
; %bb.123:
	v_lshlrev_b32_e32 v42, 3, v28
	ds_read2_b64 v[30:33], v42 offset1:1
	ds_read2_b64 v[34:37], v42 offset0:2 offset1:3
	ds_read2_b64 v[38:41], v42 offset0:4 offset1:5
	s_waitcnt lgkmcnt(2)
	v_pk_add_f32 v[18:19], v[18:19], v[30:31]
	s_nop 0
	v_pk_add_f32 v[18:19], v[18:19], v[32:33]
	ds_read2_b64 v[30:33], v42 offset0:6 offset1:7
	s_waitcnt lgkmcnt(2)
	v_pk_add_f32 v[18:19], v[18:19], v[34:35]
	s_nop 0
	v_pk_add_f32 v[18:19], v[18:19], v[36:37]
	s_waitcnt lgkmcnt(1)
	v_pk_add_f32 v[18:19], v[18:19], v[38:39]
	s_nop 0
	v_pk_add_f32 v[18:19], v[18:19], v[40:41]
	;; [unrolled: 4-line block ×3, first 2 shown]
.LBB46_124:
	s_or_b64 exec, exec, s[10:11]
	v_pk_mul_f32 v[30:31], v[8:9], v[12:13] op_sel:[1,0]
	s_nop 0
	v_pk_fma_f32 v[32:33], v[8:9], v[12:13], v[30:31] op_sel:[0,0,1] op_sel_hi:[1,1,0]
	v_pk_fma_f32 v[8:9], v[8:9], v[12:13], v[30:31] op_sel:[0,0,1] op_sel_hi:[0,1,0] neg_lo:[0,0,1] neg_hi:[0,0,1]
	v_mov_b32_e32 v12, v11
	v_pk_mul_f32 v[12:13], v[12:13], v[14:15] op_sel_hi:[0,1]
	v_pk_fma_f32 v[30:31], v[10:11], v[14:15], v[12:13] op_sel:[0,0,1] op_sel_hi:[1,1,0]
	v_pk_fma_f32 v[10:11], v[10:11], v[14:15], v[12:13] op_sel:[0,0,1] op_sel_hi:[0,1,0] neg_lo:[0,0,1] neg_hi:[0,0,1]
	v_mov_b32_e32 v33, v9
	v_mov_b32_e32 v31, v11
	v_pk_mul_f32 v[10:11], v[0:1], v[4:5] op_sel:[1,0]
	v_pk_add_f32 v[8:9], v[32:33], 0 op_sel_hi:[1,0]
	v_pk_fma_f32 v[12:13], v[0:1], v[4:5], v[10:11] op_sel:[0,0,1] op_sel_hi:[1,1,0]
	v_pk_fma_f32 v[0:1], v[0:1], v[4:5], v[10:11] op_sel:[0,0,1] op_sel_hi:[0,1,0] neg_lo:[0,0,1] neg_hi:[0,0,1]
	v_mov_b32_e32 v4, v3
	v_pk_add_f32 v[8:9], v[8:9], v[30:31]
	v_mov_b32_e32 v13, v1
	v_pk_mul_f32 v[4:5], v[4:5], v[6:7] op_sel_hi:[0,1]
	v_pk_add_f32 v[0:1], v[8:9], v[12:13]
	v_pk_fma_f32 v[8:9], v[2:3], v[6:7], v[4:5] op_sel:[0,0,1] op_sel_hi:[1,1,0]
	v_pk_fma_f32 v[2:3], v[2:3], v[6:7], v[4:5] op_sel:[0,0,1] op_sel_hi:[0,1,0] neg_lo:[0,0,1] neg_hi:[0,0,1]
	v_mov_b32_e32 v9, v3
	v_pk_add_f32 v[0:1], v[0:1], v[8:9]
	s_barrier
	ds_write_b64 v29, v[0:1]
	s_waitcnt lgkmcnt(0)
	s_barrier
	s_and_saveexec_b64 s[8:9], s[6:7]
	s_cbranch_execz .LBB46_126
; %bb.125:
	v_lshlrev_b32_e32 v14, 3, v28
	ds_read2_b64 v[0:3], v14 offset1:1
	ds_read2_b64 v[4:7], v14 offset0:2 offset1:3
	ds_read2_b64 v[8:11], v14 offset0:4 offset1:5
	s_waitcnt lgkmcnt(2)
	v_pk_add_f32 v[0:1], v[18:19], v[0:1]
	s_nop 0
	v_pk_add_f32 v[12:13], v[0:1], v[2:3]
	ds_read2_b64 v[0:3], v14 offset0:6 offset1:7
	s_waitcnt lgkmcnt(2)
	v_pk_add_f32 v[4:5], v[12:13], v[4:5]
	s_nop 0
	v_pk_add_f32 v[4:5], v[4:5], v[6:7]
	s_waitcnt lgkmcnt(1)
	v_pk_add_f32 v[4:5], v[4:5], v[8:9]
	s_nop 0
	v_pk_add_f32 v[4:5], v[4:5], v[10:11]
	;; [unrolled: 4-line block ×3, first 2 shown]
.LBB46_126:
	s_or_b64 exec, exec, s[8:9]
	s_load_dwordx2 s[0:1], s[0:1], 0x68
	s_mul_hi_u32 s6, s23, s22
	s_mul_i32 s40, s40, s22
	s_add_i32 s6, s6, s40
	s_mul_i32 s8, s23, s22
	s_mul_i32 s6, s6, s33
	s_mul_hi_u32 s7, s8, s33
	s_add_i32 s7, s7, s6
	s_mul_i32 s6, s8, s33
	s_lshl_b64 s[6:7], s[6:7], 3
	s_waitcnt lgkmcnt(0)
	s_add_u32 s6, s0, s6
	s_mul_i32 s0, s2, s23
	s_addc_u32 s7, s1, s7
	s_ashr_i32 s1, s0, 31
	s_lshl_b64 s[0:1], s[0:1], 3
	s_add_u32 s6, s6, s0
	v_cmp_le_i32_e32 vcc, s26, v26
	s_addc_u32 s7, s7, s1
	s_and_b64 vcc, s[34:35], vcc
	s_cmp_lt_i32 s2, 1
	v_lshlrev_b32_e32 v74, 3, v26
	s_barrier
	s_cbranch_scc1 .LBB46_133
; %bb.127:
	s_mul_i32 s0, s28, s3
	s_ashr_i32 s1, s0, 31
	s_lshl_b64 s[0:1], s[0:1], 3
	v_mov_b32_e32 v0, s1
	v_subrev_co_u32_e64 v20, s[0:1], s0, v20
	s_ashr_i32 s27, s26, 31
	s_nop 0
	v_subb_co_u32_e64 v21, s[0:1], v21, v0, s[0:1]
	v_mov_b32_e32 v0, s31
	v_subrev_co_u32_e64 v2, s[0:1], s30, v24
	v_and_b32_e32 v4, 15, v26
	s_nop 0
	v_subb_co_u32_e64 v3, s[0:1], v25, v0, s[0:1]
	v_lshlrev_b64 v[0:1], 3, v[22:23]
	v_sub_co_u32_e64 v0, s[0:1], v2, v0
	v_mul_lo_u32 v2, v17, s24
	s_nop 0
	v_subb_co_u32_e64 v1, s[0:1], v3, v1, s[0:1]
	v_lshl_add_u32 v2, v2, 2, v26
	v_ashrrev_i32_e32 v3, 31, v2
	s_movk_i32 s0, 0xff00
	v_lshl_add_u64 v[0:1], v[2:3], 3, v[0:1]
	s_mov_b32 s1, -1
	v_lshl_add_u64 v[0:1], v[0:1], 0, s[0:1]
	v_sub_co_u32_e64 v2, s[0:1], v0, v74
	s_movk_i32 s8, 0x218
	s_nop 0
	v_subbrev_co_u32_e64 v3, s[0:1], 0, v1, s[0:1]
	v_lshl_add_u64 v[2:3], s[26:27], 3, v[2:3]
	v_lshl_add_u64 v[2:3], v[2:3], 0, -8
	v_cndmask_b32_e32 v24, v0, v2, vcc
	v_and_b32_e32 v0, 48, v26
	v_cndmask_b32_e32 v25, v1, v3, vcc
	v_lshlrev_b32_e32 v1, 3, v0
	v_lshrrev_b32_e32 v5, 4, v27
	v_mad_u32_u24 v77, v4, s8, v1
	v_or_b32_e32 v1, 0x78, v74
	v_mad_u32_u24 v78, v4, s8, v1
	v_lshlrev_b32_e32 v1, 5, v5
	v_mad_u32_u24 v79, v4, s8, v1
	v_mov_b32_e32 v1, 0x2180
	s_ashr_i32 s25, s24, 31
	v_lshl_add_u32 v80, v17, 5, v1
	s_movk_i32 s9, 0x860
	v_lshlrev_b32_e32 v1, 3, v5
	v_mov_b32_e32 v23, 0
	s_lshl_b32 s3, s3, 6
	v_add_u32_e32 v75, 0x2180, v74
	v_add_u32_e32 v76, 0x2380, v74
	v_cmp_gt_u32_e64 s[0:1], 64, v27
	v_mad_u32_u24 v81, v17, s9, v74
	v_mad_u32_u24 v82, v4, s8, v1
	s_lshl_b64 s[8:9], s[24:25], 3
	s_lshl_b64 s[10:11], s[24:25], 9
	;; [unrolled: 1-line block ×3, first 2 shown]
	s_mul_hi_i32 s15, s24, 24
	s_mul_i32 s14, s24, 24
	s_mul_hi_i32 s17, s24, 0x90
	s_mul_i32 s16, s24, 0x90
	;; [unrolled: 2-line block ×10, first 2 shown]
	s_lshl_b64 s[40:41], s[24:25], 8
	s_mul_hi_i32 s43, s24, 0x88
	s_mul_i32 s42, s24, 0x88
	s_lshl_b64 s[24:25], s[24:25], 7
	v_or_b32_e32 v22, v0, v4
	s_mov_b32 s44, 0
	s_branch .LBB46_129
.LBB46_128:                             ;   in Loop: Header=BB46_129 Depth=1
	s_or_b64 exec, exec, s[46:47]
	v_mul_f32_e32 v83, v26, v0
	v_fma_f32 v83, -v27, v1, v83
	v_pk_mul_f32 v[0:1], v[26:27], v[0:1] op_sel:[1,0] op_sel_hi:[0,1]
	v_add_f32_e32 v0, v0, v1
	v_add_f32_e32 v19, v19, v0
	v_mul_f32_e32 v0, v28, v2
	v_add_f32_e32 v18, v18, v83
	v_fma_f32 v0, -v29, v3, v0
	v_add_f32_e32 v18, v18, v0
	v_pk_mul_f32 v[0:1], v[28:29], v[2:3] op_sel:[1,0] op_sel_hi:[0,1]
	v_add_f32_e32 v0, v0, v1
	v_add_f32_e32 v2, v19, v0
	v_mul_f32_e32 v0, v30, v34
	v_fma_f32 v0, -v31, v35, v0
	v_add_f32_e32 v3, v18, v0
	v_pk_mul_f32 v[0:1], v[30:31], v[34:35] op_sel:[1,0] op_sel_hi:[0,1]
	v_add_f32_e32 v0, v0, v1
	v_add_f32_e32 v2, v2, v0
	v_mul_f32_e32 v0, v32, v36
	;; [unrolled: 6-line block ×4, first 2 shown]
	v_fma_f32 v0, -v43, v7, v0
	v_add_f32_e32 v0, v3, v0
	v_pk_mul_f32 v[2:3], v[42:43], v[6:7] op_sel:[1,0] op_sel_hi:[0,1]
	v_add_f32_e32 v2, v2, v3
	v_add_f32_e32 v1, v1, v2
	v_mov_b32_e32 v2, v47
	v_pk_mul_f32 v[2:3], v[40:41], v[2:3] op_sel:[1,0] op_sel_hi:[0,1]
	v_pk_fma_f32 v[2:3], v[40:41], v[46:47], v[2:3] neg_lo:[0,0,1] neg_hi:[0,0,1]
	v_pk_mul_f32 v[4:5], v[40:41], v[46:47] op_sel:[1,0] op_sel_hi:[0,1]
	v_mov_b32_e32 v3, v4
	v_pk_fma_f32 v[4:5], v[40:41], v[46:47], v[2:3] op_sel:[1,0,0] op_sel_hi:[0,1,1]
	v_pk_mul_f32 v[18:19], v[44:45], v[50:51] op_sel:[1,0] op_sel_hi:[0,1]
	v_mov_b32_e32 v4, v51
	v_mov_b32_e32 v3, v18
	v_pk_mul_f32 v[6:7], v[44:45], v[4:5] op_sel:[1,0] op_sel_hi:[0,1]
	v_pk_fma_f32 v[18:19], v[44:45], v[50:51], v[2:3] op_sel:[1,0,0] op_sel_hi:[0,1,1]
	v_mov_b32_e32 v3, v5
	v_pk_fma_f32 v[6:7], v[44:45], v[50:51], v[6:7] neg_lo:[0,0,1] neg_hi:[0,0,1]
	v_pk_add_f32 v[0:1], v[0:1], v[2:3]
	v_pk_mul_f32 v[2:3], v[54:55], v[8:9] op_sel:[1,1] op_sel_hi:[0,1]
	v_mov_b32_e32 v4, v11
	v_mov_b32_e32 v7, v19
	v_pk_mul_f32 v[4:5], v[56:57], v[4:5] op_sel_hi:[1,0]
	v_pk_fma_f32 v[26:27], v[54:55], v[8:9], v[2:3] neg_lo:[0,0,1] neg_hi:[0,0,1]
	v_pk_fma_f32 v[2:3], v[54:55], v[8:9], v[2:3] op_sel_hi:[1,0,1]
	v_pk_add_f32 v[0:1], v[0:1], v[6:7]
	v_mov_b32_e32 v27, v3
	v_pk_fma_f32 v[2:3], v[56:57], v[10:11], v[4:5] op_sel:[0,0,1] op_sel_hi:[1,1,0] neg_lo:[0,0,1] neg_hi:[0,0,1]
	v_pk_fma_f32 v[4:5], v[56:57], v[10:11], v[4:5] op_sel:[0,0,1] op_sel_hi:[1,0,0]
	v_pk_mul_f32 v[6:7], v[52:53], v[12:13] op_sel:[0,1]
	v_pk_add_f32 v[0:1], v[0:1], v[26:27]
	v_mov_b32_e32 v3, v5
	v_mov_b32_e32 v18, v15
	v_pk_add_f32 v[0:1], v[0:1], v[2:3]
	v_pk_fma_f32 v[2:3], v[52:53], v[12:13], v[6:7] op_sel:[0,0,1] op_sel_hi:[1,1,0] neg_lo:[0,0,1] neg_hi:[0,0,1]
	v_pk_fma_f32 v[4:5], v[52:53], v[12:13], v[6:7] op_sel:[0,0,1] op_sel_hi:[1,0,0]
	v_pk_mul_f32 v[18:19], v[48:49], v[18:19] op_sel_hi:[1,0]
	v_mov_b32_e32 v3, v5
	v_pk_add_f32 v[0:1], v[0:1], v[2:3]
	v_pk_fma_f32 v[2:3], v[48:49], v[14:15], v[18:19] op_sel:[0,0,1] op_sel_hi:[1,1,0] neg_lo:[0,0,1] neg_hi:[0,0,1]
	v_pk_fma_f32 v[4:5], v[48:49], v[14:15], v[18:19] op_sel:[0,0,1] op_sel_hi:[1,0,0]
	v_pk_mul_f32 v[6:7], v[62:63], v[70:71] op_sel:[0,1]
	v_mov_b32_e32 v3, v5
	v_pk_add_f32 v[0:1], v[0:1], v[2:3]
	v_pk_mul_f32 v[2:3], v[60:61], v[66:67] op_sel:[0,1]
	v_pk_mul_f32 v[4:5], v[64:65], v[72:73] op_sel:[0,1]
	v_pk_fma_f32 v[10:11], v[60:61], v[66:67], v[2:3] op_sel:[0,0,1] op_sel_hi:[1,1,0] neg_lo:[0,0,1] neg_hi:[0,0,1]
	v_pk_fma_f32 v[2:3], v[60:61], v[66:67], v[2:3] op_sel:[0,0,1] op_sel_hi:[1,0,0]
	v_pk_mul_f32 v[8:9], v[58:59], v[68:69] op_sel:[0,1]
	v_mov_b32_e32 v11, v3
	v_pk_fma_f32 v[2:3], v[64:65], v[72:73], v[4:5] op_sel:[0,0,1] op_sel_hi:[1,1,0] neg_lo:[0,0,1] neg_hi:[0,0,1]
	v_pk_fma_f32 v[4:5], v[64:65], v[72:73], v[4:5] op_sel:[0,0,1] op_sel_hi:[1,0,0]
	v_pk_add_f32 v[0:1], v[0:1], v[10:11]
	v_mov_b32_e32 v3, v5
	v_pk_fma_f32 v[4:5], v[62:63], v[70:71], v[6:7] op_sel:[0,0,1] op_sel_hi:[1,1,0] neg_lo:[0,0,1] neg_hi:[0,0,1]
	v_pk_fma_f32 v[6:7], v[62:63], v[70:71], v[6:7] op_sel:[0,0,1] op_sel_hi:[1,0,0]
	v_pk_add_f32 v[0:1], v[0:1], v[2:3]
	;; [unrolled: 4-line block ×3, first 2 shown]
	v_mov_b32_e32 v7, v9
	s_add_i32 s2, s2, -1
	s_add_i32 s44, s44, s3
	v_pk_add_f32 v[18:19], v[0:1], v[6:7]
	v_lshl_add_u64 v[24:25], v[24:25], 0, s[10:11]
	s_cmp_eq_u32 s2, 0
	v_add_u32_e32 v22, 64, v22
	s_barrier
	s_cbranch_scc1 .LBB46_133
.LBB46_129:                             ; =>This Inner Loop Header: Depth=1
	s_and_saveexec_b64 s[46:47], s[18:19]
	s_cbranch_execz .LBB46_131
; %bb.130:                              ;   in Loop: Header=BB46_129 Depth=1
	s_ashr_i32 s45, s44, 31
	v_lshl_add_u64 v[0:1], s[44:45], 3, v[20:21]
	flat_load_dwordx2 v[0:1], v[0:1]
	s_waitcnt vmcnt(0) lgkmcnt(0)
	ds_write_b64 v75, v[0:1]
.LBB46_131:                             ;   in Loop: Header=BB46_129 Depth=1
	s_or_b64 exec, exec, s[46:47]
	v_lshl_add_u64 v[0:1], v[24:25], 0, s[8:9]
	s_waitcnt lgkmcnt(0)
	s_barrier
	flat_load_dwordx2 v[26:27], v[24:25]
	flat_load_dwordx2 v[28:29], v[0:1]
	v_lshl_add_u64 v[0:1], v[24:25], 0, s[12:13]
	flat_load_dwordx2 v[30:31], v[0:1]
	v_lshl_add_u64 v[0:1], v[24:25], 0, s[14:15]
	flat_load_dwordx2 v[32:33], v[0:1]
	ds_read_b64 v[4:5], v76
	ds_read_b128 v[0:3], v80
	ds_read_b64 v[34:35], v80 offset:16
	v_lshl_add_u64 v[6:7], v[24:25], 0, s[24:25]
	v_lshl_add_u64 v[60:61], v[24:25], 0, s[36:37]
	s_waitcnt vmcnt(0) lgkmcnt(0)
	v_mul_f32_e32 v8, v27, v5
	v_mul_f32_e32 v9, v27, v4
	;; [unrolled: 1-line block ×4, first 2 shown]
	v_fmac_f32_e32 v8, v26, v4
	v_fma_f32 v9, v26, v5, -v9
	v_mul_f32_e32 v12, v31, v5
	v_mul_f32_e32 v13, v31, v4
	;; [unrolled: 1-line block ×4, first 2 shown]
	v_fmac_f32_e32 v10, v28, v4
	v_fma_f32 v11, v28, v5, -v11
	v_fmac_f32_e32 v12, v30, v4
	v_fma_f32 v13, v30, v5, -v13
	;; [unrolled: 2-line block ×3, first 2 shown]
	ds_write2_b64 v81, v[8:9], v[10:11] offset1:67
	ds_write_b64 v81, v[12:13] offset:1072
	v_lshl_add_u64 v[4:5], v[24:25], 0, s[42:43]
	ds_read_b64 v[36:37], v80 offset:24
	ds_write_b64 v81, v[14:15] offset:1608
	s_waitcnt lgkmcnt(0)
	s_barrier
	ds_read2_b64 v[66:69], v79 offset1:1
	ds_read2_b64 v[70:73], v79 offset0:2 offset1:3
	s_waitcnt lgkmcnt(0)
	s_barrier
	flat_load_dwordx2 v[38:39], v[6:7]
	flat_load_dwordx2 v[42:43], v[4:5]
	v_lshl_add_u64 v[4:5], v[24:25], 0, s[16:17]
	flat_load_dwordx2 v[40:41], v[4:5]
	v_lshl_add_u64 v[4:5], v[24:25], 0, s[20:21]
	flat_load_dwordx2 v[44:45], v[4:5]
	ds_read_b64 v[8:9], v76
	v_lshl_add_u64 v[10:11], v[24:25], 0, s[40:41]
	ds_read_b128 v[4:7], v80 offset:128
	ds_read_b64 v[46:47], v80 offset:144
	v_pk_add_f32 v[66:67], v[66:67], 0 op_sel_hi:[1,0]
	s_waitcnt vmcnt(0) lgkmcnt(0)
	v_mul_f32_e32 v12, v39, v9
	v_mul_f32_e32 v13, v39, v8
	;; [unrolled: 1-line block ×8, first 2 shown]
	v_fmac_f32_e32 v12, v38, v8
	v_fma_f32 v13, v38, v9, -v13
	v_fmac_f32_e32 v14, v42, v8
	v_fma_f32 v15, v42, v9, -v15
	;; [unrolled: 2-line block ×4, first 2 shown]
	ds_write2_b64 v81, v[12:13], v[14:15] offset1:67
	ds_write_b64 v81, v[48:49] offset:1072
	v_lshl_add_u64 v[8:9], v[24:25], 0, s[38:39]
	ds_read_b64 v[50:51], v80 offset:152
	ds_write_b64 v81, v[52:53] offset:1608
	s_waitcnt lgkmcnt(0)
	s_barrier
	ds_read2_b64 v[84:87], v79 offset1:1
	ds_read2_b64 v[88:91], v79 offset0:2 offset1:3
	s_waitcnt lgkmcnt(0)
	s_barrier
	flat_load_dwordx2 v[54:55], v[10:11]
	flat_load_dwordx2 v[56:57], v[8:9]
	v_lshl_add_u64 v[8:9], v[24:25], 0, s[22:23]
	flat_load_dwordx2 v[52:53], v[8:9]
	v_lshl_add_u64 v[8:9], v[24:25], 0, s[26:27]
	flat_load_dwordx2 v[48:49], v[8:9]
	ds_read_b64 v[58:59], v76
	ds_read_b128 v[8:11], v80 offset:256
	ds_read_b128 v[12:15], v80 offset:272
	v_pk_add_f32 v[66:67], v[66:67], v[68:69]
	s_waitcnt vmcnt(0) lgkmcnt(0)
	v_mul_f32_e32 v62, v55, v59
	v_mul_f32_e32 v63, v55, v58
	;; [unrolled: 1-line block ×8, first 2 shown]
	v_fma_f32 v63, v54, v59, -v63
	v_fma_f32 v65, v56, v59, -v65
	v_fmac_f32_e32 v62, v54, v58
	v_fmac_f32_e32 v64, v56, v58
	;; [unrolled: 1-line block ×3, first 2 shown]
	v_fma_f32 v93, v52, v59, -v83
	v_fmac_f32_e32 v94, v48, v58
	v_fma_f32 v95, v48, v59, -v95
	ds_write2_b64 v81, v[62:63], v[64:65] offset1:67
	ds_write2_b64 v81, v[92:93], v[94:95] offset0:134 offset1:201
	s_waitcnt lgkmcnt(0)
	s_barrier
	ds_read2_b64 v[92:95], v79 offset1:1
	ds_read2_b64 v[96:99], v79 offset0:2 offset1:3
	s_waitcnt lgkmcnt(0)
	s_barrier
	flat_load_dwordx2 v[60:61], v[60:61]
	v_lshl_add_u64 v[58:59], v[24:25], 0, s[34:35]
	flat_load_dwordx2 v[64:65], v[58:59]
	v_lshl_add_u64 v[58:59], v[24:25], 0, s[28:29]
	;; [unrolled: 2-line block ×3, first 2 shown]
	flat_load_dwordx2 v[58:59], v[58:59]
	v_pk_add_f32 v[66:67], v[66:67], v[70:71]
	v_pk_add_f32 v[70:71], v[92:93], 0 op_sel_hi:[1,0]
	v_pk_add_f32 v[100:101], v[66:67], v[72:73]
	v_pk_add_f32 v[66:67], v[84:85], 0 op_sel_hi:[1,0]
	v_pk_add_f32 v[70:71], v[70:71], v[94:95]
	v_pk_add_f32 v[66:67], v[66:67], v[86:87]
	;; [unrolled: 1-line block ×6, first 2 shown]
	ds_read_b64 v[68:69], v76
	ds_read_b64 v[66:67], v80 offset:384
	s_waitcnt vmcnt(0) lgkmcnt(0)
	v_mul_f32_e32 v70, v61, v69
	v_mul_f32_e32 v71, v61, v68
	;; [unrolled: 1-line block ×4, first 2 shown]
	v_fma_f32 v71, v60, v69, -v71
	v_fmac_f32_e32 v70, v60, v68
	v_mul_f32_e32 v73, v63, v68
	v_mul_f32_e32 v86, v63, v69
	v_fma_f32 v85, v64, v69, -v72
	v_fmac_f32_e32 v84, v64, v68
	ds_write_b64 v81, v[70:71]
	v_mul_f32_e32 v83, v59, v68
	v_mul_f32_e32 v88, v59, v69
	v_fma_f32 v87, v62, v69, -v73
	v_fmac_f32_e32 v86, v62, v68
	ds_read_b64 v[72:73], v80 offset:392
	ds_write_b64 v81, v[84:85] offset:536
	v_fma_f32 v89, v58, v69, -v83
	v_fmac_f32_e32 v88, v58, v68
	ds_read_b64 v[70:71], v80 offset:400
	ds_write_b64 v81, v[86:87] offset:1072
	ds_read_b64 v[68:69], v80 offset:408
	ds_write_b64 v81, v[88:89] offset:1608
	s_waitcnt lgkmcnt(0)
	s_barrier
	ds_read2_b64 v[84:87], v79 offset1:1
	ds_read2_b64 v[88:91], v79 offset0:2 offset1:3
	s_waitcnt lgkmcnt(0)
	s_barrier
	v_pk_add_f32 v[84:85], v[84:85], 0 op_sel_hi:[1,0]
	ds_write2_b64 v82, v[100:101], v[102:103] offset1:16
	v_pk_add_f32 v[84:85], v[84:85], v[86:87]
	s_nop 0
	v_pk_add_f32 v[84:85], v[84:85], v[88:89]
	s_nop 0
	v_pk_add_f32 v[84:85], v[84:85], v[90:91]
	ds_write2_b64 v82, v[92:93], v[84:85] offset0:32 offset1:48
	s_waitcnt lgkmcnt(0)
	s_barrier
	s_and_saveexec_b64 s[46:47], s[0:1]
	s_cbranch_execz .LBB46_128
; %bb.132:                              ;   in Loop: Header=BB46_129 Depth=1
	ds_read_b64 v[92:93], v77
	ds_read2_b64 v[84:87], v77 offset0:1 offset1:2
	ds_read2_b64 v[88:91], v77 offset0:3 offset1:4
	v_lshl_add_u64 v[96:97], v[22:23], 3, s[6:7]
	s_waitcnt lgkmcnt(1)
	v_add_f32_e32 v83, v84, v92
	v_add_f32_e32 v84, v85, v93
	;; [unrolled: 1-line block ×4, first 2 shown]
	ds_read2_b64 v[84:87], v77 offset0:5 offset1:6
	s_waitcnt lgkmcnt(1)
	v_add_f32_e32 v83, v83, v88
	v_add_f32_e32 v88, v92, v89
	;; [unrolled: 1-line block ×4, first 2 shown]
	ds_read2_b64 v[88:91], v77 offset0:7 offset1:8
	s_waitcnt lgkmcnt(1)
	v_pk_add_f32 v[84:85], v[92:93], v[84:85]
	ds_read2_b64 v[92:95], v77 offset0:9 offset1:10
	v_pk_add_f32 v[84:85], v[84:85], v[86:87]
	s_waitcnt lgkmcnt(1)
	v_pk_add_f32 v[84:85], v[84:85], v[88:89]
	s_nop 0
	v_pk_add_f32 v[88:89], v[84:85], v[90:91]
	ds_read2_b64 v[84:87], v77 offset0:11 offset1:12
	s_waitcnt lgkmcnt(1)
	v_pk_add_f32 v[92:93], v[88:89], v[92:93]
	ds_read2_b64 v[88:91], v77 offset0:13 offset1:14
	v_pk_add_f32 v[92:93], v[92:93], v[94:95]
	ds_read_b64 v[94:95], v78
	s_waitcnt lgkmcnt(2)
	v_pk_add_f32 v[84:85], v[92:93], v[84:85]
	s_nop 0
	v_pk_add_f32 v[84:85], v[84:85], v[86:87]
	s_waitcnt lgkmcnt(1)
	v_pk_add_f32 v[84:85], v[84:85], v[88:89]
	s_nop 0
	v_pk_add_f32 v[84:85], v[84:85], v[90:91]
	s_waitcnt lgkmcnt(0)
	v_pk_add_f32 v[84:85], v[84:85], v[94:95]
	global_store_dwordx2 v[96:97], v[84:85], off
	s_branch .LBB46_128
.LBB46_133:
	s_movk_i32 s0, 0x218
	v_mad_u32_u24 v0, v17, s0, v74
	s_or_b64 s[0:1], s[4:5], vcc
	s_xor_b64 s[0:1], s[0:1], -1
	ds_write_b64 v0, v[18:19]
	s_waitcnt lgkmcnt(0)
	s_barrier
	s_and_saveexec_b64 s[2:3], s[0:1]
	s_cbranch_execz .LBB46_135
; %bb.134:
	ds_read2_b64 v[0:3], v74 offset1:67
	ds_read2_b64 v[4:7], v74 offset0:134 offset1:201
	v_ashrrev_i32_e32 v17, 31, v16
	v_lshl_add_u64 v[8:9], v[16:17], 3, s[6:7]
	s_waitcnt lgkmcnt(1)
	v_pk_add_f32 v[0:1], v[2:3], v[0:1]
	s_waitcnt lgkmcnt(0)
	v_pk_add_f32 v[0:1], v[0:1], v[4:5]
	s_nop 0
	v_pk_add_f32 v[0:1], v[0:1], v[6:7]
	global_store_dwordx2 v[8:9], v[0:1], off
.LBB46_135:
	s_endpgm
	.section	.rodata,"a",@progbits
	.p2align	6, 0x0
	.amdhsa_kernel _ZL26rocblas_hemvn_kernel_lowerILb1ELi64ELi4ELi33ELi32ELi16Ei19rocblas_complex_numIfEPKPKS1_PS1_EviT6_lT7_lT5_lS8_lS9_lS7_lT8_i
		.amdhsa_group_segment_fixed_size 9600
		.amdhsa_private_segment_fixed_size 0
		.amdhsa_kernarg_size 376
		.amdhsa_user_sgpr_count 2
		.amdhsa_user_sgpr_dispatch_ptr 0
		.amdhsa_user_sgpr_queue_ptr 0
		.amdhsa_user_sgpr_kernarg_segment_ptr 1
		.amdhsa_user_sgpr_dispatch_id 0
		.amdhsa_user_sgpr_kernarg_preload_length 0
		.amdhsa_user_sgpr_kernarg_preload_offset 0
		.amdhsa_user_sgpr_private_segment_size 0
		.amdhsa_uses_dynamic_stack 0
		.amdhsa_enable_private_segment 0
		.amdhsa_system_sgpr_workgroup_id_x 1
		.amdhsa_system_sgpr_workgroup_id_y 0
		.amdhsa_system_sgpr_workgroup_id_z 1
		.amdhsa_system_sgpr_workgroup_info 0
		.amdhsa_system_vgpr_workitem_id 1
		.amdhsa_next_free_vgpr 104
		.amdhsa_next_free_sgpr 48
		.amdhsa_accum_offset 104
		.amdhsa_reserve_vcc 1
		.amdhsa_float_round_mode_32 0
		.amdhsa_float_round_mode_16_64 0
		.amdhsa_float_denorm_mode_32 3
		.amdhsa_float_denorm_mode_16_64 3
		.amdhsa_dx10_clamp 1
		.amdhsa_ieee_mode 1
		.amdhsa_fp16_overflow 0
		.amdhsa_tg_split 0
		.amdhsa_exception_fp_ieee_invalid_op 0
		.amdhsa_exception_fp_denorm_src 0
		.amdhsa_exception_fp_ieee_div_zero 0
		.amdhsa_exception_fp_ieee_overflow 0
		.amdhsa_exception_fp_ieee_underflow 0
		.amdhsa_exception_fp_ieee_inexact 0
		.amdhsa_exception_int_div_zero 0
	.end_amdhsa_kernel
	.section	.text._ZL26rocblas_hemvn_kernel_lowerILb1ELi64ELi4ELi33ELi32ELi16Ei19rocblas_complex_numIfEPKPKS1_PS1_EviT6_lT7_lT5_lS8_lS9_lS7_lT8_i,"axG",@progbits,_ZL26rocblas_hemvn_kernel_lowerILb1ELi64ELi4ELi33ELi32ELi16Ei19rocblas_complex_numIfEPKPKS1_PS1_EviT6_lT7_lT5_lS8_lS9_lS7_lT8_i,comdat
.Lfunc_end46:
	.size	_ZL26rocblas_hemvn_kernel_lowerILb1ELi64ELi4ELi33ELi32ELi16Ei19rocblas_complex_numIfEPKPKS1_PS1_EviT6_lT7_lT5_lS8_lS9_lS7_lT8_i, .Lfunc_end46-_ZL26rocblas_hemvn_kernel_lowerILb1ELi64ELi4ELi33ELi32ELi16Ei19rocblas_complex_numIfEPKPKS1_PS1_EviT6_lT7_lT5_lS8_lS9_lS7_lT8_i
                                        ; -- End function
	.section	.AMDGPU.csdata,"",@progbits
; Kernel info:
; codeLenInByte = 7864
; NumSgprs: 54
; NumVgprs: 104
; NumAgprs: 0
; TotalNumVgprs: 104
; ScratchSize: 0
; MemoryBound: 1
; FloatMode: 240
; IeeeMode: 1
; LDSByteSize: 9600 bytes/workgroup (compile time only)
; SGPRBlocks: 6
; VGPRBlocks: 12
; NumSGPRsForWavesPerEU: 54
; NumVGPRsForWavesPerEU: 104
; AccumOffset: 104
; Occupancy: 4
; WaveLimiterHint : 1
; COMPUTE_PGM_RSRC2:SCRATCH_EN: 0
; COMPUTE_PGM_RSRC2:USER_SGPR: 2
; COMPUTE_PGM_RSRC2:TRAP_HANDLER: 0
; COMPUTE_PGM_RSRC2:TGID_X_EN: 1
; COMPUTE_PGM_RSRC2:TGID_Y_EN: 0
; COMPUTE_PGM_RSRC2:TGID_Z_EN: 1
; COMPUTE_PGM_RSRC2:TIDIG_COMP_CNT: 1
; COMPUTE_PGM_RSRC3_GFX90A:ACCUM_OFFSET: 25
; COMPUTE_PGM_RSRC3_GFX90A:TG_SPLIT: 0
	.section	.text._ZL36rocblas_hemvn_kernel_lower_block_sumILi64Ei19rocblas_complex_numIfEPKPS1_S1_EviT1_lS5_lT2_lT0_lPT3_i,"axG",@progbits,_ZL36rocblas_hemvn_kernel_lower_block_sumILi64Ei19rocblas_complex_numIfEPKPS1_S1_EviT1_lS5_lT2_lT0_lPT3_i,comdat
	.globl	_ZL36rocblas_hemvn_kernel_lower_block_sumILi64Ei19rocblas_complex_numIfEPKPS1_S1_EviT1_lS5_lT2_lT0_lPT3_i ; -- Begin function _ZL36rocblas_hemvn_kernel_lower_block_sumILi64Ei19rocblas_complex_numIfEPKPS1_S1_EviT1_lS5_lT2_lT0_lPT3_i
	.p2align	8
	.type	_ZL36rocblas_hemvn_kernel_lower_block_sumILi64Ei19rocblas_complex_numIfEPKPS1_S1_EviT1_lS5_lT2_lT0_lPT3_i,@function
_ZL36rocblas_hemvn_kernel_lower_block_sumILi64Ei19rocblas_complex_numIfEPKPS1_S1_EviT1_lS5_lT2_lT0_lPT3_i: ; @_ZL36rocblas_hemvn_kernel_lower_block_sumILi64Ei19rocblas_complex_numIfEPKPS1_S1_EviT1_lS5_lT2_lT0_lPT3_i
; %bb.0:
	s_load_dwordx4 s[8:11], s[0:1], 0x0
	s_load_dwordx2 s[6:7], s[0:1], 0x18
	s_mov_b32 s14, s3
	s_mov_b32 s15, 0
	s_waitcnt lgkmcnt(0)
	s_or_b32 s3, s9, s10
	s_bitset0_b32 s3, 31
	s_mov_b32 s13, s10
	s_cmp_eq_u32 s3, 0
	v_cmp_eq_f32_e64 s[10:11], s6, 1.0
	v_cmp_eq_f32_e64 s[16:17], s7, 0
	s_cselect_b64 s[4:5], -1, 0
	s_and_b64 s[10:11], s[10:11], s[16:17]
	s_and_b64 s[10:11], s[4:5], s[10:11]
	s_and_b64 vcc, exec, s[10:11]
	s_cbranch_vccnz .LBB47_17
; %bb.1:
	s_load_dwordx4 s[16:19], s[0:1], 0x28
	s_load_dword s3, s[0:1], 0x38
	s_lshl_b64 s[10:11], s[14:15], 3
	v_lshl_or_b32 v4, s2, 6, v0
	s_mov_b32 s12, s9
	s_waitcnt lgkmcnt(0)
	s_add_u32 s10, s16, s10
	s_addc_u32 s11, s17, s11
	s_load_dwordx2 s[10:11], s[10:11], 0x0
	s_lshl_b64 s[18:19], s[18:19], 3
	s_mov_b64 s[16:17], -1
	s_waitcnt lgkmcnt(0)
	s_add_u32 s10, s10, s18
	s_addc_u32 s11, s11, s19
	s_andn2_b64 vcc, exec, s[4:5]
	v_cmp_gt_i32_e64 s[4:5], s8, v4
	s_cbranch_vccnz .LBB47_7
; %bb.2:
	s_and_saveexec_b64 s[16:17], s[4:5]
	s_cbranch_execz .LBB47_6
; %bb.3:
	v_cmp_neq_f32_e64 s[4:5], s6, 0
	v_cmp_neq_f32_e64 s[18:19], s7, 0
	v_mul_lo_u32 v0, v4, s3
	v_ashrrev_i32_e32 v1, 31, v0
	s_or_b64 s[4:5], s[4:5], s[18:19]
	s_andn2_b64 vcc, exec, s[4:5]
	v_mov_b32_e32 v2, 0
	v_lshl_add_u64 v[0:1], v[0:1], 3, s[10:11]
	v_mov_b32_e32 v3, 0
	s_cbranch_vccnz .LBB47_5
; %bb.4:
	global_load_dwordx2 v[6:7], v[0:1], off
	s_waitcnt vmcnt(0)
	v_pk_mul_f32 v[8:9], v[6:7], s[6:7] op_sel:[1,0]
	s_nop 0
	v_pk_fma_f32 v[2:3], v[6:7], s[6:7], v[8:9] op_sel:[0,0,1] op_sel_hi:[1,1,0] neg_lo:[0,0,1] neg_hi:[0,0,1]
	v_pk_fma_f32 v[6:7], v[6:7], s[6:7], v[8:9] op_sel:[0,0,1] op_sel_hi:[0,1,0]
	v_mov_b32_e32 v3, v7
.LBB47_5:
	global_store_dwordx2 v[0:1], v[2:3], off
.LBB47_6:
	s_or_b64 exec, exec, s[16:17]
	s_mov_b64 s[16:17], 0
.LBB47_7:
	s_andn2_b64 vcc, exec, s[16:17]
	s_cbranch_vccnz .LBB47_17
; %bb.8:
	v_cmp_gt_i32_e32 vcc, s8, v4
	s_and_saveexec_b64 s[4:5], vcc
	s_cbranch_execz .LBB47_17
; %bb.9:
	s_load_dword s4, s[0:1], 0x58
	v_mov_b32_e32 v1, 0
	v_mov_b32_e32 v0, v1
	s_waitcnt lgkmcnt(0)
	s_cmp_ge_i32 s2, s4
	s_cbranch_scc1 .LBB47_12
; %bb.10:
	s_ashr_i32 s9, s8, 31
	s_mul_i32 s5, s2, s8
	s_load_dwordx2 s[0:1], s[0:1], 0x48
	v_add_u32_e32 v0, s5, v4
	s_mul_hi_u32 s5, s8, s14
	s_mul_i32 s15, s9, s14
	s_add_i32 s5, s5, s15
	s_mul_i32 s14, s8, s14
	s_mul_i32 s5, s5, s4
	s_mul_hi_u32 s15, s14, s4
	s_add_i32 s15, s15, s5
	s_mul_i32 s14, s14, s4
	s_lshl_b64 s[14:15], s[14:15], 3
	s_waitcnt lgkmcnt(0)
	s_add_u32 s0, s0, s14
	v_ashrrev_i32_e32 v1, 31, v0
	s_addc_u32 s1, s1, s15
	v_lshl_add_u64 v[2:3], v[0:1], 3, s[0:1]
	v_mov_b32_e32 v0, 0
	s_lshl_b64 s[0:1], s[8:9], 3
	v_mov_b32_e32 v1, v0
.LBB47_11:                              ; =>This Inner Loop Header: Depth=1
	global_load_dwordx2 v[6:7], v[2:3], off
	s_add_i32 s2, s2, 1
	v_lshl_add_u64 v[2:3], v[2:3], 0, s[0:1]
	s_cmp_ge_i32 s2, s4
	s_waitcnt vmcnt(0)
	v_pk_add_f32 v[0:1], v[0:1], v[6:7]
	s_cbranch_scc0 .LBB47_11
.LBB47_12:
	v_cmp_neq_f32_e64 s[0:1], s6, 0
	v_cmp_neq_f32_e64 s[4:5], s7, 0
	s_or_b64 s[0:1], s[0:1], s[4:5]
	v_pk_mul_f32 v[6:7], v[0:1], s[12:13] op_sel:[1,0]
	v_mul_lo_u32 v4, v4, s3
	s_andn2_b64 vcc, exec, s[0:1]
	v_pk_fma_f32 v[2:3], v[0:1], s[12:13], v[6:7] op_sel:[0,0,1] op_sel_hi:[0,1,0]
	v_ashrrev_i32_e32 v5, 31, v4
	s_cbranch_vccz .LBB47_14
; %bb.13:
	v_pk_mul_f32 v[8:9], v[0:1], s[12:13] op_sel_hi:[0,1]
	v_sub_f32_e32 v2, v8, v7
	s_cbranch_execz .LBB47_15
	s_branch .LBB47_16
.LBB47_14:
.LBB47_15:
	v_lshl_add_u64 v[8:9], v[4:5], 3, s[10:11]
	global_load_dwordx2 v[8:9], v[8:9], off
	v_pk_fma_f32 v[0:1], v[0:1], s[12:13], v[6:7] op_sel:[0,0,1] op_sel_hi:[1,1,0] neg_lo:[0,0,1] neg_hi:[0,0,1]
	s_waitcnt vmcnt(0)
	v_pk_mul_f32 v[6:7], v[8:9], s[6:7] op_sel:[1,0]
	s_nop 0
	v_pk_fma_f32 v[10:11], v[8:9], s[6:7], v[6:7] op_sel:[0,0,1] op_sel_hi:[1,1,0] neg_lo:[0,0,1] neg_hi:[0,0,1]
	v_pk_fma_f32 v[6:7], v[8:9], s[6:7], v[6:7] op_sel:[0,0,1] op_sel_hi:[0,1,0]
	v_mov_b32_e32 v11, v7
	v_mov_b32_e32 v1, v3
	v_pk_add_f32 v[2:3], v[0:1], v[10:11]
.LBB47_16:
	v_lshl_add_u64 v[0:1], v[4:5], 3, s[10:11]
	global_store_dwordx2 v[0:1], v[2:3], off
.LBB47_17:
	s_endpgm
	.section	.rodata,"a",@progbits
	.p2align	6, 0x0
	.amdhsa_kernel _ZL36rocblas_hemvn_kernel_lower_block_sumILi64Ei19rocblas_complex_numIfEPKPS1_S1_EviT1_lS5_lT2_lT0_lPT3_i
		.amdhsa_group_segment_fixed_size 0
		.amdhsa_private_segment_fixed_size 0
		.amdhsa_kernarg_size 344
		.amdhsa_user_sgpr_count 2
		.amdhsa_user_sgpr_dispatch_ptr 0
		.amdhsa_user_sgpr_queue_ptr 0
		.amdhsa_user_sgpr_kernarg_segment_ptr 1
		.amdhsa_user_sgpr_dispatch_id 0
		.amdhsa_user_sgpr_kernarg_preload_length 0
		.amdhsa_user_sgpr_kernarg_preload_offset 0
		.amdhsa_user_sgpr_private_segment_size 0
		.amdhsa_uses_dynamic_stack 0
		.amdhsa_enable_private_segment 0
		.amdhsa_system_sgpr_workgroup_id_x 1
		.amdhsa_system_sgpr_workgroup_id_y 0
		.amdhsa_system_sgpr_workgroup_id_z 1
		.amdhsa_system_sgpr_workgroup_info 0
		.amdhsa_system_vgpr_workitem_id 0
		.amdhsa_next_free_vgpr 12
		.amdhsa_next_free_sgpr 20
		.amdhsa_accum_offset 12
		.amdhsa_reserve_vcc 1
		.amdhsa_float_round_mode_32 0
		.amdhsa_float_round_mode_16_64 0
		.amdhsa_float_denorm_mode_32 3
		.amdhsa_float_denorm_mode_16_64 3
		.amdhsa_dx10_clamp 1
		.amdhsa_ieee_mode 1
		.amdhsa_fp16_overflow 0
		.amdhsa_tg_split 0
		.amdhsa_exception_fp_ieee_invalid_op 0
		.amdhsa_exception_fp_denorm_src 0
		.amdhsa_exception_fp_ieee_div_zero 0
		.amdhsa_exception_fp_ieee_overflow 0
		.amdhsa_exception_fp_ieee_underflow 0
		.amdhsa_exception_fp_ieee_inexact 0
		.amdhsa_exception_int_div_zero 0
	.end_amdhsa_kernel
	.section	.text._ZL36rocblas_hemvn_kernel_lower_block_sumILi64Ei19rocblas_complex_numIfEPKPS1_S1_EviT1_lS5_lT2_lT0_lPT3_i,"axG",@progbits,_ZL36rocblas_hemvn_kernel_lower_block_sumILi64Ei19rocblas_complex_numIfEPKPS1_S1_EviT1_lS5_lT2_lT0_lPT3_i,comdat
.Lfunc_end47:
	.size	_ZL36rocblas_hemvn_kernel_lower_block_sumILi64Ei19rocblas_complex_numIfEPKPS1_S1_EviT1_lS5_lT2_lT0_lPT3_i, .Lfunc_end47-_ZL36rocblas_hemvn_kernel_lower_block_sumILi64Ei19rocblas_complex_numIfEPKPS1_S1_EviT1_lS5_lT2_lT0_lPT3_i
                                        ; -- End function
	.section	.AMDGPU.csdata,"",@progbits
; Kernel info:
; codeLenInByte = 640
; NumSgprs: 26
; NumVgprs: 12
; NumAgprs: 0
; TotalNumVgprs: 12
; ScratchSize: 0
; MemoryBound: 0
; FloatMode: 240
; IeeeMode: 1
; LDSByteSize: 0 bytes/workgroup (compile time only)
; SGPRBlocks: 3
; VGPRBlocks: 1
; NumSGPRsForWavesPerEU: 26
; NumVGPRsForWavesPerEU: 12
; AccumOffset: 12
; Occupancy: 8
; WaveLimiterHint : 1
; COMPUTE_PGM_RSRC2:SCRATCH_EN: 0
; COMPUTE_PGM_RSRC2:USER_SGPR: 2
; COMPUTE_PGM_RSRC2:TRAP_HANDLER: 0
; COMPUTE_PGM_RSRC2:TGID_X_EN: 1
; COMPUTE_PGM_RSRC2:TGID_Y_EN: 0
; COMPUTE_PGM_RSRC2:TGID_Z_EN: 1
; COMPUTE_PGM_RSRC2:TIDIG_COMP_CNT: 0
; COMPUTE_PGM_RSRC3_GFX90A:ACCUM_OFFSET: 2
; COMPUTE_PGM_RSRC3_GFX90A:TG_SPLIT: 0
	.section	.text._ZL26rocblas_hemvn_kernel_upperILb1ELi64ELi4ELi33ELi32ELi16ElPK19rocblas_complex_numIdEPKS3_PS1_EviT6_lT7_lT5_lS8_lS9_lS7_lT8_i,"axG",@progbits,_ZL26rocblas_hemvn_kernel_upperILb1ELi64ELi4ELi33ELi32ELi16ElPK19rocblas_complex_numIdEPKS3_PS1_EviT6_lT7_lT5_lS8_lS9_lS7_lT8_i,comdat
	.globl	_ZL26rocblas_hemvn_kernel_upperILb1ELi64ELi4ELi33ELi32ELi16ElPK19rocblas_complex_numIdEPKS3_PS1_EviT6_lT7_lT5_lS8_lS9_lS7_lT8_i ; -- Begin function _ZL26rocblas_hemvn_kernel_upperILb1ELi64ELi4ELi33ELi32ELi16ElPK19rocblas_complex_numIdEPKS3_PS1_EviT6_lT7_lT5_lS8_lS9_lS7_lT8_i
	.p2align	8
	.type	_ZL26rocblas_hemvn_kernel_upperILb1ELi64ELi4ELi33ELi32ELi16ElPK19rocblas_complex_numIdEPKS3_PS1_EviT6_lT7_lT5_lS8_lS9_lS7_lT8_i,@function
_ZL26rocblas_hemvn_kernel_upperILb1ELi64ELi4ELi33ELi32ELi16ElPK19rocblas_complex_numIdEPKS3_PS1_EviT6_lT7_lT5_lS8_lS9_lS7_lT8_i: ; @_ZL26rocblas_hemvn_kernel_upperILb1ELi64ELi4ELi33ELi32ELi16ElPK19rocblas_complex_numIdEPKS3_PS1_EviT6_lT7_lT5_lS8_lS9_lS7_lT8_i
; %bb.0:
	s_load_dwordx2 s[4:5], s[0:1], 0x84
	s_add_u32 s12, s0, 0x78
	s_mov_b32 s24, s3
	s_addc_u32 s13, s1, 0
	s_waitcnt lgkmcnt(0)
	s_and_b32 s3, s5, 0xffff
	s_lshr_b32 s5, s4, 16
	s_and_b32 s4, s4, 0xffff
	s_mul_i32 s4, s5, s4
	s_mul_i32 s4, s4, s3
	s_cmpk_lg_i32 s4, 0x100
	s_cbranch_scc1 .LBB48_190
; %bb.1:
	s_load_dwordx8 s[4:11], s[0:1], 0x8
	s_load_dwordx2 s[26:27], s[0:1], 0x68
	s_mov_b32 s25, 0
	s_mov_b64 s[16:17], 0
	s_waitcnt lgkmcnt(0)
	s_mul_i32 s3, s24, s7
	s_mul_hi_u32 s7, s24, s6
	s_mul_i32 s6, s24, s6
	s_add_i32 s7, s7, s3
	s_lshl_b64 s[6:7], s[6:7], 4
	s_add_u32 s14, s4, s6
	s_addc_u32 s15, s5, s7
	s_load_dwordx4 s[28:31], s[14:15], 0x0
	s_load_dwordx2 s[22:23], s[0:1], 0x28
	s_load_dwordx4 s[4:7], s[0:1], 0x58
	s_waitcnt lgkmcnt(0)
	v_cmp_neq_f64_e64 s[14:15], s[28:29], 0
	v_cmp_neq_f64_e64 s[18:19], s[30:31], 0
	s_or_b64 s[14:15], s[14:15], s[18:19]
	s_and_b64 vcc, exec, s[14:15]
	s_cbranch_vccnz .LBB48_3
; %bb.2:
	s_mul_i32 s3, s24, s7
	s_mul_hi_u32 s7, s24, s6
	s_add_i32 s7, s7, s3
	s_mul_i32 s6, s24, s6
	s_lshl_b64 s[6:7], s[6:7], 4
	s_add_u32 s4, s4, s6
	s_addc_u32 s5, s5, s7
	s_load_dwordx4 s[16:19], s[4:5], 0x0
	s_mov_b64 s[6:7], 0
	s_waitcnt lgkmcnt(0)
	v_cmp_neq_f64_e64 s[4:5], s[16:17], 1.0
	v_cmp_neq_f64_e64 s[16:17], s[18:19], 0
	s_or_b64 s[16:17], s[4:5], s[16:17]
	s_cbranch_execz .LBB48_4
	s_branch .LBB48_5
.LBB48_3:
	s_mov_b64 s[6:7], -1
.LBB48_4:
	s_lshl_b64 s[4:5], s[24:25], 3
	s_add_u32 s4, s8, s4
	s_addc_u32 s5, s9, s5
	s_load_dwordx2 s[4:5], s[4:5], 0x0
	s_lshl_b64 s[6:7], s[10:11], 4
	s_mov_b64 s[16:17], -1
	s_waitcnt lgkmcnt(0)
	s_add_u32 s6, s4, s6
	s_addc_u32 s7, s5, s7
.LBB48_5:
	s_andn2_b64 vcc, exec, s[16:17]
	s_cbranch_vccnz .LBB48_190
; %bb.6:
	s_load_dwordx4 s[8:11], s[0:1], 0x38
	s_load_dwordx2 s[16:17], s[0:1], 0x48
	v_cndmask_b32_e64 v1, 0, 1, s[14:15]
	v_cmp_ne_u32_e64 s[4:5], 1, v1
	s_andn2_b64 vcc, exec, s[14:15]
	s_mov_b64 s[14:15], 0
	s_cbranch_vccnz .LBB48_8
; %bb.7:
	s_lshl_b64 s[14:15], s[24:25], 3
	s_waitcnt lgkmcnt(0)
	s_add_u32 s8, s8, s14
	s_addc_u32 s9, s9, s15
	s_load_dwordx2 s[8:9], s[8:9], 0x0
	s_lshl_b64 s[10:11], s[10:11], 4
	s_waitcnt lgkmcnt(0)
	s_add_u32 s14, s8, s10
	s_addc_u32 s15, s9, s11
.LBB48_8:
	s_and_b64 vcc, exec, s[4:5]
	s_cbranch_vccnz .LBB48_190
; %bb.9:
	s_load_dword s3, s[12:13], 0x0
	s_load_dword s25, s[0:1], 0x0
	v_and_b32_e32 v204, 0x3ff, v0
	s_lshl_b32 s28, s2, 6
	v_add_u32_e32 v166, s28, v204
	s_waitcnt lgkmcnt(0)
	s_add_i32 s0, s3, -1
	s_ashr_i32 s34, s25, 31
	s_lshr_b32 s1, s34, 26
	s_add_i32 s1, s25, s1
	s_andn2_b32 s1, s1, 63
	s_sub_i32 s33, s25, s1
	v_ashrrev_i32_e32 v167, 31, v166
	v_bfe_u32 v205, v0, 10, 10
	s_cmp_eq_u32 s2, s0
	v_mul_lo_u32 v2, v167, s16
	v_mul_lo_u32 v3, v166, s17
	v_mad_u64_u32 v[0:1], s[0:1], v166, s16, 0
	v_add3_u32 v1, v1, v3, v2
	s_cselect_b32 s18, s33, 0
	v_lshl_add_u64 v[36:37], v[0:1], 4, s[14:15]
	v_cmp_eq_u32_e64 s[0:1], 0, v205
	s_and_saveexec_b64 s[4:5], s[0:1]
	s_cbranch_execz .LBB48_14
; %bb.10:
	s_cmp_lg_u32 s18, 0
	s_cselect_b64 s[8:9], -1, 0
	v_cmp_le_i32_e32 vcc, s18, v204
	v_mov_b32_e32 v0, 0x4700
	s_and_b64 s[8:9], s[8:9], vcc
	v_lshl_add_u32 v0, v204, 4, v0
	s_and_saveexec_b64 s[10:11], s[8:9]
	s_xor_b64 s[8:9], exec, s[10:11]
	s_cbranch_execz .LBB48_12
; %bb.11:
	v_mov_b32_e32 v2, 0
	v_mov_b32_e32 v3, v2
	v_mov_b32_e32 v4, v2
	v_mov_b32_e32 v5, v2
	ds_write_b128 v0, v[2:5]
                                        ; implicit-def: $vgpr0
.LBB48_12:
	s_andn2_saveexec_b64 s[8:9], s[8:9]
	s_cbranch_execz .LBB48_14
; %bb.13:
	flat_load_dwordx4 v[2:5], v[36:37]
	s_waitcnt vmcnt(0) lgkmcnt(0)
	ds_write2_b64 v0, v[2:3], v[4:5] offset1:1
.LBB48_14:
	s_or_b64 exec, exec, s[4:5]
	s_ashr_i32 s29, s28, 31
	v_lshl_add_u32 v42, v205, 6, v204
	s_lshl_b64 s[4:5], s[28:29], 4
	v_and_b32_e32 v4, 31, v204
	v_lshrrev_b32_e32 v14, 5, v42
	s_add_u32 s6, s6, s4
	v_mov_b32_e32 v5, 0
	s_addc_u32 s7, s7, s5
	v_mad_u64_u32 v[38:39], s[4:5], v14, s22, v[4:5]
	v_mov_b32_e32 v0, v39
	v_mad_u64_u32 v[0:1], s[4:5], v14, s23, v[0:1]
	s_mul_i32 s4, s28, s23
	s_mul_hi_u32 s5, s28, s22
	s_add_i32 s4, s5, s4
	s_mul_i32 s5, s29, s22
	s_add_i32 s5, s4, s5
	s_mul_i32 s4, s28, s22
	s_lshl_b64 s[4:5], s[4:5], 4
	s_add_u32 s4, s4, s6
	s_addc_u32 s5, s5, s7
	s_cmp_eq_u32 s18, 0
	s_cselect_b64 s[20:21], -1, 0
	s_cmp_lg_u32 s18, 0
	v_mov_b32_e32 v39, v0
	s_cselect_b64 s[30:31], -1, 0
	v_lshl_add_u64 v[0:1], v[38:39], 4, s[4:5]
	s_and_b64 vcc, exec, s[30:31]
	v_cmp_gt_i32_e64 s[4:5], s18, v4
	v_lshlrev_b32_e32 v6, 4, v4
	v_mul_u32_u24_e32 v5, 33, v14
	s_mul_i32 s35, s23, 0x180
	s_cbranch_vccz .LBB48_32
; %bb.15:
	v_sub_co_u32_e32 v2, vcc, v0, v6
	s_ashr_i32 s19, s18, 31
	s_nop 0
	v_subbrev_co_u32_e32 v3, vcc, 0, v1, vcc
	v_lshl_add_u64 v[2:3], s[18:19], 4, v[2:3]
	v_lshl_add_u64 v[2:3], v[2:3], 0, -16
	v_cndmask_b32_e64 v3, v3, v1, s[4:5]
	v_cndmask_b32_e64 v2, v2, v0, s[4:5]
	v_cmp_le_i32_e32 vcc, s18, v14
	v_add_lshl_u32 v7, v5, v4, 4
	s_and_saveexec_b64 s[6:7], vcc
	s_xor_b64 s[6:7], exec, s[6:7]
	s_cbranch_execz .LBB48_17
; %bb.16:
	v_mov_b32_e32 v8, 0
	v_mov_b32_e32 v9, v8
	v_mov_b32_e32 v10, v8
	v_mov_b32_e32 v11, v8
	ds_write_b128 v7, v[8:11]
.LBB48_17:
	s_andn2_saveexec_b64 s[6:7], s[6:7]
	s_cbranch_execz .LBB48_19
; %bb.18:
	flat_load_dwordx4 v[8:11], v[2:3]
	s_waitcnt vmcnt(0) lgkmcnt(0)
	ds_write2_b64 v7, v[8:9], v[10:11] offset1:1
.LBB48_19:
	s_or_b64 exec, exec, s[6:7]
	v_add_u32_e32 v8, 8, v14
	v_cmp_le_i32_e32 vcc, s18, v8
	s_and_saveexec_b64 s[6:7], vcc
	s_xor_b64 s[6:7], exec, s[6:7]
	s_cbranch_execz .LBB48_21
; %bb.20:
	v_mul_u32_u24_e32 v8, 33, v8
	v_add_lshl_u32 v12, v8, v4, 4
	v_mov_b32_e32 v8, 0
	v_mov_b32_e32 v9, v8
	;; [unrolled: 1-line block ×4, first 2 shown]
	ds_write_b128 v12, v[8:11]
.LBB48_21:
	s_andn2_saveexec_b64 s[6:7], s[6:7]
	s_cbranch_execz .LBB48_23
; %bb.22:
	s_lshl_b64 s[8:9], s[22:23], 7
	v_lshl_add_u64 v[8:9], v[2:3], 0, s[8:9]
	flat_load_dwordx4 v[8:11], v[8:9]
	v_add_u32_e32 v12, 0x1080, v7
	s_waitcnt vmcnt(0) lgkmcnt(0)
	ds_write2_b64 v12, v[8:9], v[10:11] offset1:1
.LBB48_23:
	s_or_b64 exec, exec, s[6:7]
	v_add_u32_e32 v8, 16, v14
	v_cmp_le_i32_e32 vcc, s18, v8
	s_and_saveexec_b64 s[6:7], vcc
	s_xor_b64 s[6:7], exec, s[6:7]
	s_cbranch_execz .LBB48_25
; %bb.24:
	v_mov_b32_e32 v8, 0
	v_mov_b32_e32 v9, v8
	;; [unrolled: 1-line block ×4, first 2 shown]
	ds_write_b128 v7, v[8:11] offset:8448
.LBB48_25:
	s_andn2_saveexec_b64 s[6:7], s[6:7]
	s_cbranch_execz .LBB48_27
; %bb.26:
	s_lshl_b64 s[8:9], s[22:23], 8
	v_lshl_add_u64 v[8:9], v[2:3], 0, s[8:9]
	flat_load_dwordx4 v[8:11], v[8:9]
	v_add_u32_e32 v12, 0x2100, v7
	s_waitcnt vmcnt(0) lgkmcnt(0)
	ds_write2_b64 v12, v[8:9], v[10:11] offset1:1
.LBB48_27:
	s_or_b64 exec, exec, s[6:7]
	v_add_u32_e32 v8, 24, v14
	v_cmp_le_i32_e32 vcc, s18, v8
	s_and_saveexec_b64 s[6:7], vcc
	s_xor_b64 s[6:7], exec, s[6:7]
	s_cbranch_execz .LBB48_29
; %bb.28:
	v_mov_b32_e32 v8, 0
	v_mov_b32_e32 v9, v8
	;; [unrolled: 1-line block ×4, first 2 shown]
	ds_write_b128 v7, v[8:11] offset:12672
                                        ; implicit-def: $vgpr7
.LBB48_29:
	s_andn2_saveexec_b64 s[6:7], s[6:7]
	s_cbranch_execz .LBB48_31
; %bb.30:
	v_mov_b32_e32 v8, 0x180
	v_mad_u64_u32 v[8:9], s[8:9], s22, v8, v[2:3]
	v_add_u32_e32 v9, s35, v9
	flat_load_dwordx4 v[8:11], v[8:9]
	v_add_u32_e32 v7, 0x3180, v7
	s_waitcnt vmcnt(0) lgkmcnt(0)
	ds_write2_b64 v7, v[8:9], v[10:11] offset1:1
.LBB48_31:
	s_or_b64 exec, exec, s[6:7]
	v_mov_b32_e32 v7, 0
	v_lshl_add_u64 v[2:3], v[2:3], 0, v[6:7]
	s_lshl_b64 s[6:7], s[18:19], 4
	v_mov_b32_e32 v7, s7
	v_subrev_co_u32_e32 v2, vcc, s6, v2
	s_nop 1
	v_subb_co_u32_e32 v3, vcc, v3, v7, vcc
	v_lshl_add_u64 v[2:3], v[2:3], 0, 16
	v_cndmask_b32_e64 v9, v3, v1, s[4:5]
	v_cndmask_b32_e64 v8, v2, v0, s[4:5]
	s_branch .LBB48_34
.LBB48_32:
                                        ; implicit-def: $vgpr8_vgpr9
	s_cbranch_execz .LBB48_34
; %bb.33:
	flat_load_dwordx4 v[8:11], v[0:1]
	v_add_lshl_u32 v7, v5, v4, 4
	s_lshl_b64 s[4:5], s[22:23], 7
	v_lshl_add_u64 v[2:3], v[0:1], 0, s[4:5]
	v_add_u32_e32 v12, 0x1080, v7
	s_waitcnt vmcnt(0) lgkmcnt(0)
	ds_write2_b64 v7, v[8:9], v[10:11] offset1:1
	flat_load_dwordx4 v[8:11], v[2:3]
	v_lshl_add_u64 v[2:3], v[2:3], 0, s[4:5]
	s_waitcnt vmcnt(0) lgkmcnt(0)
	ds_write2_b64 v12, v[8:9], v[10:11] offset1:1
	flat_load_dwordx4 v[8:11], v[2:3]
	v_mov_b32_e32 v2, 0x180
	v_add_u32_e32 v12, 0x2100, v7
	v_mad_u64_u32 v[2:3], s[4:5], s22, v2, v[0:1]
	v_add_u32_e32 v3, s35, v3
	s_waitcnt vmcnt(0) lgkmcnt(0)
	ds_write2_b64 v12, v[8:9], v[10:11] offset1:1
	flat_load_dwordx4 v[8:11], v[2:3]
	v_add_u32_e32 v2, 0x3180, v7
	s_waitcnt vmcnt(0) lgkmcnt(0)
	ds_write2_b64 v2, v[8:9], v[10:11] offset1:1
	v_mov_b64_e32 v[8:9], v[0:1]
.LBB48_34:
	v_lshlrev_b32_e32 v19, 2, v14
	v_cmp_le_u32_e64 s[4:5], v19, v4
	s_waitcnt lgkmcnt(0)
	s_barrier
	s_and_saveexec_b64 s[6:7], s[4:5]
	s_xor_b64 s[6:7], exec, s[6:7]
	s_cbranch_execz .LBB48_38
; %bb.35:
	v_cmp_eq_u32_e32 vcc, v19, v4
	s_and_saveexec_b64 s[8:9], vcc
	s_cbranch_execz .LBB48_37
; %bb.36:
	v_mul_u32_u24_e32 v0, 34, v4
	v_lshlrev_b32_e32 v2, 4, v0
	v_mov_b32_e32 v0, 0
	v_mov_b32_e32 v1, v0
	ds_write_b64 v2, v[0:1] offset:8
.LBB48_37:
	s_or_b64 exec, exec, s[8:9]
.LBB48_38:
	s_or_saveexec_b64 s[6:7], s[6:7]
	v_mul_u32_u24_e32 v15, 33, v4
	v_add_lshl_u32 v17, v19, v15, 4
	s_xor_b64 exec, exec, s[6:7]
	s_cbranch_execz .LBB48_40
; %bb.39:
	v_mul_u32_u24_e32 v0, 0x84, v14
	v_add_lshl_u32 v0, v0, v4, 4
	ds_read_b128 v[0:3], v0
	s_waitcnt lgkmcnt(0)
	v_xor_b32_e32 v3, 0x80000000, v3
	ds_write_b128 v17, v[0:3]
.LBB48_40:
	s_or_b64 exec, exec, s[6:7]
	v_or_b32_e32 v18, 1, v19
	v_cmp_ge_u32_e64 s[6:7], v19, v4
	v_mul_u32_u24_e32 v0, 33, v18
	s_and_saveexec_b64 s[8:9], s[6:7]
	s_xor_b64 s[8:9], exec, s[8:9]
	s_cbranch_execz .LBB48_42
; %bb.41:
	v_add_lshl_u32 v1, v0, v4, 4
	ds_read_b128 v[10:13], v1
	s_waitcnt lgkmcnt(0)
	v_xor_b32_e32 v13, 0x80000000, v13
	ds_write_b128 v17, v[10:13] offset:16
.LBB48_42:
	s_andn2_saveexec_b64 s[8:9], s[8:9]
	s_cbranch_execz .LBB48_46
; %bb.43:
	v_cmp_eq_u32_e32 vcc, v18, v4
	s_and_saveexec_b64 s[10:11], vcc
	s_cbranch_execz .LBB48_45
; %bb.44:
	v_mul_u32_u24_e32 v1, 34, v4
	v_mov_b32_e32 v2, 0
	v_lshlrev_b32_e32 v1, 4, v1
	v_mov_b32_e32 v3, v2
	ds_write_b64 v1, v[2:3] offset:8
.LBB48_45:
	s_or_b64 exec, exec, s[10:11]
.LBB48_46:
	s_or_b64 exec, exec, s[8:9]
	v_or_b32_e32 v20, 2, v19
	v_cmp_le_u32_e64 s[8:9], v20, v4
	s_and_saveexec_b64 s[10:11], s[8:9]
	s_xor_b64 s[10:11], exec, s[10:11]
	s_cbranch_execz .LBB48_50
; %bb.47:
	v_cmp_eq_u32_e32 vcc, v20, v4
	s_and_saveexec_b64 s[12:13], vcc
	s_cbranch_execz .LBB48_49
; %bb.48:
	v_mul_u32_u24_e32 v1, 34, v4
	v_mov_b32_e32 v2, 0
	v_lshlrev_b32_e32 v1, 4, v1
	v_mov_b32_e32 v3, v2
	ds_write_b64 v1, v[2:3] offset:8
.LBB48_49:
	s_or_b64 exec, exec, s[12:13]
.LBB48_50:
	s_andn2_saveexec_b64 s[10:11], s[10:11]
	s_cbranch_execz .LBB48_52
; %bb.51:
	v_mul_u32_u24_e32 v1, 33, v20
	v_add_lshl_u32 v1, v1, v4, 4
	ds_read_b128 v[10:13], v1
	s_waitcnt lgkmcnt(0)
	v_xor_b32_e32 v13, 0x80000000, v13
	ds_write_b128 v17, v[10:13] offset:32
.LBB48_52:
	s_or_b64 exec, exec, s[10:11]
	v_or_b32_e32 v21, 3, v19
	v_cmp_le_u32_e64 s[10:11], v21, v4
	s_and_saveexec_b64 s[12:13], s[10:11]
	s_xor_b64 s[12:13], exec, s[12:13]
	s_cbranch_execz .LBB48_56
; %bb.53:
	v_cmp_eq_u32_e32 vcc, v21, v4
	s_and_saveexec_b64 s[14:15], vcc
	s_cbranch_execz .LBB48_55
; %bb.54:
	v_mul_u32_u24_e32 v1, 34, v4
	v_mov_b32_e32 v2, 0
	v_lshlrev_b32_e32 v1, 4, v1
	v_mov_b32_e32 v3, v2
	ds_write_b64 v1, v[2:3] offset:8
.LBB48_55:
	s_or_b64 exec, exec, s[14:15]
.LBB48_56:
	s_andn2_saveexec_b64 s[12:13], s[12:13]
	s_cbranch_execz .LBB48_58
; %bb.57:
	v_mul_u32_u24_e32 v1, 33, v21
	v_add_lshl_u32 v1, v1, v4, 4
	ds_read_b128 v[10:13], v1
	s_waitcnt lgkmcnt(0)
	v_xor_b32_e32 v13, 0x80000000, v13
	ds_write_b128 v17, v[10:13] offset:48
.LBB48_58:
	s_or_b64 exec, exec, s[12:13]
	v_mul_u32_u24_e32 v1, 0x84, v14
	v_lshlrev_b32_e32 v22, 4, v19
	s_waitcnt lgkmcnt(0)
	s_barrier
	v_add_lshl_u32 v16, v1, v4, 4
	ds_read_b128 v[10:13], v22 offset:18176
	ds_read_b128 v[24:27], v22 offset:18192
	ds_read_b128 v[28:31], v16
	ds_read_b128 v[32:35], v22 offset:18208
	ds_read_b128 v[46:49], v22 offset:18224
	v_add_lshl_u32 v45, v0, v4, 4
	ds_read_b128 v[0:3], v45
	s_waitcnt lgkmcnt(3)
	v_mul_f64 v[40:41], v[12:13], v[30:31]
	v_fma_f64 v[40:41], v[10:11], v[28:29], -v[40:41]
	v_mul_f64 v[10:11], v[10:11], v[30:31]
	v_fmac_f64_e32 v[10:11], v[12:13], v[28:29]
	v_add_f64 v[30:31], v[10:11], 0
	s_waitcnt lgkmcnt(0)
	v_mul_f64 v[10:11], v[26:27], v[2:3]
	v_add_f64 v[28:29], v[40:41], 0
	v_fma_f64 v[40:41], v[24:25], v[0:1], -v[10:11]
	v_mul_f64 v[2:3], v[24:25], v[2:3]
	ds_read_b128 v[10:13], v45 offset:528
	v_fmac_f64_e32 v[2:3], v[26:27], v[0:1]
	v_add_f64 v[26:27], v[30:31], v[2:3]
	ds_read_b128 v[0:3], v45 offset:1056
	v_add_f64 v[24:25], v[28:29], v[40:41]
	s_waitcnt lgkmcnt(1)
	v_mul_f64 v[28:29], v[34:35], v[12:13]
	v_fma_f64 v[28:29], v[32:33], v[10:11], -v[28:29]
	v_mul_f64 v[12:13], v[32:33], v[12:13]
	v_fmac_f64_e32 v[12:13], v[34:35], v[10:11]
	v_add_f64 v[10:11], v[24:25], v[28:29]
	s_waitcnt lgkmcnt(0)
	v_mul_f64 v[24:25], v[48:49], v[2:3]
	v_mul_f64 v[2:3], v[46:47], v[2:3]
	v_add_f64 v[12:13], v[26:27], v[12:13]
	v_fma_f64 v[24:25], v[46:47], v[0:1], -v[24:25]
	v_fmac_f64_e32 v[2:3], v[48:49], v[0:1]
	v_add_f64 v[0:1], v[10:11], v[24:25]
	v_add_f64 v[2:3], v[12:13], v[2:3]
	v_add_lshl_u32 v44, v14, v15, 4
	s_barrier
	ds_write_b128 v44, v[0:3]
	v_mov_b64_e32 v[0:1], 0
	v_cmp_gt_u32_e64 s[12:13], 32, v42
	v_lshlrev_b32_e32 v43, 4, v15
	v_mov_b64_e32 v[2:3], v[0:1]
	s_waitcnt lgkmcnt(0)
	s_barrier
	s_and_saveexec_b64 s[14:15], s[12:13]
	s_cbranch_execz .LBB48_60
; %bb.59:
	ds_read_b128 v[0:3], v43
	ds_read_b128 v[10:13], v43 offset:16
	ds_read_b128 v[24:27], v43 offset:32
	;; [unrolled: 1-line block ×3, first 2 shown]
	s_waitcnt lgkmcnt(2)
	v_add_f64 v[0:1], v[10:11], v[0:1]
	v_add_f64 v[10:11], v[12:13], v[2:3]
	s_waitcnt lgkmcnt(1)
	v_add_f64 v[12:13], v[0:1], v[24:25]
	ds_read_b128 v[0:3], v43 offset:64
	v_add_f64 v[10:11], v[10:11], v[26:27]
	s_waitcnt lgkmcnt(1)
	v_add_f64 v[24:25], v[12:13], v[28:29]
	v_add_f64 v[28:29], v[10:11], v[30:31]
	ds_read_b128 v[10:13], v43 offset:80
	s_waitcnt lgkmcnt(1)
	v_add_f64 v[30:31], v[24:25], v[0:1]
	ds_read_b128 v[24:27], v43 offset:96
	v_add_f64 v[28:29], v[28:29], v[2:3]
	ds_read_b128 v[0:3], v43 offset:112
	s_waitcnt lgkmcnt(2)
	v_add_f64 v[10:11], v[30:31], v[10:11]
	v_add_f64 v[12:13], v[28:29], v[12:13]
	s_waitcnt lgkmcnt(1)
	v_add_f64 v[10:11], v[10:11], v[24:25]
	v_add_f64 v[12:13], v[12:13], v[26:27]
	;; [unrolled: 3-line block ×3, first 2 shown]
.LBB48_60:
	s_or_b64 exec, exec, s[14:15]
	s_lshl_b64 s[14:15], s[22:23], 9
	v_lshl_add_u64 v[12:13], v[8:9], 0, s[14:15]
	s_mov_b64 s[14:15], 0x200
	v_lshl_add_u64 v[10:11], v[12:13], 0, s[14:15]
	s_and_b64 vcc, exec, s[30:31]
	s_barrier
	s_cbranch_vccz .LBB48_78
; %bb.61:
	v_or_b32_e32 v7, 32, v4
	v_lshlrev_b32_e32 v8, 4, v7
	v_sub_co_u32_e32 v8, vcc, v10, v8
	s_ashr_i32 s19, s18, 31
	s_nop 0
	v_subbrev_co_u32_e32 v9, vcc, 0, v11, vcc
	v_lshl_add_u64 v[8:9], s[18:19], 4, v[8:9]
	v_lshl_add_u64 v[8:9], v[8:9], 0, -16
	v_cmp_gt_i32_e32 vcc, s18, v7
	s_sub_i32 s36, s18, 32
	v_cmp_le_i32_e64 s[14:15], s36, v14
	v_cndmask_b32_e32 v9, v9, v11, vcc
	v_cndmask_b32_e32 v8, v8, v10, vcc
	v_add_lshl_u32 v7, v5, v4, 4
	s_and_saveexec_b64 s[38:39], s[14:15]
	s_xor_b64 s[14:15], exec, s[38:39]
	s_cbranch_execz .LBB48_63
; %bb.62:
	v_mov_b32_e32 v24, 0
	v_mov_b32_e32 v25, v24
	;; [unrolled: 1-line block ×4, first 2 shown]
	ds_write_b128 v7, v[24:27]
.LBB48_63:
	s_andn2_saveexec_b64 s[14:15], s[14:15]
	s_cbranch_execz .LBB48_65
; %bb.64:
	flat_load_dwordx4 v[24:27], v[8:9]
	s_waitcnt vmcnt(0) lgkmcnt(0)
	ds_write2_b64 v7, v[24:25], v[26:27] offset1:1
.LBB48_65:
	s_or_b64 exec, exec, s[14:15]
	v_add_u32_e32 v23, 8, v14
	v_cmp_le_i32_e64 s[14:15], s36, v23
	s_and_saveexec_b64 s[38:39], s[14:15]
	s_xor_b64 s[14:15], exec, s[38:39]
	s_cbranch_execz .LBB48_67
; %bb.66:
	v_mul_u32_u24_e32 v23, 33, v23
	v_mov_b32_e32 v24, 0
	v_add_lshl_u32 v23, v23, v4, 4
	v_mov_b32_e32 v25, v24
	v_mov_b32_e32 v26, v24
	;; [unrolled: 1-line block ×3, first 2 shown]
	ds_write_b128 v23, v[24:27]
.LBB48_67:
	s_andn2_saveexec_b64 s[14:15], s[14:15]
	s_cbranch_execz .LBB48_69
; %bb.68:
	s_lshl_b64 s[38:39], s[22:23], 7
	v_lshl_add_u64 v[24:25], v[8:9], 0, s[38:39]
	flat_load_dwordx4 v[24:27], v[24:25]
	v_add_u32_e32 v23, 0x1080, v7
	s_waitcnt vmcnt(0) lgkmcnt(0)
	ds_write2_b64 v23, v[24:25], v[26:27] offset1:1
.LBB48_69:
	s_or_b64 exec, exec, s[14:15]
	v_add_u32_e32 v23, 16, v14
	v_cmp_le_i32_e64 s[14:15], s36, v23
	s_and_saveexec_b64 s[38:39], s[14:15]
	s_xor_b64 s[14:15], exec, s[38:39]
	s_cbranch_execz .LBB48_71
; %bb.70:
	v_mov_b32_e32 v24, 0
	v_mov_b32_e32 v25, v24
	;; [unrolled: 1-line block ×4, first 2 shown]
	ds_write_b128 v7, v[24:27] offset:8448
.LBB48_71:
	s_andn2_saveexec_b64 s[14:15], s[14:15]
	s_cbranch_execz .LBB48_73
; %bb.72:
	s_lshl_b64 s[38:39], s[22:23], 8
	v_lshl_add_u64 v[24:25], v[8:9], 0, s[38:39]
	flat_load_dwordx4 v[24:27], v[24:25]
	v_add_u32_e32 v23, 0x2100, v7
	s_waitcnt vmcnt(0) lgkmcnt(0)
	ds_write2_b64 v23, v[24:25], v[26:27] offset1:1
.LBB48_73:
	s_or_b64 exec, exec, s[14:15]
	v_add_u32_e32 v23, 24, v14
	v_cmp_le_i32_e64 s[14:15], s36, v23
	s_and_saveexec_b64 s[36:37], s[14:15]
	s_xor_b64 s[14:15], exec, s[36:37]
	s_cbranch_execz .LBB48_75
; %bb.74:
	v_mov_b32_e32 v24, 0
	v_mov_b32_e32 v25, v24
	;; [unrolled: 1-line block ×4, first 2 shown]
	ds_write_b128 v7, v[24:27] offset:12672
                                        ; implicit-def: $vgpr7
.LBB48_75:
	s_andn2_saveexec_b64 s[14:15], s[14:15]
	s_cbranch_execz .LBB48_77
; %bb.76:
	v_mov_b32_e32 v23, 0x180
	v_mad_u64_u32 v[24:25], s[36:37], s22, v23, v[8:9]
	v_add_u32_e32 v25, s35, v25
	flat_load_dwordx4 v[24:27], v[24:25]
	v_add_u32_e32 v7, 0x3180, v7
	s_waitcnt vmcnt(0) lgkmcnt(0)
	ds_write2_b64 v7, v[24:25], v[26:27] offset1:1
.LBB48_77:
	s_or_b64 exec, exec, s[14:15]
	v_mov_b32_e32 v7, 0
	v_lshl_add_u64 v[8:9], v[8:9], 0, v[6:7]
	s_lshl_b64 s[14:15], s[18:19], 4
	v_mov_b32_e32 v7, s15
	v_subrev_co_u32_e64 v8, s[14:15], s14, v8
	s_nop 1
	v_subb_co_u32_e64 v9, s[14:15], v9, v7, s[14:15]
	s_mov_b64 s[14:15], 0x210
	s_nop 0
	v_lshl_add_u64 v[8:9], v[8:9], 0, s[14:15]
	v_cndmask_b32_e32 v9, v9, v11, vcc
	v_cndmask_b32_e32 v8, v8, v10, vcc
	s_branch .LBB48_80
.LBB48_78:
                                        ; implicit-def: $vgpr8_vgpr9
	s_cbranch_execz .LBB48_80
; %bb.79:
	flat_load_dwordx4 v[24:27], v[10:11]
	v_add_lshl_u32 v7, v5, v4, 4
	s_lshl_b64 s[14:15], s[22:23], 7
	v_lshl_add_u64 v[8:9], v[12:13], 0, s[14:15]
	v_add_u32_e32 v23, 0x1080, v7
	s_waitcnt vmcnt(0) lgkmcnt(0)
	ds_write2_b64 v7, v[24:25], v[26:27] offset1:1
	flat_load_dwordx4 v[24:27], v[8:9] offset:512
	v_lshl_add_u64 v[8:9], v[8:9], 0, s[14:15]
	s_waitcnt vmcnt(0) lgkmcnt(0)
	ds_write2_b64 v23, v[24:25], v[26:27] offset1:1
	flat_load_dwordx4 v[24:27], v[8:9] offset:512
	v_mov_b32_e32 v8, 0x180
	v_add_u32_e32 v23, 0x2100, v7
	v_mad_u64_u32 v[8:9], s[14:15], s22, v8, v[12:13]
	v_add_u32_e32 v9, s35, v9
	v_add_u32_e32 v7, 0x3180, v7
	s_waitcnt vmcnt(0) lgkmcnt(0)
	ds_write2_b64 v23, v[24:25], v[26:27] offset1:1
	flat_load_dwordx4 v[24:27], v[8:9] offset:512
	v_mov_b64_e32 v[8:9], v[10:11]
	s_waitcnt vmcnt(0) lgkmcnt(0)
	ds_write2_b64 v7, v[24:25], v[26:27] offset1:1
.LBB48_80:
	s_waitcnt lgkmcnt(0)
	s_barrier
	s_and_saveexec_b64 s[14:15], s[4:5]
	s_xor_b64 s[4:5], exec, s[14:15]
	s_cbranch_execnz .LBB48_109
; %bb.81:
	s_andn2_saveexec_b64 s[4:5], s[4:5]
	s_cbranch_execnz .LBB48_112
.LBB48_82:
	s_or_b64 exec, exec, s[4:5]
	s_and_saveexec_b64 s[4:5], s[6:7]
	s_xor_b64 s[4:5], exec, s[4:5]
	s_cbranch_execnz .LBB48_113
.LBB48_83:
	s_andn2_saveexec_b64 s[4:5], s[4:5]
	s_cbranch_execnz .LBB48_114
.LBB48_84:
	s_or_b64 exec, exec, s[4:5]
	s_and_saveexec_b64 s[4:5], s[8:9]
	s_xor_b64 s[4:5], exec, s[4:5]
	s_cbranch_execnz .LBB48_117
.LBB48_85:
	s_andn2_saveexec_b64 s[4:5], s[4:5]
	s_cbranch_execnz .LBB48_120
.LBB48_86:
	s_or_b64 exec, exec, s[4:5]
	s_and_saveexec_b64 s[4:5], s[10:11]
	s_xor_b64 s[4:5], exec, s[4:5]
	s_cbranch_execnz .LBB48_121
.LBB48_87:
	s_or_saveexec_b64 s[4:5], s[4:5]
	v_add_u32_e32 v18, 0x4700, v22
	s_xor_b64 exec, exec, s[4:5]
	s_cbranch_execz .LBB48_89
.LBB48_88:
	ds_read_b128 v[10:13], v45 offset:1056
	s_waitcnt lgkmcnt(0)
	v_xor_b32_e32 v13, 0x80000000, v13
	ds_write_b128 v17, v[10:13] offset:48
.LBB48_89:
	s_or_b64 exec, exec, s[4:5]
	s_waitcnt lgkmcnt(0)
	s_barrier
	ds_read_b128 v[10:13], v18 offset:512
	ds_read_b128 v[20:23], v16
	ds_read_b128 v[24:27], v18 offset:528
	ds_read_b128 v[28:31], v18 offset:544
	v_cmp_eq_u32_e64 s[4:5], 1, v14
	s_waitcnt lgkmcnt(2)
	v_mul_f64 v[32:33], v[12:13], v[22:23]
	v_fma_f64 v[40:41], v[10:11], v[20:21], -v[32:33]
	ds_read_b128 v[32:35], v18 offset:560
	ds_read_b128 v[46:49], v45
	v_mul_f64 v[10:11], v[10:11], v[22:23]
	v_fmac_f64_e32 v[10:11], v[12:13], v[20:21]
	v_add_f64 v[22:23], v[10:11], 0
	v_add_f64 v[20:21], v[40:41], 0
	s_waitcnt lgkmcnt(0)
	v_mul_f64 v[10:11], v[26:27], v[48:49]
	v_fma_f64 v[40:41], v[24:25], v[46:47], -v[10:11]
	v_mul_f64 v[24:25], v[24:25], v[48:49]
	ds_read_b128 v[10:13], v45 offset:528
	v_fmac_f64_e32 v[24:25], v[26:27], v[46:47]
	v_add_f64 v[26:27], v[20:21], v[40:41]
	v_add_f64 v[24:25], v[22:23], v[24:25]
	ds_read_b128 v[20:23], v45 offset:1056
	s_waitcnt lgkmcnt(1)
	v_mul_f64 v[40:41], v[30:31], v[12:13]
	v_mul_f64 v[12:13], v[28:29], v[12:13]
	v_fmac_f64_e32 v[12:13], v[30:31], v[10:11]
	v_fma_f64 v[40:41], v[28:29], v[10:11], -v[40:41]
	v_add_f64 v[12:13], v[24:25], v[12:13]
	s_waitcnt lgkmcnt(0)
	v_mul_f64 v[24:25], v[34:35], v[22:23]
	v_mul_f64 v[22:23], v[32:33], v[22:23]
	v_add_f64 v[10:11], v[26:27], v[40:41]
	v_fma_f64 v[24:25], v[32:33], v[20:21], -v[24:25]
	v_fmac_f64_e32 v[22:23], v[34:35], v[20:21]
	v_add_f64 v[10:11], v[10:11], v[24:25]
	v_add_f64 v[12:13], v[12:13], v[22:23]
	s_barrier
	ds_write_b128 v44, v[10:13]
	s_waitcnt lgkmcnt(0)
	s_barrier
	s_and_saveexec_b64 s[6:7], s[4:5]
	s_cbranch_execz .LBB48_91
; %bb.90:
	ds_read_b128 v[0:3], v43
	ds_read_b128 v[10:13], v43 offset:16
	ds_read_b128 v[20:23], v43 offset:32
	ds_read_b128 v[24:27], v43 offset:48
	s_waitcnt lgkmcnt(2)
	v_add_f64 v[0:1], v[10:11], v[0:1]
	v_add_f64 v[10:11], v[12:13], v[2:3]
	s_waitcnt lgkmcnt(1)
	v_add_f64 v[12:13], v[0:1], v[20:21]
	ds_read_b128 v[0:3], v43 offset:64
	v_add_f64 v[10:11], v[10:11], v[22:23]
	s_waitcnt lgkmcnt(1)
	v_add_f64 v[20:21], v[12:13], v[24:25]
	v_add_f64 v[24:25], v[10:11], v[26:27]
	ds_read_b128 v[10:13], v43 offset:80
	s_waitcnt lgkmcnt(1)
	v_add_f64 v[26:27], v[20:21], v[0:1]
	ds_read_b128 v[20:23], v43 offset:96
	v_add_f64 v[24:25], v[24:25], v[2:3]
	ds_read_b128 v[0:3], v43 offset:112
	s_waitcnt lgkmcnt(2)
	v_add_f64 v[10:11], v[26:27], v[10:11]
	v_add_f64 v[12:13], v[24:25], v[12:13]
	s_waitcnt lgkmcnt(1)
	v_add_f64 v[10:11], v[10:11], v[20:21]
	v_add_f64 v[12:13], v[12:13], v[22:23]
	;; [unrolled: 3-line block ×3, first 2 shown]
.LBB48_91:
	s_or_b64 exec, exec, s[6:7]
	s_movk_i32 s6, 0xfe00
	s_mov_b32 s7, -1
	v_lshl_add_u64 v[8:9], v[8:9], 0, s[6:7]
	s_and_b64 vcc, exec, s[30:31]
	s_barrier
	s_cbranch_vccz .LBB48_124
; %bb.92:
	v_sub_co_u32_e32 v10, vcc, v8, v6
	s_ashr_i32 s19, s18, 31
	s_nop 0
	v_subbrev_co_u32_e32 v11, vcc, 0, v9, vcc
	v_lshl_add_u64 v[10:11], s[18:19], 4, v[10:11]
	v_lshl_add_u64 v[10:11], v[10:11], 0, -16
	v_cmp_gt_i32_e32 vcc, s18, v4
	s_sub_i32 s8, s18, 32
	v_cmp_le_i32_e64 s[6:7], s8, v14
	v_cndmask_b32_e32 v11, v11, v9, vcc
	v_cndmask_b32_e32 v10, v10, v8, vcc
	v_add_lshl_u32 v7, v5, v4, 4
	s_and_saveexec_b64 s[10:11], s[6:7]
	s_xor_b64 s[6:7], exec, s[10:11]
	s_cbranch_execz .LBB48_94
; %bb.93:
	v_mov_b32_e32 v20, 0
	v_mov_b32_e32 v21, v20
	v_mov_b32_e32 v22, v20
	v_mov_b32_e32 v23, v20
	ds_write_b128 v7, v[20:23]
.LBB48_94:
	s_andn2_saveexec_b64 s[6:7], s[6:7]
	s_cbranch_execz .LBB48_96
; %bb.95:
	flat_load_dwordx4 v[20:23], v[10:11]
	s_waitcnt vmcnt(0) lgkmcnt(0)
	ds_write2_b64 v7, v[20:21], v[22:23] offset1:1
.LBB48_96:
	s_or_b64 exec, exec, s[6:7]
	v_add_u32_e32 v12, 8, v14
	v_cmp_le_i32_e64 s[6:7], s8, v12
	s_and_saveexec_b64 s[10:11], s[6:7]
	s_xor_b64 s[6:7], exec, s[10:11]
	s_cbranch_execz .LBB48_98
; %bb.97:
	v_mul_u32_u24_e32 v13, 33, v12
	v_mov_b32_e32 v20, 0
	v_add_lshl_u32 v13, v13, v4, 4
	v_mov_b32_e32 v21, v20
	v_mov_b32_e32 v22, v20
	;; [unrolled: 1-line block ×3, first 2 shown]
	ds_write_b128 v13, v[20:23]
.LBB48_98:
	s_andn2_saveexec_b64 s[6:7], s[6:7]
	s_cbranch_execz .LBB48_100
; %bb.99:
	s_lshl_b64 s[10:11], s[22:23], 7
	v_lshl_add_u64 v[20:21], v[10:11], 0, s[10:11]
	flat_load_dwordx4 v[20:23], v[20:21]
	v_add_u32_e32 v13, 0x1080, v7
	s_waitcnt vmcnt(0) lgkmcnt(0)
	ds_write2_b64 v13, v[20:21], v[22:23] offset1:1
.LBB48_100:
	s_or_b64 exec, exec, s[6:7]
	v_add_u32_e32 v13, 16, v14
	v_cmp_le_i32_e64 s[6:7], s8, v13
	s_and_saveexec_b64 s[10:11], s[6:7]
	s_xor_b64 s[6:7], exec, s[10:11]
	s_cbranch_execz .LBB48_102
; %bb.101:
	v_mov_b32_e32 v20, 0
	v_mov_b32_e32 v21, v20
	;; [unrolled: 1-line block ×4, first 2 shown]
	ds_write_b128 v7, v[20:23] offset:8448
.LBB48_102:
	s_andn2_saveexec_b64 s[6:7], s[6:7]
	s_cbranch_execz .LBB48_104
; %bb.103:
	s_lshl_b64 s[10:11], s[22:23], 8
	v_lshl_add_u64 v[20:21], v[10:11], 0, s[10:11]
	flat_load_dwordx4 v[20:23], v[20:21]
	v_add_u32_e32 v17, 0x2100, v7
	s_waitcnt vmcnt(0) lgkmcnt(0)
	ds_write2_b64 v17, v[20:21], v[22:23] offset1:1
.LBB48_104:
	s_or_b64 exec, exec, s[6:7]
	v_add_u32_e32 v17, 24, v14
	v_cmp_le_i32_e64 s[6:7], s8, v17
	s_and_saveexec_b64 s[8:9], s[6:7]
	s_xor_b64 s[6:7], exec, s[8:9]
	s_cbranch_execz .LBB48_106
; %bb.105:
	v_mov_b32_e32 v20, 0
	v_mov_b32_e32 v21, v20
	;; [unrolled: 1-line block ×4, first 2 shown]
	ds_write_b128 v7, v[20:23] offset:12672
                                        ; implicit-def: $vgpr7
.LBB48_106:
	s_andn2_saveexec_b64 s[6:7], s[6:7]
	s_cbranch_execz .LBB48_108
; %bb.107:
	v_mov_b32_e32 v19, 0x180
	v_mad_u64_u32 v[20:21], s[8:9], s22, v19, v[10:11]
	v_add_u32_e32 v21, s35, v21
	flat_load_dwordx4 v[20:23], v[20:21]
	v_add_u32_e32 v7, 0x3180, v7
	s_waitcnt vmcnt(0) lgkmcnt(0)
	ds_write2_b64 v7, v[20:21], v[22:23] offset1:1
.LBB48_108:
	s_or_b64 exec, exec, s[6:7]
	v_mov_b32_e32 v7, 0
	v_lshl_add_u64 v[6:7], v[10:11], 0, v[6:7]
	s_lshl_b64 s[6:7], s[18:19], 4
	v_mov_b32_e32 v10, s7
	v_subrev_co_u32_e64 v6, s[6:7], s6, v6
	s_nop 1
	v_subb_co_u32_e64 v7, s[6:7], v7, v10, s[6:7]
	v_lshl_add_u64 v[6:7], v[6:7], 0, 16
	v_cndmask_b32_e32 v41, v7, v9, vcc
	v_cndmask_b32_e32 v40, v6, v8, vcc
	s_branch .LBB48_126
.LBB48_109:
	v_cmp_eq_u32_e32 vcc, v19, v4
	s_and_saveexec_b64 s[14:15], vcc
	s_cbranch_execz .LBB48_111
; %bb.110:
	v_mul_u32_u24_e32 v7, 34, v4
	v_mov_b32_e32 v10, 0
	v_lshlrev_b32_e32 v7, 4, v7
	v_mov_b32_e32 v11, v10
	ds_write_b64 v7, v[10:11] offset:8
.LBB48_111:
	s_or_b64 exec, exec, s[14:15]
	s_andn2_saveexec_b64 s[4:5], s[4:5]
	s_cbranch_execz .LBB48_82
.LBB48_112:
	ds_read_b128 v[10:13], v16
	s_waitcnt lgkmcnt(0)
	v_xor_b32_e32 v13, 0x80000000, v13
	ds_write_b128 v17, v[10:13]
	s_or_b64 exec, exec, s[4:5]
	s_and_saveexec_b64 s[4:5], s[6:7]
	s_xor_b64 s[4:5], exec, s[4:5]
	s_cbranch_execz .LBB48_83
.LBB48_113:
	ds_read_b128 v[10:13], v45
                                        ; implicit-def: $vgpr18
	s_waitcnt lgkmcnt(0)
	v_xor_b32_e32 v13, 0x80000000, v13
	ds_write_b128 v17, v[10:13] offset:16
	s_andn2_saveexec_b64 s[4:5], s[4:5]
	s_cbranch_execz .LBB48_84
.LBB48_114:
	v_cmp_eq_u32_e32 vcc, v18, v4
	s_and_saveexec_b64 s[6:7], vcc
	s_cbranch_execz .LBB48_116
; %bb.115:
	v_mul_u32_u24_e32 v7, 34, v4
	v_mov_b32_e32 v10, 0
	v_lshlrev_b32_e32 v7, 4, v7
	v_mov_b32_e32 v11, v10
	ds_write_b64 v7, v[10:11] offset:8
.LBB48_116:
	s_or_b64 exec, exec, s[6:7]
	s_or_b64 exec, exec, s[4:5]
	s_and_saveexec_b64 s[4:5], s[8:9]
	s_xor_b64 s[4:5], exec, s[4:5]
	s_cbranch_execz .LBB48_85
.LBB48_117:
	v_cmp_eq_u32_e32 vcc, v20, v4
	s_and_saveexec_b64 s[6:7], vcc
	s_cbranch_execz .LBB48_119
; %bb.118:
	v_mul_u32_u24_e32 v7, 34, v4
	v_mov_b32_e32 v10, 0
	v_lshlrev_b32_e32 v7, 4, v7
	v_mov_b32_e32 v11, v10
	ds_write_b64 v7, v[10:11] offset:8
.LBB48_119:
	s_or_b64 exec, exec, s[6:7]
	s_andn2_saveexec_b64 s[4:5], s[4:5]
	s_cbranch_execz .LBB48_86
.LBB48_120:
	ds_read_b128 v[10:13], v45 offset:528
	s_waitcnt lgkmcnt(0)
	v_xor_b32_e32 v13, 0x80000000, v13
	ds_write_b128 v17, v[10:13] offset:32
	s_or_b64 exec, exec, s[4:5]
	s_and_saveexec_b64 s[4:5], s[10:11]
	s_xor_b64 s[4:5], exec, s[4:5]
	s_cbranch_execz .LBB48_87
.LBB48_121:
	v_cmp_eq_u32_e32 vcc, v21, v4
	s_and_saveexec_b64 s[6:7], vcc
	s_cbranch_execz .LBB48_123
; %bb.122:
	v_mul_u32_u24_e32 v7, 34, v4
	v_mov_b32_e32 v10, 0
	v_lshlrev_b32_e32 v7, 4, v7
	v_mov_b32_e32 v11, v10
	ds_write_b64 v7, v[10:11] offset:8
.LBB48_123:
	s_or_b64 exec, exec, s[6:7]
                                        ; implicit-def: $vgpr17
	s_or_saveexec_b64 s[4:5], s[4:5]
	v_add_u32_e32 v18, 0x4700, v22
	s_xor_b64 exec, exec, s[4:5]
	s_cbranch_execnz .LBB48_88
	s_branch .LBB48_89
.LBB48_124:
                                        ; implicit-def: $vgpr40_vgpr41
                                        ; implicit-def: $vgpr12
                                        ; implicit-def: $vgpr13
                                        ; implicit-def: $vgpr17
	s_cbranch_execz .LBB48_126
; %bb.125:
	flat_load_dwordx4 v[10:13], v[8:9]
	v_add_lshl_u32 v19, v5, v4, 4
	s_lshl_b64 s[6:7], s[22:23], 7
	v_lshl_add_u64 v[20:21], v[8:9], 0, s[6:7]
	v_add_u32_e32 v17, 24, v14
	v_mov_b64_e32 v[40:41], v[8:9]
	s_waitcnt vmcnt(0) lgkmcnt(0)
	ds_write2_b64 v19, v[10:11], v[12:13] offset1:1
	flat_load_dwordx4 v[4:7], v[20:21]
	v_add_u32_e32 v12, 0x1080, v19
	v_lshl_add_u64 v[10:11], v[20:21], 0, s[6:7]
	v_add_u32_e32 v13, 16, v14
	s_waitcnt vmcnt(0) lgkmcnt(0)
	ds_write2_b64 v12, v[4:5], v[6:7] offset1:1
	flat_load_dwordx4 v[4:7], v[10:11]
	v_mov_b32_e32 v10, 0x180
	v_add_u32_e32 v12, 0x2100, v19
	v_mad_u64_u32 v[10:11], s[6:7], s22, v10, v[8:9]
	v_add_u32_e32 v11, s35, v11
	s_waitcnt vmcnt(0) lgkmcnt(0)
	ds_write2_b64 v12, v[4:5], v[6:7] offset1:1
	flat_load_dwordx4 v[4:7], v[10:11]
	v_add_u32_e32 v12, 8, v14
	v_add_u32_e32 v10, 0x3180, v19
	s_waitcnt vmcnt(0) lgkmcnt(0)
	ds_write2_b64 v10, v[4:5], v[6:7] offset1:1
.LBB48_126:
	v_lshlrev_b32_e32 v4, 4, v14
	s_waitcnt lgkmcnt(0)
	s_barrier
	ds_read_b128 v[46:49], v44
	ds_read_b128 v[50:53], v4 offset:18176
	v_add_lshl_u32 v4, v12, v15, 4
	v_lshlrev_b32_e32 v5, 4, v12
	ds_read_b128 v[54:57], v4
	ds_read_b128 v[58:61], v5 offset:18176
	s_waitcnt lgkmcnt(2)
	v_mul_f64 v[4:5], v[48:49], v[52:53]
	v_fmac_f64_e32 v[4:5], v[46:47], v[50:51]
	v_add_f64 v[4:5], v[4:5], 0
	s_waitcnt lgkmcnt(0)
	v_mul_f64 v[6:7], v[56:57], v[60:61]
	v_fmac_f64_e32 v[6:7], v[54:55], v[58:59]
	v_add_f64 v[4:5], v[4:5], v[6:7]
	v_add_lshl_u32 v6, v13, v15, 4
	v_mul_f64 v[70:71], v[48:49], v[50:51]
	v_mul_f64 v[72:73], v[56:57], v[58:59]
	v_lshlrev_b32_e32 v7, 4, v13
	ds_read_b128 v[48:51], v6
	ds_read_b128 v[56:59], v7 offset:18176
	v_add_lshl_u32 v6, v17, v15, 4
	v_lshlrev_b32_e32 v7, 4, v17
	ds_read_b128 v[62:65], v6
	ds_read_b128 v[66:69], v7 offset:18176
	v_fma_f64 v[46:47], v[46:47], v[52:53], -v[70:71]
	s_waitcnt lgkmcnt(2)
	v_mul_f64 v[6:7], v[50:51], v[58:59]
	v_fmac_f64_e32 v[6:7], v[48:49], v[56:57]
	v_add_f64 v[4:5], v[4:5], v[6:7]
	s_waitcnt lgkmcnt(0)
	v_mul_f64 v[6:7], v[64:65], v[68:69]
	v_fmac_f64_e32 v[6:7], v[62:63], v[66:67]
	v_mul_f64 v[56:57], v[50:51], v[56:57]
	v_add_f64 v[50:51], v[4:5], v[6:7]
	ds_read_b128 v[20:23], v18 offset:528
	ds_read_b128 v[12:15], v18 offset:544
	;; [unrolled: 1-line block ×3, first 2 shown]
	ds_read_b128 v[32:35], v16
	ds_read_b128 v[4:7], v18 offset:560
	ds_read_b128 v[24:27], v45
	ds_read_b128 v[16:19], v45 offset:528
	ds_read_b128 v[8:11], v45 offset:1056
	v_add_f64 v[46:47], v[46:47], 0
	v_fma_f64 v[52:53], v[54:55], v[60:61], -v[72:73]
	v_mul_f64 v[64:65], v[64:65], v[66:67]
	v_add_f64 v[46:47], v[46:47], v[52:53]
	v_fma_f64 v[48:49], v[48:49], v[58:59], -v[56:57]
	v_add_f64 v[46:47], v[46:47], v[48:49]
	v_fma_f64 v[48:49], v[62:63], v[68:69], -v[64:65]
	v_add_f64 v[52:53], v[46:47], v[48:49]
	s_waitcnt lgkmcnt(0)
	s_barrier
	ds_write_b128 v44, v[50:53]
	s_waitcnt lgkmcnt(0)
	s_barrier
	s_and_saveexec_b64 s[6:7], s[4:5]
	s_cbranch_execz .LBB48_128
; %bb.127:
	ds_read_b128 v[46:49], v43
	ds_read_b128 v[50:53], v43 offset:16
	ds_read_b128 v[54:57], v43 offset:32
	ds_read_b128 v[58:61], v43 offset:48
	s_waitcnt lgkmcnt(3)
	v_add_f64 v[0:1], v[0:1], v[46:47]
	v_add_f64 v[2:3], v[2:3], v[48:49]
	s_waitcnt lgkmcnt(2)
	v_add_f64 v[0:1], v[0:1], v[50:51]
	v_add_f64 v[46:47], v[2:3], v[52:53]
	s_waitcnt lgkmcnt(1)
	v_add_f64 v[48:49], v[0:1], v[54:55]
	ds_read_b128 v[0:3], v43 offset:64
	v_add_f64 v[46:47], v[46:47], v[56:57]
	s_waitcnt lgkmcnt(1)
	v_add_f64 v[50:51], v[48:49], v[58:59]
	v_add_f64 v[54:55], v[46:47], v[60:61]
	ds_read_b128 v[46:49], v43 offset:80
	s_waitcnt lgkmcnt(1)
	v_add_f64 v[56:57], v[50:51], v[0:1]
	ds_read_b128 v[50:53], v43 offset:96
	v_add_f64 v[54:55], v[54:55], v[2:3]
	ds_read_b128 v[0:3], v43 offset:112
	s_waitcnt lgkmcnt(2)
	v_add_f64 v[46:47], v[56:57], v[46:47]
	v_add_f64 v[48:49], v[54:55], v[48:49]
	s_waitcnt lgkmcnt(1)
	v_add_f64 v[46:47], v[46:47], v[50:51]
	v_add_f64 v[48:49], v[48:49], v[52:53]
	;; [unrolled: 3-line block ×3, first 2 shown]
.LBB48_128:
	s_or_b64 exec, exec, s[6:7]
	v_mul_f64 v[46:47], v[30:31], v[34:35]
	v_fma_f64 v[46:47], v[28:29], v[32:33], -v[46:47]
	v_mul_f64 v[28:29], v[28:29], v[34:35]
	v_fmac_f64_e32 v[28:29], v[30:31], v[32:33]
	v_mul_f64 v[32:33], v[22:23], v[26:27]
	v_fma_f64 v[32:33], v[20:21], v[24:25], -v[32:33]
	v_mul_f64 v[20:21], v[20:21], v[26:27]
	v_fmac_f64_e32 v[20:21], v[22:23], v[24:25]
	v_mul_f64 v[24:25], v[14:15], v[18:19]
	v_add_f64 v[30:31], v[46:47], 0
	v_add_f64 v[28:29], v[28:29], 0
	v_fma_f64 v[24:25], v[12:13], v[16:17], -v[24:25]
	v_mul_f64 v[12:13], v[12:13], v[18:19]
	v_add_f64 v[22:23], v[30:31], v[32:33]
	v_add_f64 v[20:21], v[28:29], v[20:21]
	v_fmac_f64_e32 v[12:13], v[14:15], v[16:17]
	v_mul_f64 v[16:17], v[6:7], v[10:11]
	v_mul_f64 v[10:11], v[4:5], v[10:11]
	v_add_f64 v[14:15], v[22:23], v[24:25]
	v_add_f64 v[12:13], v[20:21], v[12:13]
	v_fma_f64 v[16:17], v[4:5], v[8:9], -v[16:17]
	v_fmac_f64_e32 v[10:11], v[6:7], v[8:9]
	v_add_f64 v[4:5], v[14:15], v[16:17]
	v_add_f64 v[6:7], v[12:13], v[10:11]
	s_barrier
	ds_write_b128 v44, v[4:7]
	s_waitcnt lgkmcnt(0)
	s_barrier
	s_and_saveexec_b64 s[4:5], s[12:13]
	s_cbranch_execz .LBB48_130
; %bb.129:
	ds_read_b128 v[4:7], v43
	ds_read_b128 v[8:11], v43 offset:16
	ds_read_b128 v[12:15], v43 offset:32
	;; [unrolled: 1-line block ×3, first 2 shown]
	s_waitcnt lgkmcnt(3)
	v_add_f64 v[0:1], v[0:1], v[4:5]
	v_add_f64 v[2:3], v[2:3], v[6:7]
	s_waitcnt lgkmcnt(2)
	v_add_f64 v[0:1], v[0:1], v[8:9]
	v_add_f64 v[4:5], v[2:3], v[10:11]
	s_waitcnt lgkmcnt(1)
	v_add_f64 v[6:7], v[0:1], v[12:13]
	ds_read_b128 v[0:3], v43 offset:64
	v_add_f64 v[4:5], v[4:5], v[14:15]
	s_waitcnt lgkmcnt(1)
	v_add_f64 v[8:9], v[6:7], v[16:17]
	v_add_f64 v[12:13], v[4:5], v[18:19]
	ds_read_b128 v[4:7], v43 offset:80
	s_waitcnt lgkmcnt(1)
	v_add_f64 v[14:15], v[8:9], v[0:1]
	ds_read_b128 v[8:11], v43 offset:96
	v_add_f64 v[12:13], v[12:13], v[2:3]
	ds_read_b128 v[0:3], v43 offset:112
	s_waitcnt lgkmcnt(2)
	v_add_f64 v[4:5], v[14:15], v[4:5]
	v_add_f64 v[6:7], v[12:13], v[6:7]
	s_waitcnt lgkmcnt(1)
	v_add_f64 v[4:5], v[4:5], v[8:9]
	v_add_f64 v[6:7], v[6:7], v[10:11]
	;; [unrolled: 3-line block ×3, first 2 shown]
.LBB48_130:
	s_or_b64 exec, exec, s[4:5]
	s_mul_hi_u32 s4, s25, s24
	s_mul_i32 s34, s34, s24
	s_add_i32 s4, s4, s34
	s_mul_i32 s6, s25, s24
	s_mul_i32 s4, s4, s3
	s_mul_hi_u32 s5, s6, s3
	s_add_i32 s5, s5, s4
	s_mul_i32 s4, s6, s3
	s_lshl_b64 s[4:5], s[4:5], 4
	s_add_u32 s6, s26, s4
	s_addc_u32 s7, s27, s5
	s_mul_hi_i32 s5, s25, s2
	s_mul_i32 s4, s25, s2
	s_lshl_b64 s[4:5], s[4:5], 4
	s_add_u32 s8, s6, s4
	s_addc_u32 s9, s7, s5
	s_add_i32 s4, s2, 1
	s_cmp_ge_u32 s4, s3
	v_lshlrev_b32_e32 v168, 4, v204
	s_barrier
	s_cbranch_scc1 .LBB48_188
; %bb.131:
	s_mul_i32 s4, s28, s17
	s_mul_hi_u32 s5, s28, s16
	s_add_i32 s4, s5, s4
	s_mul_i32 s5, s29, s16
	s_add_i32 s5, s4, s5
	s_mul_i32 s4, s28, s16
	s_lshl_b64 s[4:5], s[4:5], 4
	v_mov_b32_e32 v4, s5
	v_subrev_co_u32_e32 v170, vcc, s4, v36
	v_and_b32_e32 v6, 48, v204
	s_nop 0
	v_subb_co_u32_e32 v171, vcc, v37, v4, vcc
	v_and_b32_e32 v4, 15, v204
	v_lshlrev_b32_e32 v7, 4, v6
	s_movk_i32 s4, 0x430
	v_lshrrev_b32_e32 v5, 4, v42
	v_mad_u32_u24 v209, v4, s4, v7
	v_or_b32_e32 v7, 0xf0, v168
	v_mad_u32_u24 v210, v4, s4, v7
	v_lshlrev_b32_e32 v7, 6, v5
	v_lshlrev_b32_e32 v12, 6, v205
	v_mad_u32_u24 v211, v4, s4, v7
	s_movk_i32 s4, 0x10c0
	v_mul_i32_i24_e32 v13, 0xffffffd0, v5
	v_add_u32_e32 v5, 0x220, v12
	v_mad_u32_u24 v216, v205, s4, v168
	v_or_b32_e32 v229, v6, v4
	v_mad_u64_u32 v[6:7], s[4:5], s22, v5, 0
	v_mov_b32_e32 v8, v7
	v_mad_u64_u32 v[8:9], s[4:5], s23, v5, v[8:9]
	v_mov_b32_e32 v5, v8
	v_lshlrev_b64 v[8:9], 4, v[38:39]
	v_sub_co_u32_e32 v6, vcc, v6, v8
	v_lshlrev_b32_e32 v206, 2, v205
	s_nop 0
	v_subb_co_u32_e32 v7, vcc, v5, v9, vcc
	v_add_u32_e32 v5, 0x530, v12
	v_lshl_add_u64 v[172:173], v[40:41], 0, v[6:7]
	v_mad_u64_u32 v[6:7], s[4:5], s22, v5, 0
	v_mov_b32_e32 v10, v7
	v_mad_u64_u32 v[10:11], s[4:5], s23, v5, v[10:11]
	v_mov_b32_e32 v5, v10
	v_sub_co_u32_e32 v6, vcc, v6, v8
	v_mov_b32_e32 v4, 0
	s_nop 0
	v_subb_co_u32_e32 v7, vcc, v5, v9, vcc
	v_add_u32_e32 v5, 0x210, v12
	v_lshl_add_u64 v[174:175], v[40:41], 0, v[6:7]
	v_mad_u64_u32 v[6:7], s[4:5], s22, v5, 0
	v_mov_b32_e32 v10, v7
	v_mad_u64_u32 v[10:11], s[4:5], s23, v5, v[10:11]
	v_mov_b32_e32 v5, v10
	v_sub_co_u32_e32 v6, vcc, v6, v8
	s_add_i32 s19, s3, -2
	s_nop 0
	v_subb_co_u32_e32 v7, vcc, v5, v9, vcc
	v_add_u32_e32 v5, 0x500, v12
	v_lshl_add_u64 v[176:177], v[40:41], 0, v[6:7]
	v_mad_u64_u32 v[6:7], s[4:5], s22, v5, 0
	v_mov_b32_e32 v10, v7
	v_mad_u64_u32 v[10:11], s[4:5], s23, v5, v[10:11]
	v_mov_b32_e32 v5, v10
	v_sub_co_u32_e32 v6, vcc, v6, v8
	v_add_u32_e32 v207, 0x4300, v168
	s_nop 0
	v_subb_co_u32_e32 v7, vcc, v5, v9, vcc
	v_add_u32_e32 v5, 0x200, v12
	v_lshl_add_u64 v[178:179], v[40:41], 0, v[6:7]
	v_mad_u64_u32 v[6:7], s[4:5], s22, v5, 0
	v_mov_b32_e32 v10, v7
	v_mad_u64_u32 v[10:11], s[4:5], s23, v5, v[10:11]
	v_mov_b32_e32 v5, v10
	v_sub_co_u32_e32 v6, vcc, v6, v8
	v_add_u32_e32 v208, 0x4700, v168
	s_nop 0
	v_subb_co_u32_e32 v7, vcc, v5, v9, vcc
	v_add_u32_e32 v5, 0x510, v12
	v_lshl_add_u64 v[180:181], v[40:41], 0, v[6:7]
	v_mad_u64_u32 v[6:7], s[4:5], s22, v5, 0
	v_mov_b32_e32 v10, v7
	v_mad_u64_u32 v[10:11], s[4:5], s23, v5, v[10:11]
	v_mov_b32_e32 v5, v10
	v_sub_co_u32_e32 v6, vcc, v6, v8
	v_cmp_gt_u32_e64 s[6:7], 64, v42
	s_nop 0
	v_subb_co_u32_e32 v7, vcc, v5, v9, vcc
	v_add_u32_e32 v5, 0x230, v12
	v_lshl_add_u64 v[182:183], v[40:41], 0, v[6:7]
	v_mad_u64_u32 v[6:7], s[4:5], s22, v5, 0
	v_mov_b32_e32 v10, v7
	v_mad_u64_u32 v[10:11], s[4:5], s23, v5, v[10:11]
	v_mov_b32_e32 v5, v10
	v_sub_co_u32_e32 v6, vcc, v6, v8
	v_or_b32_e32 v212, 1, v206
	s_nop 0
	v_subb_co_u32_e32 v7, vcc, v5, v9, vcc
	v_add_u32_e32 v5, 0x320, v12
	v_lshl_add_u64 v[184:185], v[40:41], 0, v[6:7]
	v_mad_u64_u32 v[6:7], s[4:5], s22, v5, 0
	v_mov_b32_e32 v10, v7
	v_mad_u64_u32 v[10:11], s[4:5], s23, v5, v[10:11]
	v_mov_b32_e32 v5, v10
	v_sub_co_u32_e32 v6, vcc, v6, v8
	v_or_b32_e32 v213, 2, v206
	;; [unrolled: 10-line block ×3, first 2 shown]
	s_nop 0
	v_subb_co_u32_e32 v7, vcc, v5, v9, vcc
	v_add_u32_e32 v5, 0x430, v12
	v_lshl_add_u64 v[188:189], v[40:41], 0, v[6:7]
	v_mad_u64_u32 v[6:7], s[4:5], s22, v5, 0
	v_mov_b32_e32 v10, v7
	v_mad_u64_u32 v[10:11], s[4:5], s23, v5, v[10:11]
	v_mov_b32_e32 v5, v10
	v_sub_co_u32_e32 v6, vcc, v6, v8
	v_add_u32_e32 v215, 0x4300, v12
	s_nop 0
	v_subb_co_u32_e32 v7, vcc, v5, v9, vcc
	v_add_u32_e32 v5, 0x310, v12
	v_lshl_add_u64 v[190:191], v[40:41], 0, v[6:7]
	v_mad_u64_u32 v[6:7], s[4:5], s22, v5, 0
	v_mov_b32_e32 v10, v7
	v_mad_u64_u32 v[10:11], s[4:5], s23, v5, v[10:11]
	v_mov_b32_e32 v5, v10
	v_sub_co_u32_e32 v6, vcc, v6, v8
	v_add_u32_e32 v217, 16, v206
	;; [unrolled: 10-line block ×7, first 2 shown]
	s_nop 0
	v_subb_co_u32_e32 v7, vcc, v5, v9, vcc
	v_add_u32_e32 v223, 34, v206
	v_add_u32_e32 v224, 35, v206
	;; [unrolled: 1-line block ×6, first 2 shown]
	s_add_i32 s26, s28, 64
	v_mov_b32_e32 v169, v4
	s_lshl_b64 s[10:11], s[22:23], 10
	v_lshl_add_u64 v[202:203], v[40:41], 0, v[6:7]
	v_add_u32_e32 v230, v211, v13
	s_cmp_eq_u32 s19, s2
	s_cselect_b32 s27, s33, 0
	s_and_saveexec_b64 s[4:5], s[0:1]
	s_cbranch_execz .LBB48_136
.LBB48_132:
	s_cmp_lg_u32 s27, 0
	s_cselect_b64 s[12:13], -1, 0
	v_cmp_le_i32_e32 vcc, s27, v204
	s_and_b64 s[12:13], s[12:13], vcc
	s_and_saveexec_b64 s[14:15], s[12:13]
	s_xor_b64 s[12:13], exec, s[14:15]
	s_cbranch_execz .LBB48_134
; %bb.133:
	v_mov_b32_e32 v5, v4
	v_mov_b32_e32 v6, v4
	;; [unrolled: 1-line block ×3, first 2 shown]
	ds_write_b128 v207, v[4:7]
.LBB48_134:
	s_andn2_saveexec_b64 s[12:13], s[12:13]
	s_cbranch_execz .LBB48_136
; %bb.135:
	s_ashr_i32 s12, s26, 31
	s_mul_i32 s13, s26, s17
	s_mul_hi_u32 s14, s26, s16
	s_add_i32 s13, s14, s13
	s_mul_i32 s12, s12, s16
	s_add_i32 s13, s13, s12
	s_mul_i32 s12, s26, s16
	v_lshl_add_u64 v[6:7], s[12:13], 4, v[170:171]
	flat_load_dwordx4 v[6:9], v[6:7]
	s_waitcnt vmcnt(0) lgkmcnt(0)
	ds_write2_b64 v207, v[6:7], v[8:9] offset1:1
.LBB48_136:                             ; =>This Inner Loop Header: Depth=1
	s_or_b64 exec, exec, s[4:5]
	s_cmp_eq_u32 s27, 0
	s_cselect_b64 s[12:13], -1, 0
	s_cmp_lg_u32 s27, 0
	s_cselect_b64 s[14:15], -1, 0
	v_lshl_add_u64 v[18:19], v[180:181], 0, v[168:169]
	s_and_b64 vcc, exec, s[14:15]
	s_waitcnt lgkmcnt(0)
	s_barrier
	s_cbranch_vccz .LBB48_144
; %bb.137:                              ;   in Loop: Header=BB48_136 Depth=1
	v_mov_b64_e32 v[10:11], 0
	v_cmp_gt_i32_e32 vcc, s27, v206
	v_mov_b64_e32 v[6:7], v[10:11]
	v_mov_b64_e32 v[8:9], v[10:11]
	s_and_saveexec_b64 s[4:5], vcc
	s_cbranch_execz .LBB48_139
; %bb.138:                              ;   in Loop: Header=BB48_136 Depth=1
	flat_load_dwordx4 v[6:9], v[18:19]
.LBB48_139:                             ;   in Loop: Header=BB48_136 Depth=1
	s_or_b64 exec, exec, s[4:5]
	v_cmp_gt_i32_e32 vcc, s27, v212
	v_mov_b64_e32 v[12:13], v[10:11]
	s_and_saveexec_b64 s[4:5], vcc
	s_cbranch_execz .LBB48_141
; %bb.140:                              ;   in Loop: Header=BB48_136 Depth=1
	v_lshl_add_u64 v[10:11], v[176:177], 0, v[168:169]
	flat_load_dwordx4 v[10:13], v[10:11]
.LBB48_141:                             ;   in Loop: Header=BB48_136 Depth=1
	s_or_b64 exec, exec, s[4:5]
	v_mov_b64_e32 v[14:15], 0
	v_cmp_gt_i32_e32 vcc, s27, v213
	s_mov_b64 s[24:25], 0
	v_mov_b64_e32 v[16:17], v[14:15]
	s_and_saveexec_b64 s[4:5], vcc
	s_cbranch_execz .LBB48_143
; %bb.142:                              ;   in Loop: Header=BB48_136 Depth=1
	v_lshl_add_u64 v[14:15], v[172:173], 0, v[168:169]
	flat_load_dwordx4 v[14:17], v[14:15]
.LBB48_143:                             ;   in Loop: Header=BB48_136 Depth=1
	s_or_b64 exec, exec, s[4:5]
	v_cmp_gt_i32_e64 s[4:5], s27, v214
	s_mov_b64 s[22:23], 0
	s_and_b64 vcc, exec, s[24:25]
	s_cbranch_vccnz .LBB48_145
	s_branch .LBB48_146
.LBB48_144:                             ;   in Loop: Header=BB48_136 Depth=1
	s_mov_b64 s[4:5], 0
                                        ; implicit-def: $sgpr22_sgpr23
                                        ; implicit-def: $vgpr16_vgpr17
                                        ; implicit-def: $vgpr12_vgpr13
                                        ; implicit-def: $vgpr8_vgpr9
	s_cbranch_execz .LBB48_146
.LBB48_145:                             ;   in Loop: Header=BB48_136 Depth=1
	s_waitcnt vmcnt(0) lgkmcnt(0)
	v_lshl_add_u64 v[10:11], v[176:177], 0, v[168:169]
	v_lshl_add_u64 v[14:15], v[172:173], 0, v[168:169]
	flat_load_dwordx4 v[6:9], v[18:19]
	s_or_b64 s[4:5], s[4:5], exec
	flat_load_dwordx4 v[10:13], v[10:11]
                                        ; implicit-def: $sgpr22_sgpr23
	s_nop 0
	flat_load_dwordx4 v[14:17], v[14:15]
.LBB48_146:                             ;   in Loop: Header=BB48_136 Depth=1
	v_mov_b64_e32 v[18:19], s[22:23]
	v_mov_b64_e32 v[20:21], s[22:23]
	s_and_saveexec_b64 s[22:23], s[4:5]
	s_cbranch_execz .LBB48_148
; %bb.147:                              ;   in Loop: Header=BB48_136 Depth=1
	v_lshl_add_u64 v[18:19], v[184:185], 0, v[168:169]
	flat_load_dwordx4 v[18:21], v[18:19]
.LBB48_148:                             ;   in Loop: Header=BB48_136 Depth=1
	s_or_b64 exec, exec, s[22:23]
	ds_read_b128 v[34:37], v208
	ds_read_b128 v[22:25], v215
	v_cndmask_b32_e64 v5, 0, 1, s[14:15]
	v_cmp_ne_u32_e64 s[4:5], 1, v5
	s_andn2_b64 vcc, exec, s[14:15]
	s_waitcnt vmcnt(0) lgkmcnt(0)
	v_mul_f64 v[26:27], v[8:9], v[36:37]
	v_mul_f64 v[28:29], v[8:9], v[34:35]
	;; [unrolled: 1-line block ×3, first 2 shown]
	v_fmac_f64_e32 v[26:27], v[6:7], v[34:35]
	v_fma_f64 v[28:29], v[6:7], v[36:37], -v[28:29]
	v_mul_f64 v[32:33], v[12:13], v[34:35]
	ds_write_b128 v216, v[26:29]
	v_fmac_f64_e32 v[30:31], v[10:11], v[34:35]
	v_fma_f64 v[32:33], v[10:11], v[36:37], -v[32:33]
	v_mul_f64 v[38:39], v[16:17], v[36:37]
	v_mul_f64 v[40:41], v[16:17], v[34:35]
	;; [unrolled: 1-line block ×3, first 2 shown]
	ds_read_b128 v[26:29], v215 offset:16
	ds_write_b128 v216, v[30:33] offset:1072
	v_fmac_f64_e32 v[38:39], v[14:15], v[34:35]
	v_fma_f64 v[40:41], v[14:15], v[36:37], -v[40:41]
	v_fmac_f64_e32 v[42:43], v[18:19], v[34:35]
	v_mul_f64 v[34:35], v[20:21], v[34:35]
	ds_read_b128 v[30:33], v215 offset:32
	ds_write_b128 v216, v[38:41] offset:2144
	v_fma_f64 v[44:45], v[18:19], v[36:37], -v[34:35]
	ds_read_b128 v[38:41], v215 offset:48
	ds_write_b128 v216, v[42:45] offset:3216
	s_waitcnt lgkmcnt(0)
	s_barrier
	ds_read_b128 v[98:101], v211
	ds_read_b128 v[94:97], v211 offset:16
	ds_read_b128 v[86:89], v211 offset:32
	;; [unrolled: 1-line block ×3, first 2 shown]
	v_lshl_add_u64 v[50:51], v[196:197], 0, v[168:169]
	s_waitcnt lgkmcnt(0)
	s_barrier
	s_cbranch_vccnz .LBB48_156
; %bb.149:                              ;   in Loop: Header=BB48_136 Depth=1
	v_mov_b64_e32 v[42:43], 0
	v_cmp_gt_i32_e32 vcc, s27, v217
	v_mov_b64_e32 v[34:35], v[42:43]
	v_mov_b64_e32 v[36:37], v[42:43]
	s_and_saveexec_b64 s[14:15], vcc
	s_cbranch_execz .LBB48_151
; %bb.150:                              ;   in Loop: Header=BB48_136 Depth=1
	flat_load_dwordx4 v[34:37], v[50:51]
.LBB48_151:                             ;   in Loop: Header=BB48_136 Depth=1
	s_or_b64 exec, exec, s[14:15]
	v_cmp_gt_i32_e32 vcc, s27, v218
	v_mov_b64_e32 v[44:45], v[42:43]
	s_and_saveexec_b64 s[14:15], vcc
	s_cbranch_execz .LBB48_153
; %bb.152:                              ;   in Loop: Header=BB48_136 Depth=1
	v_lshl_add_u64 v[42:43], v[192:193], 0, v[168:169]
	flat_load_dwordx4 v[42:45], v[42:43]
.LBB48_153:                             ;   in Loop: Header=BB48_136 Depth=1
	s_or_b64 exec, exec, s[14:15]
	v_mov_b64_e32 v[46:47], 0
	v_cmp_gt_i32_e32 vcc, s27, v219
	s_mov_b64 s[24:25], 0
	v_mov_b64_e32 v[48:49], v[46:47]
	s_and_saveexec_b64 s[14:15], vcc
	s_cbranch_execz .LBB48_155
; %bb.154:                              ;   in Loop: Header=BB48_136 Depth=1
	v_lshl_add_u64 v[46:47], v[186:187], 0, v[168:169]
	flat_load_dwordx4 v[46:49], v[46:47]
.LBB48_155:                             ;   in Loop: Header=BB48_136 Depth=1
	s_or_b64 exec, exec, s[14:15]
	v_cmp_gt_i32_e64 s[14:15], s27, v220
	s_mov_b64 s[22:23], 0
	s_and_b64 vcc, exec, s[24:25]
	s_cbranch_vccnz .LBB48_157
	s_branch .LBB48_158
.LBB48_156:                             ;   in Loop: Header=BB48_136 Depth=1
	s_mov_b64 s[14:15], 0
                                        ; implicit-def: $sgpr22_sgpr23
                                        ; implicit-def: $vgpr48_vgpr49
                                        ; implicit-def: $vgpr44_vgpr45
                                        ; implicit-def: $vgpr36_vgpr37
	s_cbranch_execz .LBB48_158
.LBB48_157:                             ;   in Loop: Header=BB48_136 Depth=1
	s_waitcnt vmcnt(0) lgkmcnt(0)
	v_lshl_add_u64 v[42:43], v[192:193], 0, v[168:169]
	v_lshl_add_u64 v[46:47], v[186:187], 0, v[168:169]
	flat_load_dwordx4 v[34:37], v[50:51]
	s_or_b64 s[14:15], s[14:15], exec
	flat_load_dwordx4 v[42:45], v[42:43]
                                        ; implicit-def: $sgpr22_sgpr23
	s_nop 0
	flat_load_dwordx4 v[46:49], v[46:47]
.LBB48_158:                             ;   in Loop: Header=BB48_136 Depth=1
	v_mov_b64_e32 v[50:51], s[22:23]
	v_mov_b64_e32 v[52:53], s[22:23]
	s_and_saveexec_b64 s[22:23], s[14:15]
	s_cbranch_execz .LBB48_160
; %bb.159:                              ;   in Loop: Header=BB48_136 Depth=1
	v_lshl_add_u64 v[50:51], v[200:201], 0, v[168:169]
	flat_load_dwordx4 v[50:53], v[50:51]
.LBB48_160:                             ;   in Loop: Header=BB48_136 Depth=1
	s_or_b64 exec, exec, s[22:23]
	ds_read_b128 v[66:69], v208
	ds_read_b128 v[54:57], v215 offset:256
	s_and_b64 vcc, exec, s[4:5]
	v_lshl_add_u64 v[90:91], v[194:195], 0, v[168:169]
	s_waitcnt vmcnt(0) lgkmcnt(0)
	v_mul_f64 v[58:59], v[36:37], v[68:69]
	v_mul_f64 v[60:61], v[36:37], v[66:67]
	;; [unrolled: 1-line block ×3, first 2 shown]
	v_fmac_f64_e32 v[58:59], v[34:35], v[66:67]
	v_fma_f64 v[60:61], v[34:35], v[68:69], -v[60:61]
	v_mul_f64 v[64:65], v[44:45], v[66:67]
	ds_write_b128 v216, v[58:61]
	v_fmac_f64_e32 v[62:63], v[42:43], v[66:67]
	v_fma_f64 v[64:65], v[42:43], v[68:69], -v[64:65]
	v_mul_f64 v[70:71], v[48:49], v[68:69]
	v_mul_f64 v[72:73], v[48:49], v[66:67]
	ds_read_b128 v[58:61], v215 offset:272
	ds_write_b128 v216, v[62:65] offset:1072
	v_fmac_f64_e32 v[70:71], v[46:47], v[66:67]
	v_fma_f64 v[72:73], v[46:47], v[68:69], -v[72:73]
	ds_read_b128 v[62:65], v215 offset:288
	ds_write_b128 v216, v[70:73] offset:2144
	v_mul_f64 v[70:71], v[52:53], v[68:69]
	v_fmac_f64_e32 v[70:71], v[50:51], v[66:67]
	v_mul_f64 v[66:67], v[52:53], v[66:67]
	v_fma_f64 v[72:73], v[50:51], v[68:69], -v[66:67]
	ds_read_b128 v[74:77], v215 offset:304
	ds_write_b128 v216, v[70:73] offset:3216
	s_waitcnt lgkmcnt(0)
	s_barrier
	ds_read_b128 v[146:149], v211
	ds_read_b128 v[142:145], v211 offset:16
	ds_read_b128 v[138:141], v211 offset:32
	;; [unrolled: 1-line block ×3, first 2 shown]
	s_waitcnt lgkmcnt(0)
	s_barrier
	s_cbranch_vccnz .LBB48_168
; %bb.161:                              ;   in Loop: Header=BB48_136 Depth=1
	v_mov_b64_e32 v[70:71], 0
	v_cmp_gt_i32_e32 vcc, s27, v221
	v_mov_b64_e32 v[66:67], v[70:71]
	v_mov_b64_e32 v[68:69], v[70:71]
	s_and_saveexec_b64 s[14:15], vcc
	s_cbranch_execz .LBB48_163
; %bb.162:                              ;   in Loop: Header=BB48_136 Depth=1
	flat_load_dwordx4 v[66:69], v[90:91]
.LBB48_163:                             ;   in Loop: Header=BB48_136 Depth=1
	s_or_b64 exec, exec, s[14:15]
	v_cmp_gt_i32_e32 vcc, s27, v222
	v_mov_b64_e32 v[72:73], v[70:71]
	s_and_saveexec_b64 s[14:15], vcc
	s_cbranch_execz .LBB48_165
; %bb.164:                              ;   in Loop: Header=BB48_136 Depth=1
	v_lshl_add_u64 v[70:71], v[198:199], 0, v[168:169]
	flat_load_dwordx4 v[70:73], v[70:71]
.LBB48_165:                             ;   in Loop: Header=BB48_136 Depth=1
	s_or_b64 exec, exec, s[14:15]
	v_mov_b64_e32 v[78:79], 0
	v_cmp_gt_i32_e32 vcc, s27, v223
	s_mov_b64 s[24:25], 0
	v_mov_b64_e32 v[80:81], v[78:79]
	s_and_saveexec_b64 s[14:15], vcc
	s_cbranch_execz .LBB48_167
; %bb.166:                              ;   in Loop: Header=BB48_136 Depth=1
	v_lshl_add_u64 v[78:79], v[202:203], 0, v[168:169]
	flat_load_dwordx4 v[78:81], v[78:79]
.LBB48_167:                             ;   in Loop: Header=BB48_136 Depth=1
	s_or_b64 exec, exec, s[14:15]
	v_cmp_gt_i32_e64 s[14:15], s27, v224
	s_mov_b64 s[22:23], 0
	s_and_b64 vcc, exec, s[24:25]
	s_cbranch_vccnz .LBB48_169
	s_branch .LBB48_170
.LBB48_168:                             ;   in Loop: Header=BB48_136 Depth=1
	s_mov_b64 s[14:15], 0
                                        ; implicit-def: $sgpr22_sgpr23
                                        ; implicit-def: $vgpr80_vgpr81
                                        ; implicit-def: $vgpr72_vgpr73
                                        ; implicit-def: $vgpr68_vgpr69
	s_cbranch_execz .LBB48_170
.LBB48_169:                             ;   in Loop: Header=BB48_136 Depth=1
	s_waitcnt vmcnt(0) lgkmcnt(0)
	v_lshl_add_u64 v[70:71], v[198:199], 0, v[168:169]
	v_lshl_add_u64 v[78:79], v[202:203], 0, v[168:169]
	flat_load_dwordx4 v[66:69], v[90:91]
	s_or_b64 s[14:15], s[14:15], exec
	flat_load_dwordx4 v[70:73], v[70:71]
                                        ; implicit-def: $sgpr22_sgpr23
	s_nop 0
	flat_load_dwordx4 v[78:81], v[78:79]
.LBB48_170:                             ;   in Loop: Header=BB48_136 Depth=1
	v_mov_b64_e32 v[90:91], s[22:23]
	v_mov_b64_e32 v[92:93], s[22:23]
	s_and_saveexec_b64 s[22:23], s[14:15]
	s_cbranch_execz .LBB48_172
; %bb.171:                              ;   in Loop: Header=BB48_136 Depth=1
	v_lshl_add_u64 v[90:91], v[190:191], 0, v[168:169]
	flat_load_dwordx4 v[90:93], v[90:91]
.LBB48_172:                             ;   in Loop: Header=BB48_136 Depth=1
	s_or_b64 exec, exec, s[22:23]
	ds_read_b128 v[114:117], v208
	ds_read_b128 v[102:105], v215 offset:512
	s_and_b64 vcc, exec, s[4:5]
	v_lshl_add_u64 v[130:131], v[178:179], 0, v[168:169]
	s_waitcnt vmcnt(0) lgkmcnt(0)
	v_mul_f64 v[106:107], v[68:69], v[116:117]
	v_mul_f64 v[108:109], v[68:69], v[114:115]
	v_mul_f64 v[110:111], v[72:73], v[116:117]
	v_fmac_f64_e32 v[106:107], v[66:67], v[114:115]
	v_fma_f64 v[108:109], v[66:67], v[116:117], -v[108:109]
	v_mul_f64 v[112:113], v[72:73], v[114:115]
	ds_write_b128 v216, v[106:109]
	v_fmac_f64_e32 v[110:111], v[70:71], v[114:115]
	v_fma_f64 v[112:113], v[70:71], v[116:117], -v[112:113]
	v_mul_f64 v[118:119], v[80:81], v[116:117]
	v_mul_f64 v[120:121], v[80:81], v[114:115]
	;; [unrolled: 1-line block ×3, first 2 shown]
	ds_read_b128 v[106:109], v215 offset:528
	ds_write_b128 v216, v[110:113] offset:1072
	v_fmac_f64_e32 v[118:119], v[78:79], v[114:115]
	v_fma_f64 v[120:121], v[78:79], v[116:117], -v[120:121]
	v_fmac_f64_e32 v[122:123], v[90:91], v[114:115]
	v_mul_f64 v[114:115], v[92:93], v[114:115]
	ds_read_b128 v[110:113], v215 offset:544
	ds_write_b128 v216, v[118:121] offset:2144
	v_fma_f64 v[124:125], v[90:91], v[116:117], -v[114:115]
	ds_read_b128 v[118:121], v215 offset:560
	ds_write_b128 v216, v[122:125] offset:3216
	s_waitcnt lgkmcnt(0)
	s_barrier
	ds_read_b128 v[162:165], v211
	ds_read_b128 v[158:161], v211 offset:16
	ds_read_b128 v[154:157], v211 offset:32
	;; [unrolled: 1-line block ×3, first 2 shown]
	s_waitcnt lgkmcnt(0)
	s_barrier
	s_cbranch_vccnz .LBB48_180
; %bb.173:                              ;   in Loop: Header=BB48_136 Depth=1
	v_mov_b64_e32 v[122:123], 0
	v_cmp_gt_i32_e32 vcc, s27, v225
	v_mov_b64_e32 v[114:115], v[122:123]
	v_mov_b64_e32 v[116:117], v[122:123]
	s_and_saveexec_b64 s[4:5], vcc
	s_cbranch_execz .LBB48_175
; %bb.174:                              ;   in Loop: Header=BB48_136 Depth=1
	flat_load_dwordx4 v[114:117], v[130:131]
.LBB48_175:                             ;   in Loop: Header=BB48_136 Depth=1
	s_or_b64 exec, exec, s[4:5]
	v_cmp_gt_i32_e32 vcc, s27, v226
	v_mov_b64_e32 v[124:125], v[122:123]
	s_and_saveexec_b64 s[4:5], vcc
	s_cbranch_execz .LBB48_177
; %bb.176:                              ;   in Loop: Header=BB48_136 Depth=1
	v_lshl_add_u64 v[122:123], v[182:183], 0, v[168:169]
	flat_load_dwordx4 v[122:125], v[122:123]
.LBB48_177:                             ;   in Loop: Header=BB48_136 Depth=1
	s_or_b64 exec, exec, s[4:5]
	v_mov_b64_e32 v[126:127], 0
	v_cmp_gt_i32_e32 vcc, s27, v227
	s_mov_b64 s[22:23], 0
	v_mov_b64_e32 v[128:129], v[126:127]
	s_and_saveexec_b64 s[4:5], vcc
	s_cbranch_execz .LBB48_179
; %bb.178:                              ;   in Loop: Header=BB48_136 Depth=1
	v_lshl_add_u64 v[126:127], v[188:189], 0, v[168:169]
	flat_load_dwordx4 v[126:129], v[126:127]
.LBB48_179:                             ;   in Loop: Header=BB48_136 Depth=1
	s_or_b64 exec, exec, s[4:5]
	v_cmp_gt_i32_e64 s[4:5], s27, v228
	s_mov_b64 s[14:15], 0
	s_and_b64 vcc, exec, s[22:23]
	s_cbranch_vccnz .LBB48_181
	s_branch .LBB48_182
.LBB48_180:                             ;   in Loop: Header=BB48_136 Depth=1
	s_mov_b64 s[4:5], 0
                                        ; implicit-def: $sgpr14_sgpr15
                                        ; implicit-def: $vgpr128_vgpr129
                                        ; implicit-def: $vgpr124_vgpr125
                                        ; implicit-def: $vgpr116_vgpr117
	s_cbranch_execz .LBB48_182
.LBB48_181:                             ;   in Loop: Header=BB48_136 Depth=1
	s_waitcnt vmcnt(0) lgkmcnt(0)
	v_lshl_add_u64 v[122:123], v[182:183], 0, v[168:169]
	v_lshl_add_u64 v[126:127], v[188:189], 0, v[168:169]
	flat_load_dwordx4 v[114:117], v[130:131]
	s_or_b64 s[4:5], s[4:5], exec
	flat_load_dwordx4 v[122:125], v[122:123]
                                        ; implicit-def: $sgpr14_sgpr15
	s_nop 0
	flat_load_dwordx4 v[126:129], v[126:127]
.LBB48_182:                             ;   in Loop: Header=BB48_136 Depth=1
	v_mov_b64_e32 v[130:131], s[14:15]
	v_mov_b64_e32 v[132:133], s[14:15]
	s_and_saveexec_b64 s[14:15], s[4:5]
	s_cbranch_execz .LBB48_184
; %bb.183:                              ;   in Loop: Header=BB48_136 Depth=1
	v_lshl_add_u64 v[130:131], v[174:175], 0, v[168:169]
	flat_load_dwordx4 v[130:133], v[130:131]
.LBB48_184:                             ;   in Loop: Header=BB48_136 Depth=1
	s_or_b64 exec, exec, s[14:15]
	v_add_f64 v[146:147], v[146:147], 0
	v_add_f64 v[148:149], v[148:149], 0
	;; [unrolled: 1-line block ×6, first 2 shown]
	ds_read_b128 v[142:145], v208
	v_add_f64 v[162:163], v[162:163], 0
	v_add_f64 v[98:99], v[98:99], 0
	;; [unrolled: 1-line block ×11, first 2 shown]
	ds_read_b128 v[86:89], v215 offset:768
	s_waitcnt vmcnt(0) lgkmcnt(0)
	v_mul_f64 v[94:95], v[116:117], v[144:145]
	v_mul_f64 v[96:97], v[116:117], v[142:143]
	v_fmac_f64_e32 v[94:95], v[114:115], v[142:143]
	v_fma_f64 v[96:97], v[114:115], v[144:145], -v[96:97]
	v_mul_f64 v[98:99], v[124:125], v[144:145]
	v_mul_f64 v[100:101], v[124:125], v[142:143]
	v_add_f64 v[138:139], v[138:139], v[134:135]
	v_add_f64 v[140:141], v[140:141], v[136:137]
	ds_write_b128 v216, v[94:97]
	v_fmac_f64_e32 v[98:99], v[122:123], v[142:143]
	v_fma_f64 v[100:101], v[122:123], v[144:145], -v[100:101]
	v_mul_f64 v[134:135], v[128:129], v[144:145]
	v_mul_f64 v[136:137], v[128:129], v[142:143]
	;; [unrolled: 1-line block ×3, first 2 shown]
	ds_read_b128 v[94:97], v215 offset:784
	ds_write_b128 v216, v[98:101] offset:1072
	v_fmac_f64_e32 v[134:135], v[126:127], v[142:143]
	v_fma_f64 v[136:137], v[126:127], v[144:145], -v[136:137]
	v_fmac_f64_e32 v[146:147], v[130:131], v[142:143]
	v_mul_f64 v[142:143], v[132:133], v[142:143]
	ds_read_b128 v[98:101], v215 offset:800
	ds_write_b128 v216, v[134:137] offset:2144
	v_fma_f64 v[148:149], v[130:131], v[144:145], -v[142:143]
	v_add_f64 v[164:165], v[164:165], 0
	ds_read_b128 v[134:137], v215 offset:816
	ds_write_b128 v216, v[146:149] offset:3216
	s_waitcnt lgkmcnt(0)
	s_barrier
	ds_read_b128 v[142:145], v211
	v_add_f64 v[160:161], v[164:165], v[160:161]
	v_add_f64 v[156:157], v[160:161], v[156:157]
	;; [unrolled: 1-line block ×4, first 2 shown]
	ds_read_b128 v[146:149], v211 offset:16
	ds_read_b128 v[154:157], v211 offset:32
	;; [unrolled: 1-line block ×3, first 2 shown]
	s_waitcnt lgkmcnt(3)
	v_add_f64 v[142:143], v[142:143], 0
	v_add_f64 v[144:145], v[144:145], 0
	v_cmp_gt_i32_e32 vcc, s27, v204
	s_waitcnt lgkmcnt(2)
	v_add_f64 v[142:143], v[142:143], v[146:147]
	v_add_f64 v[144:145], v[144:145], v[148:149]
	s_or_b64 s[4:5], s[12:13], vcc
	s_waitcnt lgkmcnt(1)
	v_add_f64 v[142:143], v[142:143], v[154:155]
	v_add_f64 v[144:145], v[144:145], v[156:157]
	s_and_b64 s[12:13], s[6:7], s[4:5]
	s_waitcnt lgkmcnt(0)
	v_add_f64 v[142:143], v[142:143], v[158:159]
	v_add_f64 v[144:145], v[144:145], v[160:161]
	s_barrier
	ds_write_b128 v230, v[82:85]
	ds_write_b128 v230, v[138:141] offset:256
	ds_write_b128 v230, v[150:153] offset:512
	;; [unrolled: 1-line block ×3, first 2 shown]
	s_waitcnt lgkmcnt(0)
	s_barrier
	s_and_saveexec_b64 s[4:5], s[12:13]
	s_cbranch_execz .LBB48_186
; %bb.185:                              ;   in Loop: Header=BB48_136 Depth=1
	ds_read_b128 v[82:85], v209
	ds_read_b128 v[138:141], v209 offset:16
	ds_read_b128 v[142:145], v209 offset:32
	;; [unrolled: 1-line block ×3, first 2 shown]
	s_waitcnt lgkmcnt(2)
	v_add_f64 v[82:83], v[138:139], v[82:83]
	v_add_f64 v[138:139], v[140:141], v[84:85]
	s_waitcnt lgkmcnt(1)
	v_add_f64 v[140:141], v[82:83], v[142:143]
	ds_read_b128 v[82:85], v209 offset:64
	v_add_f64 v[142:143], v[138:139], v[144:145]
	s_waitcnt lgkmcnt(1)
	v_add_f64 v[144:145], v[140:141], v[146:147]
	ds_read_b128 v[138:141], v209 offset:80
	;; [unrolled: 4-line block ×9, first 2 shown]
	v_add_f64 v[84:85], v[146:147], v[84:85]
	s_waitcnt lgkmcnt(1)
	v_add_f64 v[138:139], v[82:83], v[138:139]
	v_add_f64 v[146:147], v[84:85], v[140:141]
	ds_read_b128 v[82:85], v209 offset:208
	s_waitcnt lgkmcnt(1)
	v_add_f64 v[148:149], v[138:139], v[142:143]
	ds_read_b128 v[138:141], v209 offset:224
	v_add_f64 v[146:147], v[146:147], v[144:145]
	ds_read_b128 v[142:145], v210
	s_waitcnt lgkmcnt(2)
	v_add_f64 v[82:83], v[148:149], v[82:83]
	v_add_f64 v[84:85], v[146:147], v[84:85]
	s_waitcnt lgkmcnt(1)
	v_add_f64 v[82:83], v[82:83], v[138:139]
	v_add_u32_e32 v138, s26, v229
	v_add_f64 v[84:85], v[84:85], v[140:141]
	v_ashrrev_i32_e32 v139, 31, v138
	s_waitcnt lgkmcnt(0)
	v_add_f64 v[82:83], v[82:83], v[142:143]
	v_add_f64 v[84:85], v[84:85], v[144:145]
	v_lshl_add_u64 v[138:139], v[138:139], 4, s[8:9]
	global_store_dwordx4 v[138:139], v[82:85], off
.LBB48_186:                             ;   in Loop: Header=BB48_136 Depth=1
	s_or_b64 exec, exec, s[4:5]
	s_nop 0
	v_mul_f64 v[82:83], v[8:9], v[24:25]
	v_fma_f64 v[82:83], v[6:7], v[22:23], -v[82:83]
	v_mul_f64 v[6:7], v[6:7], v[24:25]
	v_mul_f64 v[24:25], v[12:13], v[28:29]
	v_add_f64 v[0:1], v[0:1], v[82:83]
	v_fma_f64 v[24:25], v[10:11], v[26:27], -v[24:25]
	v_add_f64 v[0:1], v[0:1], v[24:25]
	v_mul_f64 v[24:25], v[16:17], v[32:33]
	v_fma_f64 v[24:25], v[14:15], v[30:31], -v[24:25]
	v_add_f64 v[0:1], v[0:1], v[24:25]
	v_mul_f64 v[24:25], v[20:21], v[40:41]
	v_fmac_f64_e32 v[6:7], v[8:9], v[22:23]
	v_fma_f64 v[24:25], v[18:19], v[38:39], -v[24:25]
	v_add_f64 v[2:3], v[2:3], v[6:7]
	v_mul_f64 v[6:7], v[36:37], v[56:57]
	v_add_f64 v[0:1], v[0:1], v[24:25]
	v_fma_f64 v[6:7], v[34:35], v[54:55], -v[6:7]
	v_add_f64 v[0:1], v[0:1], v[6:7]
	v_mul_f64 v[6:7], v[44:45], v[60:61]
	v_fma_f64 v[6:7], v[42:43], v[58:59], -v[6:7]
	v_add_f64 v[0:1], v[0:1], v[6:7]
	v_mul_f64 v[6:7], v[48:49], v[64:65]
	;; [unrolled: 3-line block ×3, first 2 shown]
	v_fma_f64 v[6:7], v[50:51], v[74:75], -v[6:7]
	v_mul_f64 v[10:11], v[10:11], v[28:29]
	v_add_f64 v[0:1], v[0:1], v[6:7]
	v_mul_f64 v[6:7], v[68:69], v[104:105]
	v_mul_f64 v[14:15], v[14:15], v[32:33]
	v_fmac_f64_e32 v[10:11], v[12:13], v[26:27]
	v_fma_f64 v[6:7], v[66:67], v[102:103], -v[6:7]
	v_mul_f64 v[18:19], v[18:19], v[40:41]
	v_add_f64 v[2:3], v[2:3], v[10:11]
	v_fmac_f64_e32 v[14:15], v[16:17], v[30:31]
	v_add_f64 v[0:1], v[0:1], v[6:7]
	v_mul_f64 v[6:7], v[72:73], v[108:109]
	v_add_f64 v[2:3], v[2:3], v[14:15]
	v_fmac_f64_e32 v[18:19], v[20:21], v[38:39]
	v_mul_f64 v[8:9], v[34:35], v[56:57]
	v_fma_f64 v[6:7], v[70:71], v[106:107], -v[6:7]
	v_add_f64 v[2:3], v[2:3], v[18:19]
	v_mul_f64 v[10:11], v[42:43], v[60:61]
	v_fmac_f64_e32 v[8:9], v[36:37], v[54:55]
	v_add_f64 v[0:1], v[0:1], v[6:7]
	v_mul_f64 v[6:7], v[80:81], v[112:113]
	v_mul_f64 v[12:13], v[46:47], v[64:65]
	v_add_f64 v[2:3], v[2:3], v[8:9]
	v_fmac_f64_e32 v[10:11], v[44:45], v[58:59]
	v_fma_f64 v[6:7], v[78:79], v[110:111], -v[6:7]
	v_mul_f64 v[14:15], v[50:51], v[76:77]
	v_add_f64 v[2:3], v[2:3], v[10:11]
	v_fmac_f64_e32 v[12:13], v[48:49], v[62:63]
	v_add_f64 v[0:1], v[0:1], v[6:7]
	v_mul_f64 v[6:7], v[92:93], v[120:121]
	v_add_f64 v[2:3], v[2:3], v[12:13]
	v_fmac_f64_e32 v[14:15], v[52:53], v[74:75]
	v_mul_f64 v[8:9], v[66:67], v[104:105]
	v_fma_f64 v[6:7], v[90:91], v[118:119], -v[6:7]
	v_add_f64 v[2:3], v[2:3], v[14:15]
	v_mul_f64 v[10:11], v[70:71], v[108:109]
	v_add_f64 v[0:1], v[0:1], v[6:7]
	v_fmac_f64_e32 v[8:9], v[68:69], v[102:103]
	v_mul_f64 v[6:7], v[116:117], v[88:89]
	v_mul_f64 v[12:13], v[78:79], v[112:113]
	v_add_f64 v[2:3], v[2:3], v[8:9]
	v_fmac_f64_e32 v[10:11], v[72:73], v[106:107]
	v_fma_f64 v[6:7], v[114:115], v[86:87], -v[6:7]
	v_mul_f64 v[14:15], v[90:91], v[120:121]
	v_add_f64 v[2:3], v[2:3], v[10:11]
	v_fmac_f64_e32 v[12:13], v[80:81], v[110:111]
	v_add_f64 v[0:1], v[0:1], v[6:7]
	v_mul_f64 v[6:7], v[124:125], v[96:97]
	v_add_f64 v[2:3], v[2:3], v[12:13]
	v_fmac_f64_e32 v[14:15], v[92:93], v[118:119]
	v_mul_f64 v[8:9], v[114:115], v[88:89]
	v_fma_f64 v[6:7], v[122:123], v[94:95], -v[6:7]
	v_add_f64 v[2:3], v[2:3], v[14:15]
	v_mul_f64 v[10:11], v[122:123], v[96:97]
	v_add_f64 v[0:1], v[0:1], v[6:7]
	v_mul_f64 v[6:7], v[128:129], v[100:101]
	v_fmac_f64_e32 v[8:9], v[116:117], v[86:87]
	v_fma_f64 v[6:7], v[126:127], v[98:99], -v[6:7]
	v_mul_f64 v[12:13], v[126:127], v[100:101]
	v_fmac_f64_e32 v[10:11], v[124:125], v[94:95]
	v_add_f64 v[2:3], v[2:3], v[8:9]
	v_add_f64 v[0:1], v[0:1], v[6:7]
	v_mul_f64 v[6:7], v[132:133], v[136:137]
	v_mul_f64 v[14:15], v[130:131], v[136:137]
	v_fmac_f64_e32 v[12:13], v[128:129], v[98:99]
	v_add_f64 v[2:3], v[2:3], v[10:11]
	v_fma_f64 v[6:7], v[130:131], v[134:135], -v[6:7]
	v_fmac_f64_e32 v[14:15], v[132:133], v[134:135]
	v_add_f64 v[2:3], v[2:3], v[12:13]
	s_add_i32 s4, s2, 1
	s_add_i32 s26, s26, 64
	;; [unrolled: 1-line block ×3, first 2 shown]
	v_add_f64 v[0:1], v[0:1], v[6:7]
	v_add_f64 v[2:3], v[2:3], v[14:15]
	v_lshl_add_u64 v[172:173], v[172:173], 0, s[10:11]
	v_lshl_add_u64 v[174:175], v[174:175], 0, s[10:11]
	;; [unrolled: 1-line block ×15, first 2 shown]
	s_cmp_ge_u32 s2, s3
	v_lshl_add_u64 v[202:203], v[202:203], 0, s[10:11]
	s_barrier
	s_cbranch_scc1 .LBB48_188
; %bb.187:                              ;   in Loop: Header=BB48_136 Depth=1
	s_mov_b32 s2, s4
	s_cmp_eq_u32 s19, s2
	s_cselect_b32 s27, s33, 0
	s_and_saveexec_b64 s[4:5], s[0:1]
	s_cbranch_execnz .LBB48_132
	s_branch .LBB48_136
.LBB48_188:
	s_movk_i32 s2, 0x430
	v_cmp_gt_i32_e32 vcc, s18, v204
	v_mad_u32_u24 v4, v205, s2, v168
	s_or_b64 s[2:3], s[20:21], vcc
	s_and_b64 s[0:1], s[0:1], s[2:3]
	ds_write_b128 v4, v[0:3]
	s_waitcnt lgkmcnt(0)
	s_barrier
	s_and_saveexec_b64 s[2:3], s[0:1]
	s_cbranch_execz .LBB48_190
; %bb.189:
	ds_read_b128 v[0:3], v168 offset:1072
	ds_read_b128 v[4:7], v168
	ds_read_b128 v[8:11], v168 offset:2144
	ds_read_b128 v[12:15], v168 offset:3216
	s_waitcnt lgkmcnt(2)
	v_add_f64 v[0:1], v[0:1], v[4:5]
	v_add_f64 v[2:3], v[2:3], v[6:7]
	s_waitcnt lgkmcnt(1)
	v_add_f64 v[0:1], v[0:1], v[8:9]
	v_add_f64 v[2:3], v[2:3], v[10:11]
	;; [unrolled: 3-line block ×3, first 2 shown]
	v_lshl_add_u64 v[4:5], v[166:167], 4, s[8:9]
	global_store_dwordx4 v[4:5], v[0:3], off
.LBB48_190:
	s_endpgm
	.section	.rodata,"a",@progbits
	.p2align	6, 0x0
	.amdhsa_kernel _ZL26rocblas_hemvn_kernel_upperILb1ELi64ELi4ELi33ELi32ELi16ElPK19rocblas_complex_numIdEPKS3_PS1_EviT6_lT7_lT5_lS8_lS9_lS7_lT8_i
		.amdhsa_group_segment_fixed_size 19200
		.amdhsa_private_segment_fixed_size 0
		.amdhsa_kernarg_size 376
		.amdhsa_user_sgpr_count 2
		.amdhsa_user_sgpr_dispatch_ptr 0
		.amdhsa_user_sgpr_queue_ptr 0
		.amdhsa_user_sgpr_kernarg_segment_ptr 1
		.amdhsa_user_sgpr_dispatch_id 0
		.amdhsa_user_sgpr_kernarg_preload_length 0
		.amdhsa_user_sgpr_kernarg_preload_offset 0
		.amdhsa_user_sgpr_private_segment_size 0
		.amdhsa_uses_dynamic_stack 0
		.amdhsa_enable_private_segment 0
		.amdhsa_system_sgpr_workgroup_id_x 1
		.amdhsa_system_sgpr_workgroup_id_y 0
		.amdhsa_system_sgpr_workgroup_id_z 1
		.amdhsa_system_sgpr_workgroup_info 0
		.amdhsa_system_vgpr_workitem_id 1
		.amdhsa_next_free_vgpr 231
		.amdhsa_next_free_sgpr 40
		.amdhsa_accum_offset 232
		.amdhsa_reserve_vcc 1
		.amdhsa_float_round_mode_32 0
		.amdhsa_float_round_mode_16_64 0
		.amdhsa_float_denorm_mode_32 3
		.amdhsa_float_denorm_mode_16_64 3
		.amdhsa_dx10_clamp 1
		.amdhsa_ieee_mode 1
		.amdhsa_fp16_overflow 0
		.amdhsa_tg_split 0
		.amdhsa_exception_fp_ieee_invalid_op 0
		.amdhsa_exception_fp_denorm_src 0
		.amdhsa_exception_fp_ieee_div_zero 0
		.amdhsa_exception_fp_ieee_overflow 0
		.amdhsa_exception_fp_ieee_underflow 0
		.amdhsa_exception_fp_ieee_inexact 0
		.amdhsa_exception_int_div_zero 0
	.end_amdhsa_kernel
	.section	.text._ZL26rocblas_hemvn_kernel_upperILb1ELi64ELi4ELi33ELi32ELi16ElPK19rocblas_complex_numIdEPKS3_PS1_EviT6_lT7_lT5_lS8_lS9_lS7_lT8_i,"axG",@progbits,_ZL26rocblas_hemvn_kernel_upperILb1ELi64ELi4ELi33ELi32ELi16ElPK19rocblas_complex_numIdEPKS3_PS1_EviT6_lT7_lT5_lS8_lS9_lS7_lT8_i,comdat
.Lfunc_end48:
	.size	_ZL26rocblas_hemvn_kernel_upperILb1ELi64ELi4ELi33ELi32ELi16ElPK19rocblas_complex_numIdEPKS3_PS1_EviT6_lT7_lT5_lS8_lS9_lS7_lT8_i, .Lfunc_end48-_ZL26rocblas_hemvn_kernel_upperILb1ELi64ELi4ELi33ELi32ELi16ElPK19rocblas_complex_numIdEPKS3_PS1_EviT6_lT7_lT5_lS8_lS9_lS7_lT8_i
                                        ; -- End function
	.section	.AMDGPU.csdata,"",@progbits
; Kernel info:
; codeLenInByte = 11104
; NumSgprs: 46
; NumVgprs: 231
; NumAgprs: 0
; TotalNumVgprs: 231
; ScratchSize: 0
; MemoryBound: 1
; FloatMode: 240
; IeeeMode: 1
; LDSByteSize: 19200 bytes/workgroup (compile time only)
; SGPRBlocks: 5
; VGPRBlocks: 28
; NumSGPRsForWavesPerEU: 46
; NumVGPRsForWavesPerEU: 231
; AccumOffset: 232
; Occupancy: 2
; WaveLimiterHint : 1
; COMPUTE_PGM_RSRC2:SCRATCH_EN: 0
; COMPUTE_PGM_RSRC2:USER_SGPR: 2
; COMPUTE_PGM_RSRC2:TRAP_HANDLER: 0
; COMPUTE_PGM_RSRC2:TGID_X_EN: 1
; COMPUTE_PGM_RSRC2:TGID_Y_EN: 0
; COMPUTE_PGM_RSRC2:TGID_Z_EN: 1
; COMPUTE_PGM_RSRC2:TIDIG_COMP_CNT: 1
; COMPUTE_PGM_RSRC3_GFX90A:ACCUM_OFFSET: 57
; COMPUTE_PGM_RSRC3_GFX90A:TG_SPLIT: 0
	.section	.text._ZL36rocblas_hemvn_kernel_upper_block_sumILi64ElPK19rocblas_complex_numIdEPKPS1_S1_EviT1_lS7_lT2_lT0_lPT3_i,"axG",@progbits,_ZL36rocblas_hemvn_kernel_upper_block_sumILi64ElPK19rocblas_complex_numIdEPKPS1_S1_EviT1_lS7_lT2_lT0_lPT3_i,comdat
	.globl	_ZL36rocblas_hemvn_kernel_upper_block_sumILi64ElPK19rocblas_complex_numIdEPKPS1_S1_EviT1_lS7_lT2_lT0_lPT3_i ; -- Begin function _ZL36rocblas_hemvn_kernel_upper_block_sumILi64ElPK19rocblas_complex_numIdEPKPS1_S1_EviT1_lS7_lT2_lT0_lPT3_i
	.p2align	8
	.type	_ZL36rocblas_hemvn_kernel_upper_block_sumILi64ElPK19rocblas_complex_numIdEPKPS1_S1_EviT1_lS7_lT2_lT0_lPT3_i,@function
_ZL36rocblas_hemvn_kernel_upper_block_sumILi64ElPK19rocblas_complex_numIdEPKPS1_S1_EviT1_lS7_lT2_lT0_lPT3_i: ; @_ZL36rocblas_hemvn_kernel_upper_block_sumILi64ElPK19rocblas_complex_numIdEPKPS1_S1_EviT1_lS7_lT2_lT0_lPT3_i
; %bb.0:
	s_load_dwordx8 s[4:11], s[0:1], 0x8
	s_mov_b32 s20, s3
	s_waitcnt lgkmcnt(0)
	s_mul_i32 s3, s3, s7
	s_mul_hi_u32 s7, s20, s6
	s_add_i32 s7, s7, s3
	s_mul_i32 s6, s20, s6
	s_lshl_b64 s[6:7], s[6:7], 4
	s_add_u32 s4, s4, s6
	s_addc_u32 s5, s5, s7
	s_load_dwordx4 s[12:15], s[4:5], 0x0
	s_mul_i32 s3, s20, s11
	s_mul_hi_u32 s4, s20, s10
	s_add_i32 s5, s4, s3
	s_mul_i32 s4, s20, s10
	s_lshl_b64 s[4:5], s[4:5], 4
	s_add_u32 s4, s8, s4
	s_addc_u32 s5, s9, s5
	s_load_dwordx4 s[8:11], s[4:5], 0x0
	s_waitcnt lgkmcnt(0)
	v_cmp_neq_f64_e64 s[4:5], s[12:13], 0
	v_cmp_neq_f64_e64 s[6:7], s[14:15], 0
	s_or_b64 s[16:17], s[4:5], s[6:7]
	s_mov_b64 s[4:5], -1
	s_and_b64 vcc, exec, s[16:17]
	s_cbranch_vccnz .LBB49_2
; %bb.1:
	v_cmp_neq_f64_e64 s[4:5], s[8:9], 1.0
	v_cmp_neq_f64_e64 s[6:7], s[10:11], 0
	s_or_b64 s[4:5], s[4:5], s[6:7]
.LBB49_2:
	s_andn2_b64 vcc, exec, s[4:5]
	s_cbranch_vccnz .LBB49_22
; %bb.3:
	s_load_dwordx2 s[18:19], s[0:1], 0x28
	s_load_dword s22, s[0:1], 0x0
	s_load_dwordx4 s[4:7], s[0:1], 0x30
	s_mov_b32 s21, 0
	s_lshl_b64 s[24:25], s[20:21], 3
	s_xor_b64 s[26:27], s[16:17], -1
	s_waitcnt lgkmcnt(0)
	s_add_u32 s16, s18, s24
	s_addc_u32 s17, s19, s25
	s_load_dwordx2 s[16:17], s[16:17], 0x0
	s_lshl_b64 s[4:5], s[4:5], 4
	v_lshl_or_b32 v4, s2, 6, v0
	s_waitcnt lgkmcnt(0)
	s_add_u32 s16, s16, s4
	s_addc_u32 s17, s17, s5
	s_andn2_b64 vcc, exec, s[26:27]
	v_cmp_gt_i32_e64 s[4:5], s22, v4
	s_cbranch_vccnz .LBB49_8
; %bb.4:
	s_mov_b64 s[24:25], 0
	s_mov_b64 s[18:19], 0
                                        ; implicit-def: $vgpr2_vgpr3
                                        ; implicit-def: $vgpr6_vgpr7
	s_and_saveexec_b64 s[26:27], s[4:5]
	s_cbranch_execz .LBB49_9
; %bb.5:
	v_cmp_neq_f64_e64 s[4:5], s[8:9], 0
	v_cmp_neq_f64_e64 s[18:19], s[10:11], 0
	v_ashrrev_i32_e32 v0, 31, v4
	v_mov_b64_e32 v[2:3], 0
	v_mul_lo_u32 v1, v4, s7
	v_mul_lo_u32 v0, v0, s6
	v_mad_u64_u32 v[6:7], s[28:29], v4, s6, 0
	s_or_b64 s[4:5], s[4:5], s[18:19]
	v_add3_u32 v7, v7, v1, v0
	s_andn2_b64 vcc, exec, s[4:5]
	v_mov_b64_e32 v[0:1], v[2:3]
	s_cbranch_vccnz .LBB49_7
; %bb.6:
	v_lshl_add_u64 v[0:1], v[6:7], 4, s[16:17]
	global_load_dwordx4 v[8:11], v[0:1], off
	s_waitcnt vmcnt(0)
	v_mul_f64 v[0:1], s[10:11], v[10:11]
	v_mul_f64 v[2:3], s[8:9], v[10:11]
	v_fma_f64 v[0:1], s[8:9], v[8:9], -v[0:1]
	v_fmac_f64_e32 v[2:3], s[10:11], v[8:9]
.LBB49_7:
	s_mov_b64 s[18:19], exec
	s_or_b64 exec, exec, s[26:27]
	s_and_b64 vcc, exec, s[24:25]
	s_cbranch_vccnz .LBB49_10
	s_branch .LBB49_20
.LBB49_8:
	s_mov_b64 s[18:19], 0
                                        ; implicit-def: $vgpr2_vgpr3
                                        ; implicit-def: $vgpr6_vgpr7
	s_cbranch_execnz .LBB49_10
	s_branch .LBB49_20
.LBB49_9:
	s_or_b64 exec, exec, s[26:27]
	s_and_b64 vcc, exec, s[24:25]
	s_cbranch_vccz .LBB49_20
.LBB49_10:
	v_cmp_gt_i32_e32 vcc, s22, v4
                                        ; implicit-def: $vgpr2_vgpr3
                                        ; implicit-def: $vgpr6_vgpr7
	s_and_saveexec_b64 s[4:5], vcc
	s_cbranch_execz .LBB49_19
; %bb.11:
	v_mov_b64_e32 v[0:1], 0
	v_ashrrev_i32_e32 v5, 31, v4
	s_cmp_lt_i32 s2, 0
	v_mov_b64_e32 v[6:7], v[0:1]
	s_cbranch_scc1 .LBB49_14
; %bb.12:
	s_load_dwordx2 s[24:25], s[0:1], 0x48
	s_load_dword s3, s[0:1], 0x58
	s_ashr_i32 s23, s22, 31
	s_mul_hi_u32 s0, s22, s20
	s_mul_i32 s1, s23, s20
	s_add_i32 s0, s0, s1
	s_mul_i32 s20, s22, s20
	s_waitcnt lgkmcnt(0)
	s_mul_i32 s0, s0, s3
	s_mul_hi_u32 s1, s20, s3
	s_add_i32 s1, s1, s0
	s_mul_i32 s0, s20, s3
	s_add_i32 s2, s2, 1
	s_lshl_b64 s[0:1], s[0:1], 4
	s_add_u32 s0, s24, s0
	s_addc_u32 s1, s25, s1
	v_lshl_add_u64 v[0:1], v[4:5], 4, s[0:1]
	v_lshl_add_u64 v[2:3], v[0:1], 0, 8
	v_mov_b64_e32 v[0:1], 0
	s_lshl_b64 s[0:1], s[22:23], 4
	v_mov_b64_e32 v[6:7], v[0:1]
.LBB49_13:                              ; =>This Inner Loop Header: Depth=1
	global_load_dwordx4 v[8:11], v[2:3], off offset:-8
	s_add_i32 s2, s2, -1
	v_lshl_add_u64 v[2:3], v[2:3], 0, s[0:1]
	s_cmp_eq_u32 s2, 0
	s_waitcnt vmcnt(0)
	v_add_f64 v[6:7], v[6:7], v[8:9]
	v_add_f64 v[0:1], v[0:1], v[10:11]
	s_cbranch_scc0 .LBB49_13
.LBB49_14:
	v_cmp_neq_f64_e64 s[2:3], s[8:9], 0
	v_cmp_neq_f64_e64 s[20:21], s[10:11], 0
	s_or_b64 s[2:3], s[2:3], s[20:21]
	v_mul_f64 v[8:9], s[14:15], v[0:1]
	v_mul_f64 v[2:3], s[12:13], v[0:1]
	s_mov_b64 s[0:1], 0
	s_andn2_b64 vcc, exec, s[2:3]
	v_fma_f64 v[0:1], s[12:13], v[6:7], -v[8:9]
	v_fmac_f64_e32 v[2:3], s[14:15], v[6:7]
	v_mul_lo_u32 v5, v5, s6
	v_mul_lo_u32 v8, v4, s7
	s_cbranch_vccz .LBB49_16
; %bb.15:
	v_mad_u64_u32 v[6:7], s[2:3], v4, s6, 0
	v_add3_u32 v7, v7, v8, v5
	s_andn2_b64 vcc, exec, s[0:1]
	s_cbranch_vccz .LBB49_17
	s_branch .LBB49_18
.LBB49_16:
                                        ; implicit-def: $vgpr6_vgpr7
.LBB49_17:
	v_mad_u64_u32 v[6:7], s[0:1], v4, s6, 0
	v_add3_u32 v7, v7, v8, v5
	v_lshl_add_u64 v[4:5], v[6:7], 4, s[16:17]
	global_load_dwordx4 v[8:11], v[4:5], off
	s_waitcnt vmcnt(0)
	v_mul_f64 v[4:5], s[10:11], v[10:11]
	v_mul_f64 v[10:11], s[8:9], v[10:11]
	v_fma_f64 v[4:5], s[8:9], v[8:9], -v[4:5]
	v_fmac_f64_e32 v[10:11], s[10:11], v[8:9]
	v_add_f64 v[0:1], v[0:1], v[4:5]
	v_add_f64 v[2:3], v[2:3], v[10:11]
.LBB49_18:
	s_or_b64 s[18:19], s[18:19], exec
.LBB49_19:
	s_or_b64 exec, exec, s[4:5]
.LBB49_20:
	s_and_saveexec_b64 s[0:1], s[18:19]
	s_cbranch_execz .LBB49_22
; %bb.21:
	v_lshl_add_u64 v[4:5], v[6:7], 4, s[16:17]
	global_store_dwordx4 v[4:5], v[0:3], off
.LBB49_22:
	s_endpgm
	.section	.rodata,"a",@progbits
	.p2align	6, 0x0
	.amdhsa_kernel _ZL36rocblas_hemvn_kernel_upper_block_sumILi64ElPK19rocblas_complex_numIdEPKPS1_S1_EviT1_lS7_lT2_lT0_lPT3_i
		.amdhsa_group_segment_fixed_size 0
		.amdhsa_private_segment_fixed_size 0
		.amdhsa_kernarg_size 344
		.amdhsa_user_sgpr_count 2
		.amdhsa_user_sgpr_dispatch_ptr 0
		.amdhsa_user_sgpr_queue_ptr 0
		.amdhsa_user_sgpr_kernarg_segment_ptr 1
		.amdhsa_user_sgpr_dispatch_id 0
		.amdhsa_user_sgpr_kernarg_preload_length 0
		.amdhsa_user_sgpr_kernarg_preload_offset 0
		.amdhsa_user_sgpr_private_segment_size 0
		.amdhsa_uses_dynamic_stack 0
		.amdhsa_enable_private_segment 0
		.amdhsa_system_sgpr_workgroup_id_x 1
		.amdhsa_system_sgpr_workgroup_id_y 0
		.amdhsa_system_sgpr_workgroup_id_z 1
		.amdhsa_system_sgpr_workgroup_info 0
		.amdhsa_system_vgpr_workitem_id 0
		.amdhsa_next_free_vgpr 12
		.amdhsa_next_free_sgpr 30
		.amdhsa_accum_offset 12
		.amdhsa_reserve_vcc 1
		.amdhsa_float_round_mode_32 0
		.amdhsa_float_round_mode_16_64 0
		.amdhsa_float_denorm_mode_32 3
		.amdhsa_float_denorm_mode_16_64 3
		.amdhsa_dx10_clamp 1
		.amdhsa_ieee_mode 1
		.amdhsa_fp16_overflow 0
		.amdhsa_tg_split 0
		.amdhsa_exception_fp_ieee_invalid_op 0
		.amdhsa_exception_fp_denorm_src 0
		.amdhsa_exception_fp_ieee_div_zero 0
		.amdhsa_exception_fp_ieee_overflow 0
		.amdhsa_exception_fp_ieee_underflow 0
		.amdhsa_exception_fp_ieee_inexact 0
		.amdhsa_exception_int_div_zero 0
	.end_amdhsa_kernel
	.section	.text._ZL36rocblas_hemvn_kernel_upper_block_sumILi64ElPK19rocblas_complex_numIdEPKPS1_S1_EviT1_lS7_lT2_lT0_lPT3_i,"axG",@progbits,_ZL36rocblas_hemvn_kernel_upper_block_sumILi64ElPK19rocblas_complex_numIdEPKPS1_S1_EviT1_lS7_lT2_lT0_lPT3_i,comdat
.Lfunc_end49:
	.size	_ZL36rocblas_hemvn_kernel_upper_block_sumILi64ElPK19rocblas_complex_numIdEPKPS1_S1_EviT1_lS7_lT2_lT0_lPT3_i, .Lfunc_end49-_ZL36rocblas_hemvn_kernel_upper_block_sumILi64ElPK19rocblas_complex_numIdEPKPS1_S1_EviT1_lS7_lT2_lT0_lPT3_i
                                        ; -- End function
	.section	.AMDGPU.csdata,"",@progbits
; Kernel info:
; codeLenInByte = 828
; NumSgprs: 36
; NumVgprs: 12
; NumAgprs: 0
; TotalNumVgprs: 12
; ScratchSize: 0
; MemoryBound: 0
; FloatMode: 240
; IeeeMode: 1
; LDSByteSize: 0 bytes/workgroup (compile time only)
; SGPRBlocks: 4
; VGPRBlocks: 1
; NumSGPRsForWavesPerEU: 36
; NumVGPRsForWavesPerEU: 12
; AccumOffset: 12
; Occupancy: 8
; WaveLimiterHint : 1
; COMPUTE_PGM_RSRC2:SCRATCH_EN: 0
; COMPUTE_PGM_RSRC2:USER_SGPR: 2
; COMPUTE_PGM_RSRC2:TRAP_HANDLER: 0
; COMPUTE_PGM_RSRC2:TGID_X_EN: 1
; COMPUTE_PGM_RSRC2:TGID_Y_EN: 0
; COMPUTE_PGM_RSRC2:TGID_Z_EN: 1
; COMPUTE_PGM_RSRC2:TIDIG_COMP_CNT: 0
; COMPUTE_PGM_RSRC3_GFX90A:ACCUM_OFFSET: 2
; COMPUTE_PGM_RSRC3_GFX90A:TG_SPLIT: 0
	.section	.text._ZL26rocblas_hemvn_kernel_upperILb1ELi64ELi4ELi33ELi32ELi16EiPK19rocblas_complex_numIdEPKS3_PS1_EviT6_lT7_lT5_lS8_lS9_lS7_lT8_i,"axG",@progbits,_ZL26rocblas_hemvn_kernel_upperILb1ELi64ELi4ELi33ELi32ELi16EiPK19rocblas_complex_numIdEPKS3_PS1_EviT6_lT7_lT5_lS8_lS9_lS7_lT8_i,comdat
	.globl	_ZL26rocblas_hemvn_kernel_upperILb1ELi64ELi4ELi33ELi32ELi16EiPK19rocblas_complex_numIdEPKS3_PS1_EviT6_lT7_lT5_lS8_lS9_lS7_lT8_i ; -- Begin function _ZL26rocblas_hemvn_kernel_upperILb1ELi64ELi4ELi33ELi32ELi16EiPK19rocblas_complex_numIdEPKS3_PS1_EviT6_lT7_lT5_lS8_lS9_lS7_lT8_i
	.p2align	8
	.type	_ZL26rocblas_hemvn_kernel_upperILb1ELi64ELi4ELi33ELi32ELi16EiPK19rocblas_complex_numIdEPKS3_PS1_EviT6_lT7_lT5_lS8_lS9_lS7_lT8_i,@function
_ZL26rocblas_hemvn_kernel_upperILb1ELi64ELi4ELi33ELi32ELi16EiPK19rocblas_complex_numIdEPKS3_PS1_EviT6_lT7_lT5_lS8_lS9_lS7_lT8_i: ; @_ZL26rocblas_hemvn_kernel_upperILb1ELi64ELi4ELi33ELi32ELi16EiPK19rocblas_complex_numIdEPKS3_PS1_EviT6_lT7_lT5_lS8_lS9_lS7_lT8_i
; %bb.0:
	s_load_dwordx2 s[4:5], s[0:1], 0x84
	s_add_u32 s12, s0, 0x78
	s_mov_b32 s20, s3
	s_addc_u32 s13, s1, 0
	s_waitcnt lgkmcnt(0)
	s_and_b32 s3, s5, 0xffff
	s_lshr_b32 s5, s4, 16
	s_and_b32 s4, s4, 0xffff
	s_mul_i32 s4, s5, s4
	s_mul_i32 s4, s4, s3
	s_cmpk_lg_i32 s4, 0x100
	s_cbranch_scc1 .LBB50_190
; %bb.1:
	s_load_dwordx8 s[4:11], s[0:1], 0x8
	s_mov_b32 s21, 0
	s_mov_b64 s[16:17], 0
	s_waitcnt lgkmcnt(0)
	s_mul_i32 s3, s20, s7
	s_mul_hi_u32 s7, s20, s6
	s_mul_i32 s6, s20, s6
	s_add_i32 s7, s7, s3
	s_lshl_b64 s[6:7], s[6:7], 4
	s_add_u32 s14, s4, s6
	s_addc_u32 s15, s5, s7
	s_load_dwordx4 s[24:27], s[14:15], 0x0
	s_load_dwordx2 s[22:23], s[0:1], 0x68
	s_load_dwordx4 s[4:7], s[0:1], 0x58
	s_waitcnt lgkmcnt(0)
	v_cmp_neq_f64_e64 s[14:15], s[24:25], 0
	v_cmp_neq_f64_e64 s[18:19], s[26:27], 0
	s_or_b64 s[14:15], s[14:15], s[18:19]
	s_and_b64 vcc, exec, s[14:15]
	s_cbranch_vccnz .LBB50_3
; %bb.2:
	s_mul_i32 s3, s20, s7
	s_mul_hi_u32 s7, s20, s6
	s_add_i32 s7, s7, s3
	s_mul_i32 s6, s20, s6
	s_lshl_b64 s[6:7], s[6:7], 4
	s_add_u32 s4, s4, s6
	s_addc_u32 s5, s5, s7
	s_load_dwordx4 s[16:19], s[4:5], 0x0
	s_mov_b64 s[6:7], 0
	s_waitcnt lgkmcnt(0)
	v_cmp_neq_f64_e64 s[4:5], s[16:17], 1.0
	v_cmp_neq_f64_e64 s[16:17], s[18:19], 0
	s_or_b64 s[16:17], s[4:5], s[16:17]
	s_cbranch_execz .LBB50_4
	s_branch .LBB50_5
.LBB50_3:
	s_mov_b64 s[6:7], -1
.LBB50_4:
	s_lshl_b64 s[4:5], s[20:21], 3
	s_add_u32 s4, s8, s4
	s_addc_u32 s5, s9, s5
	s_load_dwordx2 s[4:5], s[4:5], 0x0
	s_lshl_b64 s[6:7], s[10:11], 4
	s_mov_b64 s[16:17], -1
	s_waitcnt lgkmcnt(0)
	s_add_u32 s6, s4, s6
	s_addc_u32 s7, s5, s7
.LBB50_5:
	s_andn2_b64 vcc, exec, s[16:17]
	s_cbranch_vccnz .LBB50_190
; %bb.6:
	v_cndmask_b32_e64 v1, 0, 1, s[14:15]
	v_cmp_ne_u32_e64 s[4:5], 1, v1
	s_andn2_b64 vcc, exec, s[14:15]
	s_mov_b64 s[8:9], 0
	s_cbranch_vccnz .LBB50_8
; %bb.7:
	s_load_dwordx4 s[8:11], s[0:1], 0x38
	s_lshl_b64 s[14:15], s[20:21], 3
	s_waitcnt lgkmcnt(0)
	s_add_u32 s8, s8, s14
	s_addc_u32 s9, s9, s15
	s_load_dwordx2 s[8:9], s[8:9], 0x0
	s_lshl_b64 s[10:11], s[10:11], 4
	s_waitcnt lgkmcnt(0)
	s_add_u32 s8, s8, s10
	s_addc_u32 s9, s9, s11
.LBB50_8:
	s_and_b64 vcc, exec, s[4:5]
	s_cbranch_vccnz .LBB50_190
; %bb.9:
	s_load_dword s3, s[12:13], 0x0
	s_load_dword s34, s[0:1], 0x0
	;; [unrolled: 1-line block ×3, first 2 shown]
	v_and_b32_e32 v168, 0x3ff, v0
	s_lshl_b32 s24, s2, 6
	v_add_u32_e32 v166, s24, v168
	s_waitcnt lgkmcnt(0)
	s_ashr_i32 s35, s34, 31
	s_lshr_b32 s5, s35, 26
	s_add_i32 s5, s34, s5
	s_andn2_b32 s5, s5, 63
	v_bfe_u32 v167, v0, 10, 10
	s_add_i32 s4, s3, -1
	s_sub_i32 s33, s34, s5
	v_mul_lo_u32 v0, v166, s21
	s_cmp_eq_u32 s2, s4
	v_ashrrev_i32_e32 v1, 31, v0
	s_cselect_b32 s16, s33, 0
	v_lshl_add_u64 v[38:39], v[0:1], 4, s[8:9]
	v_cmp_eq_u32_e64 s[12:13], 0, v167
	s_and_saveexec_b64 s[4:5], s[12:13]
	s_cbranch_execz .LBB50_14
; %bb.10:
	s_cmp_lg_u32 s16, 0
	s_cselect_b64 s[8:9], -1, 0
	v_cmp_le_i32_e32 vcc, s16, v168
	v_mov_b32_e32 v0, 0x4700
	s_and_b64 s[8:9], s[8:9], vcc
	v_lshl_add_u32 v0, v168, 4, v0
	s_and_saveexec_b64 s[10:11], s[8:9]
	s_xor_b64 s[8:9], exec, s[10:11]
	s_cbranch_execz .LBB50_12
; %bb.11:
	v_mov_b32_e32 v2, 0
	v_mov_b32_e32 v3, v2
	;; [unrolled: 1-line block ×4, first 2 shown]
	ds_write_b128 v0, v[2:5]
                                        ; implicit-def: $vgpr0
.LBB50_12:
	s_andn2_saveexec_b64 s[8:9], s[8:9]
	s_cbranch_execz .LBB50_14
; %bb.13:
	flat_load_dwordx4 v[2:5], v[38:39]
	s_waitcnt vmcnt(0) lgkmcnt(0)
	ds_write2_b64 v0, v[2:3], v[4:5] offset1:1
.LBB50_14:
	s_or_b64 exec, exec, s[4:5]
	s_load_dword s26, s[0:1], 0x28
	s_ashr_i32 s25, s24, 31
	v_lshl_add_u32 v42, v167, 6, v168
	s_lshl_b64 s[0:1], s[24:25], 4
	v_and_b32_e32 v4, 31, v168
	v_lshrrev_b32_e32 v5, 5, v42
	s_add_u32 s4, s6, s0
	s_addc_u32 s5, s7, s1
	s_waitcnt lgkmcnt(0)
	v_mad_u64_u32 v[36:37], s[0:1], v5, s26, v[4:5]
	s_mul_i32 s0, s24, s26
	s_ashr_i32 s1, s0, 31
	s_lshl_b64 s[0:1], s[0:1], 4
	s_add_u32 s0, s0, s4
	s_addc_u32 s1, s1, s5
	s_cmp_eq_u32 s16, 0
	s_cselect_b64 s[18:19], -1, 0
	s_cmp_lg_u32 s16, 0
	v_ashrrev_i32_e32 v37, 31, v36
	s_cselect_b64 s[30:31], -1, 0
	v_lshl_add_u64 v[0:1], v[36:37], 4, s[0:1]
	s_and_b64 vcc, exec, s[30:31]
	v_cmp_gt_i32_e64 s[0:1], s16, v4
	v_lshlrev_b32_e32 v6, 4, v4
	v_mul_u32_u24_e32 v14, 33, v5
	s_cbranch_vccz .LBB50_32
; %bb.15:
	v_sub_co_u32_e32 v2, vcc, v0, v6
	s_ashr_i32 s17, s16, 31
	s_nop 0
	v_subbrev_co_u32_e32 v3, vcc, 0, v1, vcc
	v_lshl_add_u64 v[2:3], s[16:17], 4, v[2:3]
	v_lshl_add_u64 v[2:3], v[2:3], 0, -16
	v_cndmask_b32_e64 v3, v3, v1, s[0:1]
	v_cndmask_b32_e64 v2, v2, v0, s[0:1]
	v_cmp_le_i32_e32 vcc, s16, v5
	v_add_lshl_u32 v7, v14, v4, 4
	s_and_saveexec_b64 s[4:5], vcc
	s_xor_b64 s[4:5], exec, s[4:5]
	s_cbranch_execz .LBB50_17
; %bb.16:
	v_mov_b32_e32 v8, 0
	v_mov_b32_e32 v9, v8
	;; [unrolled: 1-line block ×4, first 2 shown]
	ds_write_b128 v7, v[8:11]
.LBB50_17:
	s_andn2_saveexec_b64 s[4:5], s[4:5]
	s_cbranch_execz .LBB50_19
; %bb.18:
	flat_load_dwordx4 v[8:11], v[2:3]
	s_waitcnt vmcnt(0) lgkmcnt(0)
	ds_write2_b64 v7, v[8:9], v[10:11] offset1:1
.LBB50_19:
	s_or_b64 exec, exec, s[4:5]
	v_add_u32_e32 v8, 8, v5
	v_cmp_le_i32_e32 vcc, s16, v8
	s_and_saveexec_b64 s[4:5], vcc
	s_xor_b64 s[4:5], exec, s[4:5]
	s_cbranch_execz .LBB50_21
; %bb.20:
	v_mul_u32_u24_e32 v8, 33, v8
	v_add_lshl_u32 v12, v8, v4, 4
	v_mov_b32_e32 v8, 0
	v_mov_b32_e32 v9, v8
	;; [unrolled: 1-line block ×4, first 2 shown]
	ds_write_b128 v12, v[8:11]
.LBB50_21:
	s_andn2_saveexec_b64 s[4:5], s[4:5]
	s_cbranch_execz .LBB50_23
; %bb.22:
	s_lshl_b32 s6, s26, 3
	s_ashr_i32 s7, s6, 31
	v_lshl_add_u64 v[8:9], s[6:7], 4, v[2:3]
	flat_load_dwordx4 v[8:11], v[8:9]
	v_add_u32_e32 v12, 0x1080, v7
	s_waitcnt vmcnt(0) lgkmcnt(0)
	ds_write2_b64 v12, v[8:9], v[10:11] offset1:1
.LBB50_23:
	s_or_b64 exec, exec, s[4:5]
	v_add_u32_e32 v8, 16, v5
	v_cmp_le_i32_e32 vcc, s16, v8
	s_and_saveexec_b64 s[4:5], vcc
	s_xor_b64 s[4:5], exec, s[4:5]
	s_cbranch_execz .LBB50_25
; %bb.24:
	v_mul_u32_u24_e32 v8, 33, v8
	v_add_lshl_u32 v12, v8, v4, 4
	v_mov_b32_e32 v8, 0
	v_mov_b32_e32 v9, v8
	;; [unrolled: 1-line block ×4, first 2 shown]
	ds_write_b128 v12, v[8:11]
.LBB50_25:
	s_andn2_saveexec_b64 s[4:5], s[4:5]
	s_cbranch_execz .LBB50_27
; %bb.26:
	s_lshl_b32 s6, s26, 4
	s_ashr_i32 s7, s6, 31
	v_lshl_add_u64 v[8:9], s[6:7], 4, v[2:3]
	flat_load_dwordx4 v[8:11], v[8:9]
	v_add_u32_e32 v12, 0x2100, v7
	s_waitcnt vmcnt(0) lgkmcnt(0)
	ds_write2_b64 v12, v[8:9], v[10:11] offset1:1
.LBB50_27:
	s_or_b64 exec, exec, s[4:5]
	v_add_u32_e32 v8, 24, v5
	v_cmp_le_i32_e32 vcc, s16, v8
	s_and_saveexec_b64 s[4:5], vcc
	s_xor_b64 s[4:5], exec, s[4:5]
	s_cbranch_execz .LBB50_29
; %bb.28:
	v_mov_b32_e32 v8, 0
	v_mov_b32_e32 v9, v8
	;; [unrolled: 1-line block ×4, first 2 shown]
	ds_write_b128 v7, v[8:11] offset:12672
                                        ; implicit-def: $vgpr7
.LBB50_29:
	s_andn2_saveexec_b64 s[4:5], s[4:5]
	s_cbranch_execz .LBB50_31
; %bb.30:
	s_mul_i32 s6, s26, 24
	s_ashr_i32 s7, s6, 31
	v_lshl_add_u64 v[8:9], s[6:7], 4, v[2:3]
	flat_load_dwordx4 v[8:11], v[8:9]
	v_add_u32_e32 v7, 0x3180, v7
	s_waitcnt vmcnt(0) lgkmcnt(0)
	ds_write2_b64 v7, v[8:9], v[10:11] offset1:1
.LBB50_31:
	s_or_b64 exec, exec, s[4:5]
	v_mov_b32_e32 v7, 0
	v_lshl_add_u64 v[2:3], v[2:3], 0, v[6:7]
	s_lshl_b64 s[4:5], s[16:17], 4
	v_mov_b32_e32 v7, s5
	v_subrev_co_u32_e32 v2, vcc, s4, v2
	s_nop 1
	v_subb_co_u32_e32 v3, vcc, v3, v7, vcc
	v_lshl_add_u64 v[2:3], v[2:3], 0, 16
	v_cndmask_b32_e64 v9, v3, v1, s[0:1]
	v_cndmask_b32_e64 v8, v2, v0, s[0:1]
	s_branch .LBB50_34
.LBB50_32:
                                        ; implicit-def: $vgpr8_vgpr9
	s_cbranch_execz .LBB50_34
; %bb.33:
	flat_load_dwordx4 v[8:11], v[0:1]
	s_lshl_b32 s0, s26, 3
	v_add_lshl_u32 v7, v14, v4, 4
	s_ashr_i32 s1, s0, 31
	v_lshl_add_u64 v[2:3], s[0:1], 4, v[0:1]
	s_ashr_i32 s27, s26, 31
	v_add_u32_e32 v12, 0x1080, v7
	s_lshl_b64 s[0:1], s[26:27], 7
	s_waitcnt vmcnt(0) lgkmcnt(0)
	ds_write2_b64 v7, v[8:9], v[10:11] offset1:1
	flat_load_dwordx4 v[8:11], v[2:3]
	v_lshl_add_u64 v[2:3], v[2:3], 0, s[0:1]
	s_waitcnt vmcnt(0) lgkmcnt(0)
	ds_write2_b64 v12, v[8:9], v[10:11] offset1:1
	flat_load_dwordx4 v[8:11], v[2:3]
	v_add_u32_e32 v12, 0x2100, v7
	v_lshl_add_u64 v[2:3], v[2:3], 0, s[0:1]
	s_waitcnt vmcnt(0) lgkmcnt(0)
	ds_write2_b64 v12, v[8:9], v[10:11] offset1:1
	flat_load_dwordx4 v[8:11], v[2:3]
	v_add_u32_e32 v2, 0x3180, v7
	s_waitcnt vmcnt(0) lgkmcnt(0)
	ds_write2_b64 v2, v[8:9], v[10:11] offset1:1
	v_mov_b64_e32 v[8:9], v[0:1]
.LBB50_34:
	v_lshlrev_b32_e32 v19, 2, v5
	v_cmp_le_u32_e64 s[4:5], v19, v4
	s_waitcnt lgkmcnt(0)
	s_barrier
	s_and_saveexec_b64 s[0:1], s[4:5]
	s_xor_b64 s[0:1], exec, s[0:1]
	s_cbranch_execz .LBB50_38
; %bb.35:
	v_cmp_eq_u32_e32 vcc, v19, v4
	s_and_saveexec_b64 s[6:7], vcc
	s_cbranch_execz .LBB50_37
; %bb.36:
	v_mul_u32_u24_e32 v0, 34, v4
	v_lshlrev_b32_e32 v2, 4, v0
	v_mov_b32_e32 v0, 0
	v_mov_b32_e32 v1, v0
	ds_write_b64 v2, v[0:1] offset:8
.LBB50_37:
	s_or_b64 exec, exec, s[6:7]
.LBB50_38:
	s_or_saveexec_b64 s[0:1], s[0:1]
	v_mul_u32_u24_e32 v15, 33, v4
	v_add_lshl_u32 v17, v19, v15, 4
	s_xor_b64 exec, exec, s[0:1]
	s_cbranch_execz .LBB50_40
; %bb.39:
	v_mul_u32_u24_e32 v0, 0x84, v5
	v_add_lshl_u32 v0, v0, v4, 4
	ds_read_b128 v[0:3], v0
	s_waitcnt lgkmcnt(0)
	v_xor_b32_e32 v3, 0x80000000, v3
	ds_write_b128 v17, v[0:3]
.LBB50_40:
	s_or_b64 exec, exec, s[0:1]
	v_or_b32_e32 v18, 1, v19
	v_cmp_ge_u32_e64 s[6:7], v19, v4
	v_mul_u32_u24_e32 v0, 33, v18
	s_and_saveexec_b64 s[0:1], s[6:7]
	s_xor_b64 s[0:1], exec, s[0:1]
	s_cbranch_execz .LBB50_42
; %bb.41:
	v_add_lshl_u32 v1, v0, v4, 4
	ds_read_b128 v[10:13], v1
	s_waitcnt lgkmcnt(0)
	v_xor_b32_e32 v13, 0x80000000, v13
	ds_write_b128 v17, v[10:13] offset:16
.LBB50_42:
	s_andn2_saveexec_b64 s[0:1], s[0:1]
	s_cbranch_execz .LBB50_46
; %bb.43:
	v_cmp_eq_u32_e32 vcc, v18, v4
	s_and_saveexec_b64 s[8:9], vcc
	s_cbranch_execz .LBB50_45
; %bb.44:
	v_mul_u32_u24_e32 v1, 34, v4
	v_mov_b32_e32 v2, 0
	v_lshlrev_b32_e32 v1, 4, v1
	v_mov_b32_e32 v3, v2
	ds_write_b64 v1, v[2:3] offset:8
.LBB50_45:
	s_or_b64 exec, exec, s[8:9]
.LBB50_46:
	s_or_b64 exec, exec, s[0:1]
	v_or_b32_e32 v20, 2, v19
	v_cmp_le_u32_e64 s[8:9], v20, v4
	s_and_saveexec_b64 s[0:1], s[8:9]
	s_xor_b64 s[0:1], exec, s[0:1]
	s_cbranch_execz .LBB50_50
; %bb.47:
	v_cmp_eq_u32_e32 vcc, v20, v4
	s_and_saveexec_b64 s[10:11], vcc
	s_cbranch_execz .LBB50_49
; %bb.48:
	v_mul_u32_u24_e32 v1, 34, v4
	v_mov_b32_e32 v2, 0
	v_lshlrev_b32_e32 v1, 4, v1
	v_mov_b32_e32 v3, v2
	ds_write_b64 v1, v[2:3] offset:8
.LBB50_49:
	s_or_b64 exec, exec, s[10:11]
.LBB50_50:
	s_andn2_saveexec_b64 s[0:1], s[0:1]
	s_cbranch_execz .LBB50_52
; %bb.51:
	v_mul_u32_u24_e32 v1, 33, v20
	v_add_lshl_u32 v1, v1, v4, 4
	ds_read_b128 v[10:13], v1
	s_waitcnt lgkmcnt(0)
	v_xor_b32_e32 v13, 0x80000000, v13
	ds_write_b128 v17, v[10:13] offset:32
.LBB50_52:
	s_or_b64 exec, exec, s[0:1]
	v_or_b32_e32 v21, 3, v19
	v_cmp_le_u32_e64 s[10:11], v21, v4
	s_and_saveexec_b64 s[0:1], s[10:11]
	s_xor_b64 s[0:1], exec, s[0:1]
	s_cbranch_execz .LBB50_56
; %bb.53:
	v_cmp_eq_u32_e32 vcc, v21, v4
	s_and_saveexec_b64 s[14:15], vcc
	s_cbranch_execz .LBB50_55
; %bb.54:
	v_mul_u32_u24_e32 v1, 34, v4
	v_mov_b32_e32 v2, 0
	v_lshlrev_b32_e32 v1, 4, v1
	v_mov_b32_e32 v3, v2
	ds_write_b64 v1, v[2:3] offset:8
.LBB50_55:
	s_or_b64 exec, exec, s[14:15]
.LBB50_56:
	s_andn2_saveexec_b64 s[0:1], s[0:1]
	s_cbranch_execz .LBB50_58
; %bb.57:
	v_mul_u32_u24_e32 v1, 33, v21
	v_add_lshl_u32 v1, v1, v4, 4
	ds_read_b128 v[10:13], v1
	s_waitcnt lgkmcnt(0)
	v_xor_b32_e32 v13, 0x80000000, v13
	ds_write_b128 v17, v[10:13] offset:48
.LBB50_58:
	s_or_b64 exec, exec, s[0:1]
	v_mul_u32_u24_e32 v1, 0x84, v5
	v_lshlrev_b32_e32 v22, 4, v19
	s_waitcnt lgkmcnt(0)
	s_barrier
	v_add_lshl_u32 v16, v1, v4, 4
	ds_read_b128 v[10:13], v22 offset:18176
	ds_read_b128 v[24:27], v22 offset:18192
	ds_read_b128 v[28:31], v16
	ds_read_b128 v[32:35], v22 offset:18208
	ds_read_b128 v[46:49], v22 offset:18224
	v_add_lshl_u32 v45, v0, v4, 4
	ds_read_b128 v[0:3], v45
	s_waitcnt lgkmcnt(3)
	v_mul_f64 v[40:41], v[12:13], v[30:31]
	v_fma_f64 v[40:41], v[10:11], v[28:29], -v[40:41]
	v_mul_f64 v[10:11], v[10:11], v[30:31]
	v_fmac_f64_e32 v[10:11], v[12:13], v[28:29]
	v_add_f64 v[30:31], v[10:11], 0
	s_waitcnt lgkmcnt(0)
	v_mul_f64 v[10:11], v[26:27], v[2:3]
	v_add_f64 v[28:29], v[40:41], 0
	v_fma_f64 v[40:41], v[24:25], v[0:1], -v[10:11]
	v_mul_f64 v[2:3], v[24:25], v[2:3]
	ds_read_b128 v[10:13], v45 offset:528
	v_fmac_f64_e32 v[2:3], v[26:27], v[0:1]
	v_add_f64 v[26:27], v[30:31], v[2:3]
	ds_read_b128 v[0:3], v45 offset:1056
	v_add_f64 v[24:25], v[28:29], v[40:41]
	s_waitcnt lgkmcnt(1)
	v_mul_f64 v[28:29], v[34:35], v[12:13]
	v_fma_f64 v[28:29], v[32:33], v[10:11], -v[28:29]
	v_mul_f64 v[12:13], v[32:33], v[12:13]
	v_fmac_f64_e32 v[12:13], v[34:35], v[10:11]
	v_add_f64 v[10:11], v[24:25], v[28:29]
	s_waitcnt lgkmcnt(0)
	v_mul_f64 v[24:25], v[48:49], v[2:3]
	v_mul_f64 v[2:3], v[46:47], v[2:3]
	v_add_f64 v[12:13], v[26:27], v[12:13]
	v_fma_f64 v[24:25], v[46:47], v[0:1], -v[24:25]
	v_fmac_f64_e32 v[2:3], v[48:49], v[0:1]
	v_add_f64 v[0:1], v[10:11], v[24:25]
	v_add_f64 v[2:3], v[12:13], v[2:3]
	v_add_lshl_u32 v44, v5, v15, 4
	s_barrier
	ds_write_b128 v44, v[0:3]
	v_mov_b64_e32 v[0:1], 0
	v_cmp_gt_u32_e64 s[0:1], 32, v42
	v_lshlrev_b32_e32 v43, 4, v15
	v_mov_b64_e32 v[2:3], v[0:1]
	s_waitcnt lgkmcnt(0)
	s_barrier
	s_and_saveexec_b64 s[14:15], s[0:1]
	s_cbranch_execz .LBB50_60
; %bb.59:
	ds_read_b128 v[0:3], v43
	ds_read_b128 v[10:13], v43 offset:16
	ds_read_b128 v[24:27], v43 offset:32
	;; [unrolled: 1-line block ×3, first 2 shown]
	s_waitcnt lgkmcnt(2)
	v_add_f64 v[0:1], v[10:11], v[0:1]
	v_add_f64 v[10:11], v[12:13], v[2:3]
	s_waitcnt lgkmcnt(1)
	v_add_f64 v[12:13], v[0:1], v[24:25]
	ds_read_b128 v[0:3], v43 offset:64
	v_add_f64 v[10:11], v[10:11], v[26:27]
	s_waitcnt lgkmcnt(1)
	v_add_f64 v[24:25], v[12:13], v[28:29]
	v_add_f64 v[28:29], v[10:11], v[30:31]
	ds_read_b128 v[10:13], v43 offset:80
	s_waitcnt lgkmcnt(1)
	v_add_f64 v[30:31], v[24:25], v[0:1]
	ds_read_b128 v[24:27], v43 offset:96
	v_add_f64 v[28:29], v[28:29], v[2:3]
	ds_read_b128 v[0:3], v43 offset:112
	s_waitcnt lgkmcnt(2)
	v_add_f64 v[10:11], v[30:31], v[10:11]
	v_add_f64 v[12:13], v[28:29], v[12:13]
	s_waitcnt lgkmcnt(1)
	v_add_f64 v[10:11], v[10:11], v[24:25]
	v_add_f64 v[12:13], v[12:13], v[26:27]
	;; [unrolled: 3-line block ×3, first 2 shown]
.LBB50_60:
	s_or_b64 exec, exec, s[14:15]
	s_lshl_b32 s28, s26, 5
	s_ashr_i32 s29, s28, 31
	v_lshl_add_u64 v[12:13], s[28:29], 4, v[8:9]
	s_mov_b64 s[14:15], 0x200
	v_lshl_add_u64 v[10:11], v[12:13], 0, s[14:15]
	s_and_b64 vcc, exec, s[30:31]
	s_barrier
	s_cbranch_vccz .LBB50_78
; %bb.61:
	v_or_b32_e32 v7, 32, v4
	v_lshlrev_b32_e32 v8, 4, v7
	v_sub_co_u32_e32 v8, vcc, v10, v8
	s_ashr_i32 s17, s16, 31
	s_nop 0
	v_subbrev_co_u32_e32 v9, vcc, 0, v11, vcc
	v_lshl_add_u64 v[8:9], s[16:17], 4, v[8:9]
	v_lshl_add_u64 v[8:9], v[8:9], 0, -16
	v_cmp_gt_i32_e32 vcc, s16, v7
	s_sub_i32 s25, s16, 32
	v_cmp_le_i32_e64 s[14:15], s25, v5
	v_cndmask_b32_e32 v9, v9, v11, vcc
	v_cndmask_b32_e32 v8, v8, v10, vcc
	v_add_lshl_u32 v7, v14, v4, 4
	s_and_saveexec_b64 s[36:37], s[14:15]
	s_xor_b64 s[14:15], exec, s[36:37]
	s_cbranch_execz .LBB50_63
; %bb.62:
	v_mov_b32_e32 v24, 0
	v_mov_b32_e32 v25, v24
	;; [unrolled: 1-line block ×4, first 2 shown]
	ds_write_b128 v7, v[24:27]
.LBB50_63:
	s_andn2_saveexec_b64 s[14:15], s[14:15]
	s_cbranch_execz .LBB50_65
; %bb.64:
	flat_load_dwordx4 v[24:27], v[8:9]
	s_waitcnt vmcnt(0) lgkmcnt(0)
	ds_write2_b64 v7, v[24:25], v[26:27] offset1:1
.LBB50_65:
	s_or_b64 exec, exec, s[14:15]
	v_add_u32_e32 v23, 8, v5
	v_cmp_le_i32_e64 s[14:15], s25, v23
	s_and_saveexec_b64 s[36:37], s[14:15]
	s_xor_b64 s[14:15], exec, s[36:37]
	s_cbranch_execz .LBB50_67
; %bb.66:
	v_mul_u32_u24_e32 v23, 33, v23
	v_mov_b32_e32 v24, 0
	v_add_lshl_u32 v23, v23, v4, 4
	v_mov_b32_e32 v25, v24
	v_mov_b32_e32 v26, v24
	;; [unrolled: 1-line block ×3, first 2 shown]
	ds_write_b128 v23, v[24:27]
.LBB50_67:
	s_andn2_saveexec_b64 s[14:15], s[14:15]
	s_cbranch_execz .LBB50_69
; %bb.68:
	s_lshl_b32 s36, s26, 3
	s_ashr_i32 s37, s36, 31
	v_lshl_add_u64 v[24:25], s[36:37], 4, v[8:9]
	flat_load_dwordx4 v[24:27], v[24:25]
	v_add_u32_e32 v23, 0x1080, v7
	s_waitcnt vmcnt(0) lgkmcnt(0)
	ds_write2_b64 v23, v[24:25], v[26:27] offset1:1
.LBB50_69:
	s_or_b64 exec, exec, s[14:15]
	v_add_u32_e32 v23, 16, v5
	v_cmp_le_i32_e64 s[14:15], s25, v23
	s_and_saveexec_b64 s[36:37], s[14:15]
	s_xor_b64 s[14:15], exec, s[36:37]
	s_cbranch_execz .LBB50_71
; %bb.70:
	v_mul_u32_u24_e32 v23, 33, v23
	v_mov_b32_e32 v24, 0
	v_add_lshl_u32 v23, v23, v4, 4
	v_mov_b32_e32 v25, v24
	v_mov_b32_e32 v26, v24
	;; [unrolled: 1-line block ×3, first 2 shown]
	ds_write_b128 v23, v[24:27]
.LBB50_71:
	s_andn2_saveexec_b64 s[14:15], s[14:15]
	s_cbranch_execz .LBB50_73
; %bb.72:
	s_lshl_b32 s36, s26, 4
	s_ashr_i32 s37, s36, 31
	v_lshl_add_u64 v[24:25], s[36:37], 4, v[8:9]
	flat_load_dwordx4 v[24:27], v[24:25]
	v_add_u32_e32 v23, 0x2100, v7
	s_waitcnt vmcnt(0) lgkmcnt(0)
	ds_write2_b64 v23, v[24:25], v[26:27] offset1:1
.LBB50_73:
	s_or_b64 exec, exec, s[14:15]
	v_add_u32_e32 v23, 24, v5
	v_cmp_le_i32_e64 s[14:15], s25, v23
	s_and_saveexec_b64 s[36:37], s[14:15]
	s_xor_b64 s[14:15], exec, s[36:37]
	s_cbranch_execz .LBB50_75
; %bb.74:
	v_mov_b32_e32 v24, 0
	v_mov_b32_e32 v25, v24
	;; [unrolled: 1-line block ×4, first 2 shown]
	ds_write_b128 v7, v[24:27] offset:12672
                                        ; implicit-def: $vgpr7
.LBB50_75:
	s_andn2_saveexec_b64 s[14:15], s[14:15]
	s_cbranch_execz .LBB50_77
; %bb.76:
	s_mul_i32 s36, s26, 24
	s_ashr_i32 s37, s36, 31
	v_lshl_add_u64 v[24:25], s[36:37], 4, v[8:9]
	flat_load_dwordx4 v[24:27], v[24:25]
	v_add_u32_e32 v7, 0x3180, v7
	s_waitcnt vmcnt(0) lgkmcnt(0)
	ds_write2_b64 v7, v[24:25], v[26:27] offset1:1
.LBB50_77:
	s_or_b64 exec, exec, s[14:15]
	v_mov_b32_e32 v7, 0
	v_lshl_add_u64 v[8:9], v[8:9], 0, v[6:7]
	s_lshl_b64 s[14:15], s[16:17], 4
	v_mov_b32_e32 v7, s15
	v_subrev_co_u32_e64 v8, s[14:15], s14, v8
	s_nop 1
	v_subb_co_u32_e64 v9, s[14:15], v9, v7, s[14:15]
	s_mov_b64 s[14:15], 0x210
	s_nop 0
	v_lshl_add_u64 v[8:9], v[8:9], 0, s[14:15]
	v_cndmask_b32_e32 v9, v9, v11, vcc
	v_cndmask_b32_e32 v8, v8, v10, vcc
	s_branch .LBB50_80
.LBB50_78:
                                        ; implicit-def: $vgpr8_vgpr9
	s_cbranch_execz .LBB50_80
; %bb.79:
	flat_load_dwordx4 v[24:27], v[10:11]
	s_lshl_b32 s14, s26, 3
	v_add_lshl_u32 v7, v14, v4, 4
	s_ashr_i32 s15, s14, 31
	v_lshl_add_u64 v[8:9], s[14:15], 4, v[12:13]
	s_ashr_i32 s27, s26, 31
	v_add_u32_e32 v12, 0x1080, v7
	s_lshl_b64 s[14:15], s[26:27], 7
	s_waitcnt vmcnt(0) lgkmcnt(0)
	ds_write2_b64 v7, v[24:25], v[26:27] offset1:1
	flat_load_dwordx4 v[24:27], v[8:9] offset:512
	v_lshl_add_u64 v[8:9], v[8:9], 0, s[14:15]
	s_waitcnt vmcnt(0) lgkmcnt(0)
	ds_write2_b64 v12, v[24:25], v[26:27] offset1:1
	flat_load_dwordx4 v[24:27], v[8:9] offset:512
	v_add_u32_e32 v12, 0x2100, v7
	v_lshl_add_u64 v[8:9], v[8:9], 0, s[14:15]
	v_add_u32_e32 v7, 0x3180, v7
	s_waitcnt vmcnt(0) lgkmcnt(0)
	ds_write2_b64 v12, v[24:25], v[26:27] offset1:1
	flat_load_dwordx4 v[24:27], v[8:9] offset:512
	v_mov_b64_e32 v[8:9], v[10:11]
	s_waitcnt vmcnt(0) lgkmcnt(0)
	ds_write2_b64 v7, v[24:25], v[26:27] offset1:1
.LBB50_80:
	s_waitcnt lgkmcnt(0)
	s_barrier
	s_and_saveexec_b64 s[14:15], s[4:5]
	s_xor_b64 s[4:5], exec, s[14:15]
	s_cbranch_execnz .LBB50_109
; %bb.81:
	s_andn2_saveexec_b64 s[4:5], s[4:5]
	s_cbranch_execnz .LBB50_112
.LBB50_82:
	s_or_b64 exec, exec, s[4:5]
	s_and_saveexec_b64 s[4:5], s[6:7]
	s_xor_b64 s[4:5], exec, s[4:5]
	s_cbranch_execnz .LBB50_113
.LBB50_83:
	s_andn2_saveexec_b64 s[4:5], s[4:5]
	s_cbranch_execnz .LBB50_114
.LBB50_84:
	s_or_b64 exec, exec, s[4:5]
	s_and_saveexec_b64 s[4:5], s[8:9]
	s_xor_b64 s[4:5], exec, s[4:5]
	s_cbranch_execnz .LBB50_117
.LBB50_85:
	s_andn2_saveexec_b64 s[4:5], s[4:5]
	s_cbranch_execnz .LBB50_120
.LBB50_86:
	s_or_b64 exec, exec, s[4:5]
	s_and_saveexec_b64 s[4:5], s[10:11]
	s_xor_b64 s[4:5], exec, s[4:5]
	s_cbranch_execnz .LBB50_121
.LBB50_87:
	s_or_saveexec_b64 s[4:5], s[4:5]
	v_add_u32_e32 v18, 0x4700, v22
	s_xor_b64 exec, exec, s[4:5]
	s_cbranch_execz .LBB50_89
.LBB50_88:
	ds_read_b128 v[10:13], v45 offset:1056
	s_waitcnt lgkmcnt(0)
	v_xor_b32_e32 v13, 0x80000000, v13
	ds_write_b128 v17, v[10:13] offset:48
.LBB50_89:
	s_or_b64 exec, exec, s[4:5]
	s_waitcnt lgkmcnt(0)
	s_barrier
	ds_read_b128 v[10:13], v18 offset:512
	ds_read_b128 v[20:23], v16
	ds_read_b128 v[24:27], v18 offset:528
	ds_read_b128 v[28:31], v18 offset:544
	v_cmp_eq_u32_e64 s[4:5], 1, v5
	s_waitcnt lgkmcnt(2)
	v_mul_f64 v[32:33], v[12:13], v[22:23]
	v_fma_f64 v[40:41], v[10:11], v[20:21], -v[32:33]
	ds_read_b128 v[32:35], v18 offset:560
	ds_read_b128 v[46:49], v45
	v_mul_f64 v[10:11], v[10:11], v[22:23]
	v_fmac_f64_e32 v[10:11], v[12:13], v[20:21]
	v_add_f64 v[22:23], v[10:11], 0
	v_add_f64 v[20:21], v[40:41], 0
	s_waitcnt lgkmcnt(0)
	v_mul_f64 v[10:11], v[26:27], v[48:49]
	v_fma_f64 v[40:41], v[24:25], v[46:47], -v[10:11]
	v_mul_f64 v[24:25], v[24:25], v[48:49]
	ds_read_b128 v[10:13], v45 offset:528
	v_fmac_f64_e32 v[24:25], v[26:27], v[46:47]
	v_add_f64 v[26:27], v[20:21], v[40:41]
	v_add_f64 v[24:25], v[22:23], v[24:25]
	ds_read_b128 v[20:23], v45 offset:1056
	s_waitcnt lgkmcnt(1)
	v_mul_f64 v[40:41], v[30:31], v[12:13]
	v_mul_f64 v[12:13], v[28:29], v[12:13]
	v_fmac_f64_e32 v[12:13], v[30:31], v[10:11]
	v_fma_f64 v[40:41], v[28:29], v[10:11], -v[40:41]
	v_add_f64 v[12:13], v[24:25], v[12:13]
	s_waitcnt lgkmcnt(0)
	v_mul_f64 v[24:25], v[34:35], v[22:23]
	v_mul_f64 v[22:23], v[32:33], v[22:23]
	v_add_f64 v[10:11], v[26:27], v[40:41]
	v_fma_f64 v[24:25], v[32:33], v[20:21], -v[24:25]
	v_fmac_f64_e32 v[22:23], v[34:35], v[20:21]
	v_add_f64 v[10:11], v[10:11], v[24:25]
	v_add_f64 v[12:13], v[12:13], v[22:23]
	s_barrier
	ds_write_b128 v44, v[10:13]
	s_waitcnt lgkmcnt(0)
	s_barrier
	s_and_saveexec_b64 s[6:7], s[4:5]
	s_cbranch_execz .LBB50_91
; %bb.90:
	ds_read_b128 v[0:3], v43
	ds_read_b128 v[10:13], v43 offset:16
	ds_read_b128 v[20:23], v43 offset:32
	;; [unrolled: 1-line block ×3, first 2 shown]
	s_waitcnt lgkmcnt(2)
	v_add_f64 v[0:1], v[10:11], v[0:1]
	v_add_f64 v[10:11], v[12:13], v[2:3]
	s_waitcnt lgkmcnt(1)
	v_add_f64 v[12:13], v[0:1], v[20:21]
	ds_read_b128 v[0:3], v43 offset:64
	v_add_f64 v[10:11], v[10:11], v[22:23]
	s_waitcnt lgkmcnt(1)
	v_add_f64 v[20:21], v[12:13], v[24:25]
	v_add_f64 v[24:25], v[10:11], v[26:27]
	ds_read_b128 v[10:13], v43 offset:80
	s_waitcnt lgkmcnt(1)
	v_add_f64 v[26:27], v[20:21], v[0:1]
	ds_read_b128 v[20:23], v43 offset:96
	v_add_f64 v[24:25], v[24:25], v[2:3]
	ds_read_b128 v[0:3], v43 offset:112
	s_waitcnt lgkmcnt(2)
	v_add_f64 v[10:11], v[26:27], v[10:11]
	v_add_f64 v[12:13], v[24:25], v[12:13]
	s_waitcnt lgkmcnt(1)
	v_add_f64 v[10:11], v[10:11], v[20:21]
	v_add_f64 v[12:13], v[12:13], v[22:23]
	;; [unrolled: 3-line block ×3, first 2 shown]
.LBB50_91:
	s_or_b64 exec, exec, s[6:7]
	s_movk_i32 s6, 0xfe00
	s_mov_b32 s7, -1
	v_lshl_add_u64 v[8:9], v[8:9], 0, s[6:7]
	s_and_b64 vcc, exec, s[30:31]
	s_barrier
	s_cbranch_vccz .LBB50_124
; %bb.92:
	v_sub_co_u32_e32 v10, vcc, v8, v6
	s_ashr_i32 s17, s16, 31
	s_nop 0
	v_subbrev_co_u32_e32 v11, vcc, 0, v9, vcc
	v_lshl_add_u64 v[10:11], s[16:17], 4, v[10:11]
	v_lshl_add_u64 v[10:11], v[10:11], 0, -16
	v_cmp_gt_i32_e32 vcc, s16, v4
	s_sub_i32 s8, s16, 32
	v_cmp_le_i32_e64 s[6:7], s8, v5
	v_cndmask_b32_e32 v11, v11, v9, vcc
	v_cndmask_b32_e32 v10, v10, v8, vcc
	v_add_lshl_u32 v7, v14, v4, 4
	s_and_saveexec_b64 s[10:11], s[6:7]
	s_xor_b64 s[6:7], exec, s[10:11]
	s_cbranch_execz .LBB50_94
; %bb.93:
	v_mov_b32_e32 v20, 0
	v_mov_b32_e32 v21, v20
	;; [unrolled: 1-line block ×4, first 2 shown]
	ds_write_b128 v7, v[20:23]
.LBB50_94:
	s_andn2_saveexec_b64 s[6:7], s[6:7]
	s_cbranch_execz .LBB50_96
; %bb.95:
	flat_load_dwordx4 v[20:23], v[10:11]
	s_waitcnt vmcnt(0) lgkmcnt(0)
	ds_write2_b64 v7, v[20:21], v[22:23] offset1:1
.LBB50_96:
	s_or_b64 exec, exec, s[6:7]
	v_add_u32_e32 v12, 8, v5
	v_cmp_le_i32_e64 s[6:7], s8, v12
	s_and_saveexec_b64 s[10:11], s[6:7]
	s_xor_b64 s[6:7], exec, s[10:11]
	s_cbranch_execz .LBB50_98
; %bb.97:
	v_mul_u32_u24_e32 v13, 33, v12
	v_mov_b32_e32 v20, 0
	v_add_lshl_u32 v13, v13, v4, 4
	v_mov_b32_e32 v21, v20
	v_mov_b32_e32 v22, v20
	;; [unrolled: 1-line block ×3, first 2 shown]
	ds_write_b128 v13, v[20:23]
.LBB50_98:
	s_andn2_saveexec_b64 s[6:7], s[6:7]
	s_cbranch_execz .LBB50_100
; %bb.99:
	s_lshl_b32 s10, s26, 3
	s_ashr_i32 s11, s10, 31
	v_lshl_add_u64 v[20:21], s[10:11], 4, v[10:11]
	flat_load_dwordx4 v[20:23], v[20:21]
	v_add_u32_e32 v13, 0x1080, v7
	s_waitcnt vmcnt(0) lgkmcnt(0)
	ds_write2_b64 v13, v[20:21], v[22:23] offset1:1
.LBB50_100:
	s_or_b64 exec, exec, s[6:7]
	v_add_u32_e32 v13, 16, v5
	v_cmp_le_i32_e64 s[6:7], s8, v13
	s_and_saveexec_b64 s[10:11], s[6:7]
	s_xor_b64 s[6:7], exec, s[10:11]
	s_cbranch_execz .LBB50_102
; %bb.101:
	v_mul_u32_u24_e32 v17, 33, v13
	v_mov_b32_e32 v20, 0
	v_add_lshl_u32 v17, v17, v4, 4
	v_mov_b32_e32 v21, v20
	v_mov_b32_e32 v22, v20
	;; [unrolled: 1-line block ×3, first 2 shown]
	ds_write_b128 v17, v[20:23]
.LBB50_102:
	s_andn2_saveexec_b64 s[6:7], s[6:7]
	s_cbranch_execz .LBB50_104
; %bb.103:
	s_lshl_b32 s10, s26, 4
	s_ashr_i32 s11, s10, 31
	v_lshl_add_u64 v[20:21], s[10:11], 4, v[10:11]
	flat_load_dwordx4 v[20:23], v[20:21]
	v_add_u32_e32 v17, 0x2100, v7
	s_waitcnt vmcnt(0) lgkmcnt(0)
	ds_write2_b64 v17, v[20:21], v[22:23] offset1:1
.LBB50_104:
	s_or_b64 exec, exec, s[6:7]
	v_add_u32_e32 v17, 24, v5
	v_cmp_le_i32_e64 s[6:7], s8, v17
	s_and_saveexec_b64 s[8:9], s[6:7]
	s_xor_b64 s[6:7], exec, s[8:9]
	s_cbranch_execz .LBB50_106
; %bb.105:
	v_mov_b32_e32 v20, 0
	v_mov_b32_e32 v21, v20
	;; [unrolled: 1-line block ×4, first 2 shown]
	ds_write_b128 v7, v[20:23] offset:12672
                                        ; implicit-def: $vgpr7
.LBB50_106:
	s_andn2_saveexec_b64 s[6:7], s[6:7]
	s_cbranch_execz .LBB50_108
; %bb.107:
	s_mul_i32 s8, s26, 24
	s_ashr_i32 s9, s8, 31
	v_lshl_add_u64 v[20:21], s[8:9], 4, v[10:11]
	flat_load_dwordx4 v[20:23], v[20:21]
	v_add_u32_e32 v7, 0x3180, v7
	s_waitcnt vmcnt(0) lgkmcnt(0)
	ds_write2_b64 v7, v[20:21], v[22:23] offset1:1
.LBB50_108:
	s_or_b64 exec, exec, s[6:7]
	v_mov_b32_e32 v7, 0
	v_lshl_add_u64 v[6:7], v[10:11], 0, v[6:7]
	s_lshl_b64 s[6:7], s[16:17], 4
	v_mov_b32_e32 v10, s7
	v_subrev_co_u32_e64 v6, s[6:7], s6, v6
	s_nop 1
	v_subb_co_u32_e64 v7, s[6:7], v7, v10, s[6:7]
	v_lshl_add_u64 v[6:7], v[6:7], 0, 16
	v_cndmask_b32_e32 v41, v7, v9, vcc
	v_cndmask_b32_e32 v40, v6, v8, vcc
	s_branch .LBB50_126
.LBB50_109:
	v_cmp_eq_u32_e32 vcc, v19, v4
	s_and_saveexec_b64 s[14:15], vcc
	s_cbranch_execz .LBB50_111
; %bb.110:
	v_mul_u32_u24_e32 v7, 34, v4
	v_mov_b32_e32 v10, 0
	v_lshlrev_b32_e32 v7, 4, v7
	v_mov_b32_e32 v11, v10
	ds_write_b64 v7, v[10:11] offset:8
.LBB50_111:
	s_or_b64 exec, exec, s[14:15]
	s_andn2_saveexec_b64 s[4:5], s[4:5]
	s_cbranch_execz .LBB50_82
.LBB50_112:
	ds_read_b128 v[10:13], v16
	s_waitcnt lgkmcnt(0)
	v_xor_b32_e32 v13, 0x80000000, v13
	ds_write_b128 v17, v[10:13]
	s_or_b64 exec, exec, s[4:5]
	s_and_saveexec_b64 s[4:5], s[6:7]
	s_xor_b64 s[4:5], exec, s[4:5]
	s_cbranch_execz .LBB50_83
.LBB50_113:
	ds_read_b128 v[10:13], v45
                                        ; implicit-def: $vgpr18
	s_waitcnt lgkmcnt(0)
	v_xor_b32_e32 v13, 0x80000000, v13
	ds_write_b128 v17, v[10:13] offset:16
	s_andn2_saveexec_b64 s[4:5], s[4:5]
	s_cbranch_execz .LBB50_84
.LBB50_114:
	v_cmp_eq_u32_e32 vcc, v18, v4
	s_and_saveexec_b64 s[6:7], vcc
	s_cbranch_execz .LBB50_116
; %bb.115:
	v_mul_u32_u24_e32 v7, 34, v4
	v_mov_b32_e32 v10, 0
	v_lshlrev_b32_e32 v7, 4, v7
	v_mov_b32_e32 v11, v10
	ds_write_b64 v7, v[10:11] offset:8
.LBB50_116:
	s_or_b64 exec, exec, s[6:7]
	s_or_b64 exec, exec, s[4:5]
	s_and_saveexec_b64 s[4:5], s[8:9]
	s_xor_b64 s[4:5], exec, s[4:5]
	s_cbranch_execz .LBB50_85
.LBB50_117:
	v_cmp_eq_u32_e32 vcc, v20, v4
	s_and_saveexec_b64 s[6:7], vcc
	s_cbranch_execz .LBB50_119
; %bb.118:
	v_mul_u32_u24_e32 v7, 34, v4
	v_mov_b32_e32 v10, 0
	v_lshlrev_b32_e32 v7, 4, v7
	v_mov_b32_e32 v11, v10
	ds_write_b64 v7, v[10:11] offset:8
.LBB50_119:
	s_or_b64 exec, exec, s[6:7]
	s_andn2_saveexec_b64 s[4:5], s[4:5]
	s_cbranch_execz .LBB50_86
.LBB50_120:
	ds_read_b128 v[10:13], v45 offset:528
	s_waitcnt lgkmcnt(0)
	v_xor_b32_e32 v13, 0x80000000, v13
	ds_write_b128 v17, v[10:13] offset:32
	s_or_b64 exec, exec, s[4:5]
	s_and_saveexec_b64 s[4:5], s[10:11]
	s_xor_b64 s[4:5], exec, s[4:5]
	s_cbranch_execz .LBB50_87
.LBB50_121:
	v_cmp_eq_u32_e32 vcc, v21, v4
	s_and_saveexec_b64 s[6:7], vcc
	s_cbranch_execz .LBB50_123
; %bb.122:
	v_mul_u32_u24_e32 v7, 34, v4
	v_mov_b32_e32 v10, 0
	v_lshlrev_b32_e32 v7, 4, v7
	v_mov_b32_e32 v11, v10
	ds_write_b64 v7, v[10:11] offset:8
.LBB50_123:
	s_or_b64 exec, exec, s[6:7]
                                        ; implicit-def: $vgpr17
	s_or_saveexec_b64 s[4:5], s[4:5]
	v_add_u32_e32 v18, 0x4700, v22
	s_xor_b64 exec, exec, s[4:5]
	s_cbranch_execnz .LBB50_88
	s_branch .LBB50_89
.LBB50_124:
                                        ; implicit-def: $vgpr40_vgpr41
                                        ; implicit-def: $vgpr12
                                        ; implicit-def: $vgpr13
                                        ; implicit-def: $vgpr17
	s_cbranch_execz .LBB50_126
; %bb.125:
	flat_load_dwordx4 v[10:13], v[8:9]
	s_lshl_b32 s6, s26, 3
	v_add_lshl_u32 v4, v14, v4, 4
	s_ashr_i32 s7, s6, 31
	v_lshl_add_u64 v[6:7], s[6:7], 4, v[8:9]
	s_ashr_i32 s27, s26, 31
	v_add_u32_e32 v14, 0x1080, v4
	s_lshl_b64 s[6:7], s[26:27], 7
	v_add_u32_e32 v17, 24, v5
	v_mov_b64_e32 v[40:41], v[8:9]
	s_waitcnt vmcnt(0) lgkmcnt(0)
	ds_write2_b64 v4, v[10:11], v[12:13] offset1:1
	flat_load_dwordx4 v[10:13], v[6:7]
	v_lshl_add_u64 v[6:7], v[6:7], 0, s[6:7]
	s_waitcnt vmcnt(0) lgkmcnt(0)
	ds_write2_b64 v14, v[10:11], v[12:13] offset1:1
	flat_load_dwordx4 v[10:13], v[6:7]
	v_add_u32_e32 v14, 0x2100, v4
	v_lshl_add_u64 v[6:7], v[6:7], 0, s[6:7]
	v_add_u32_e32 v4, 0x3180, v4
	s_waitcnt vmcnt(0) lgkmcnt(0)
	ds_write2_b64 v14, v[10:11], v[12:13] offset1:1
	flat_load_dwordx4 v[20:23], v[6:7]
	v_add_u32_e32 v12, 8, v5
	v_add_u32_e32 v13, 16, v5
	s_waitcnt vmcnt(0) lgkmcnt(0)
	ds_write2_b64 v4, v[20:21], v[22:23] offset1:1
.LBB50_126:
	v_lshlrev_b32_e32 v4, 4, v5
	s_waitcnt lgkmcnt(0)
	s_barrier
	ds_read_b128 v[46:49], v44
	ds_read_b128 v[50:53], v4 offset:18176
	v_add_lshl_u32 v4, v12, v15, 4
	v_lshlrev_b32_e32 v5, 4, v12
	ds_read_b128 v[54:57], v4
	ds_read_b128 v[58:61], v5 offset:18176
	s_waitcnt lgkmcnt(2)
	v_mul_f64 v[4:5], v[48:49], v[52:53]
	v_fmac_f64_e32 v[4:5], v[46:47], v[50:51]
	v_add_f64 v[4:5], v[4:5], 0
	s_waitcnt lgkmcnt(0)
	v_mul_f64 v[6:7], v[56:57], v[60:61]
	v_fmac_f64_e32 v[6:7], v[54:55], v[58:59]
	v_add_f64 v[4:5], v[4:5], v[6:7]
	v_add_lshl_u32 v6, v13, v15, 4
	v_mul_f64 v[70:71], v[48:49], v[50:51]
	v_mul_f64 v[72:73], v[56:57], v[58:59]
	v_lshlrev_b32_e32 v7, 4, v13
	ds_read_b128 v[48:51], v6
	ds_read_b128 v[56:59], v7 offset:18176
	v_add_lshl_u32 v6, v17, v15, 4
	v_lshlrev_b32_e32 v7, 4, v17
	ds_read_b128 v[62:65], v6
	ds_read_b128 v[66:69], v7 offset:18176
	v_fma_f64 v[46:47], v[46:47], v[52:53], -v[70:71]
	s_waitcnt lgkmcnt(2)
	v_mul_f64 v[6:7], v[50:51], v[58:59]
	v_fmac_f64_e32 v[6:7], v[48:49], v[56:57]
	v_add_f64 v[4:5], v[4:5], v[6:7]
	s_waitcnt lgkmcnt(0)
	v_mul_f64 v[6:7], v[64:65], v[68:69]
	v_fmac_f64_e32 v[6:7], v[62:63], v[66:67]
	v_mul_f64 v[56:57], v[50:51], v[56:57]
	v_add_f64 v[50:51], v[4:5], v[6:7]
	ds_read_b128 v[20:23], v18 offset:528
	ds_read_b128 v[12:15], v18 offset:544
	ds_read_b128 v[28:31], v18 offset:512
	ds_read_b128 v[32:35], v16
	ds_read_b128 v[4:7], v18 offset:560
	ds_read_b128 v[24:27], v45
	ds_read_b128 v[16:19], v45 offset:528
	ds_read_b128 v[8:11], v45 offset:1056
	v_add_f64 v[46:47], v[46:47], 0
	v_fma_f64 v[52:53], v[54:55], v[60:61], -v[72:73]
	v_mul_f64 v[64:65], v[64:65], v[66:67]
	v_add_f64 v[46:47], v[46:47], v[52:53]
	v_fma_f64 v[48:49], v[48:49], v[58:59], -v[56:57]
	v_add_f64 v[46:47], v[46:47], v[48:49]
	v_fma_f64 v[48:49], v[62:63], v[68:69], -v[64:65]
	v_add_f64 v[52:53], v[46:47], v[48:49]
	s_waitcnt lgkmcnt(0)
	s_barrier
	ds_write_b128 v44, v[50:53]
	s_waitcnt lgkmcnt(0)
	s_barrier
	s_and_saveexec_b64 s[6:7], s[4:5]
	s_cbranch_execz .LBB50_128
; %bb.127:
	ds_read_b128 v[46:49], v43
	ds_read_b128 v[50:53], v43 offset:16
	ds_read_b128 v[54:57], v43 offset:32
	;; [unrolled: 1-line block ×3, first 2 shown]
	s_waitcnt lgkmcnt(3)
	v_add_f64 v[0:1], v[0:1], v[46:47]
	v_add_f64 v[2:3], v[2:3], v[48:49]
	s_waitcnt lgkmcnt(2)
	v_add_f64 v[0:1], v[0:1], v[50:51]
	v_add_f64 v[46:47], v[2:3], v[52:53]
	s_waitcnt lgkmcnt(1)
	v_add_f64 v[48:49], v[0:1], v[54:55]
	ds_read_b128 v[0:3], v43 offset:64
	v_add_f64 v[46:47], v[46:47], v[56:57]
	s_waitcnt lgkmcnt(1)
	v_add_f64 v[50:51], v[48:49], v[58:59]
	v_add_f64 v[54:55], v[46:47], v[60:61]
	ds_read_b128 v[46:49], v43 offset:80
	s_waitcnt lgkmcnt(1)
	v_add_f64 v[56:57], v[50:51], v[0:1]
	ds_read_b128 v[50:53], v43 offset:96
	v_add_f64 v[54:55], v[54:55], v[2:3]
	ds_read_b128 v[0:3], v43 offset:112
	s_waitcnt lgkmcnt(2)
	v_add_f64 v[46:47], v[56:57], v[46:47]
	v_add_f64 v[48:49], v[54:55], v[48:49]
	s_waitcnt lgkmcnt(1)
	v_add_f64 v[46:47], v[46:47], v[50:51]
	v_add_f64 v[48:49], v[48:49], v[52:53]
	;; [unrolled: 3-line block ×3, first 2 shown]
.LBB50_128:
	s_or_b64 exec, exec, s[6:7]
	v_mul_f64 v[46:47], v[30:31], v[34:35]
	v_fma_f64 v[46:47], v[28:29], v[32:33], -v[46:47]
	v_mul_f64 v[28:29], v[28:29], v[34:35]
	v_fmac_f64_e32 v[28:29], v[30:31], v[32:33]
	v_mul_f64 v[32:33], v[22:23], v[26:27]
	v_fma_f64 v[32:33], v[20:21], v[24:25], -v[32:33]
	v_mul_f64 v[20:21], v[20:21], v[26:27]
	v_fmac_f64_e32 v[20:21], v[22:23], v[24:25]
	v_mul_f64 v[24:25], v[14:15], v[18:19]
	v_add_f64 v[30:31], v[46:47], 0
	v_add_f64 v[28:29], v[28:29], 0
	v_fma_f64 v[24:25], v[12:13], v[16:17], -v[24:25]
	v_mul_f64 v[12:13], v[12:13], v[18:19]
	v_add_f64 v[22:23], v[30:31], v[32:33]
	v_add_f64 v[20:21], v[28:29], v[20:21]
	v_fmac_f64_e32 v[12:13], v[14:15], v[16:17]
	v_mul_f64 v[16:17], v[6:7], v[10:11]
	v_mul_f64 v[10:11], v[4:5], v[10:11]
	v_add_f64 v[14:15], v[22:23], v[24:25]
	v_add_f64 v[12:13], v[20:21], v[12:13]
	v_fma_f64 v[16:17], v[4:5], v[8:9], -v[16:17]
	v_fmac_f64_e32 v[10:11], v[6:7], v[8:9]
	v_add_f64 v[4:5], v[14:15], v[16:17]
	v_add_f64 v[6:7], v[12:13], v[10:11]
	s_barrier
	ds_write_b128 v44, v[4:7]
	s_waitcnt lgkmcnt(0)
	s_barrier
	s_and_saveexec_b64 s[4:5], s[0:1]
	s_cbranch_execz .LBB50_130
; %bb.129:
	ds_read_b128 v[4:7], v43
	ds_read_b128 v[8:11], v43 offset:16
	ds_read_b128 v[12:15], v43 offset:32
	;; [unrolled: 1-line block ×3, first 2 shown]
	s_waitcnt lgkmcnt(3)
	v_add_f64 v[0:1], v[0:1], v[4:5]
	v_add_f64 v[2:3], v[2:3], v[6:7]
	s_waitcnt lgkmcnt(2)
	v_add_f64 v[0:1], v[0:1], v[8:9]
	v_add_f64 v[4:5], v[2:3], v[10:11]
	s_waitcnt lgkmcnt(1)
	v_add_f64 v[6:7], v[0:1], v[12:13]
	ds_read_b128 v[0:3], v43 offset:64
	v_add_f64 v[4:5], v[4:5], v[14:15]
	s_waitcnt lgkmcnt(1)
	v_add_f64 v[8:9], v[6:7], v[16:17]
	v_add_f64 v[12:13], v[4:5], v[18:19]
	ds_read_b128 v[4:7], v43 offset:80
	s_waitcnt lgkmcnt(1)
	v_add_f64 v[14:15], v[8:9], v[0:1]
	ds_read_b128 v[8:11], v43 offset:96
	v_add_f64 v[12:13], v[12:13], v[2:3]
	ds_read_b128 v[0:3], v43 offset:112
	s_waitcnt lgkmcnt(2)
	v_add_f64 v[4:5], v[14:15], v[4:5]
	v_add_f64 v[6:7], v[12:13], v[6:7]
	s_waitcnt lgkmcnt(1)
	v_add_f64 v[4:5], v[4:5], v[8:9]
	v_add_f64 v[6:7], v[6:7], v[10:11]
	;; [unrolled: 3-line block ×3, first 2 shown]
.LBB50_130:
	s_or_b64 exec, exec, s[4:5]
	s_mul_hi_u32 s0, s34, s20
	s_mul_i32 s35, s35, s20
	s_add_i32 s0, s0, s35
	s_mul_i32 s4, s34, s20
	s_mul_i32 s0, s0, s3
	s_mul_hi_u32 s1, s4, s3
	s_add_i32 s1, s1, s0
	s_mul_i32 s0, s4, s3
	s_lshl_b64 s[0:1], s[0:1], 4
	s_add_u32 s4, s22, s0
	s_addc_u32 s5, s23, s1
	s_mul_hi_i32 s1, s34, s2
	s_mul_i32 s0, s34, s2
	s_lshl_b64 s[0:1], s[0:1], 4
	s_add_u32 s6, s4, s0
	s_addc_u32 s7, s5, s1
	s_add_i32 s8, s2, 1
	s_cmp_ge_u32 s8, s3
	v_lshlrev_b32_e32 v169, 4, v168
	s_barrier
	s_cbranch_scc1 .LBB50_188
; %bb.131:
	s_mul_i32 s0, s24, s21
	v_and_b32_e32 v8, 48, v168
	s_ashr_i32 s1, s0, 31
	v_and_b32_e32 v6, 15, v168
	v_lshlrev_b32_e32 v9, 4, v8
	s_movk_i32 s9, 0x430
	s_lshl_b64 s[0:1], s[0:1], 4
	v_lshrrev_b32_e32 v7, 4, v42
	v_mad_u32_u24 v219, v6, s9, v9
	v_or_b32_e32 v9, 0xf0, v169
	v_lshlrev_b32_e32 v216, 2, v167
	v_mov_b32_e32 v4, s1
	v_subrev_co_u32_e32 v170, vcc, s0, v38
	s_lshl_b32 s30, s21, 6
	s_lshl_b32 s4, s26, 4
	v_mad_u32_u24 v220, v6, s9, v9
	v_lshlrev_b32_e32 v9, 6, v7
	s_ashr_i32 s27, s26, 31
	s_lshl_b32 s22, s26, 1
	v_mul_i32_i24_e32 v12, 0xffffffd0, v7
	s_mul_i32 s34, s26, 3
	s_mul_i32 s21, s21, s8
	v_add_u32_e32 v7, s24, v8
	v_subb_co_u32_e32 v171, vcc, v39, v4, vcc
	v_mad_u64_u32 v[4:5], s[0:1], v216, s26, v[168:169]
	s_add_i32 s17, s3, -2
	s_ashr_i32 s5, s4, 31
	v_mad_u32_u24 v221, v6, s9, v9
	s_ashr_i32 s23, s22, 31
	s_ashr_i32 s35, s34, 31
	s_lshl_b64 s[14:15], s[26:27], 4
	s_lshl_b32 s8, s21, 6
	v_add3_u32 v172, v7, v6, 64
	v_lshlrev_b64 v[6:7], 4, v[36:37]
	s_lshl_b64 s[24:25], s[26:27], 5
	s_lshl_b64 s[36:37], s[28:29], 4
	v_ashrrev_i32_e32 v5, 31, v4
	v_sub_co_u32_e32 v174, vcc, 0, v6
	s_add_u32 s20, s24, s36
	v_mov_b32_e32 v9, 0x4300
	v_subb_co_u32_e32 v175, vcc, 0, v7, vcc
	s_addc_u32 s21, s25, s37
	v_lshlrev_b64 v[6:7], 4, v[4:5]
	v_lshl_add_u64 v[4:5], s[28:29], 0, v[4:5]
	v_lshl_add_u32 v225, v167, 6, v9
	s_movk_i32 s9, 0x10c0
	v_lshl_add_u64 v[8:9], s[20:21], 0, v[6:7]
	v_lshlrev_b64 v[4:5], 4, v[4:5]
	v_mad_u32_u24 v226, v167, s9, v169
	v_lshl_add_u64 v[176:177], v[40:41], 0, v[8:9]
	s_mul_i32 s9, s26, 0x300
	v_mad_i64_i32 v[8:9], s[26:27], s4, 48, v[4:5]
	s_lshl_b64 s[10:11], s[4:5], 6
	s_lshl_b64 s[26:27], s[34:35], 4
	s_add_u32 s28, s14, s36
	v_lshl_add_u64 v[10:11], v[8:9], 0, s[26:27]
	s_addc_u32 s29, s15, s37
	v_lshl_add_u64 v[178:179], v[40:41], 0, v[10:11]
	v_lshl_add_u64 v[10:11], s[28:29], 0, v[6:7]
	s_lshl_b64 s[22:23], s[22:23], 4
	v_lshl_add_u64 v[180:181], v[40:41], 0, v[10:11]
	v_lshl_add_u64 v[10:11], v[8:9], 0, s[22:23]
	s_add_u32 s34, s36, s22
	v_lshl_add_u64 v[182:183], v[40:41], 0, v[10:11]
	v_lshl_add_u64 v[10:11], s[36:37], 0, v[6:7]
	s_addc_u32 s35, s37, s23
	v_lshl_add_u64 v[184:185], v[40:41], 0, v[10:11]
	v_lshl_add_u64 v[10:11], s[34:35], 0, v[6:7]
	s_add_u32 s34, s36, s26
	v_lshl_add_u64 v[186:187], v[40:41], 0, v[8:9]
	v_lshl_add_u64 v[8:9], v[8:9], 0, s[14:15]
	s_addc_u32 s35, s37, s27
	v_lshl_add_u64 v[190:191], v[40:41], 0, v[8:9]
	v_lshl_add_u64 v[8:9], s[34:35], 0, v[6:7]
	s_lshl_b64 s[34:35], s[4:5], 4
	s_add_u32 s38, s20, s34
	s_addc_u32 s39, s21, s35
	s_mul_hi_i32 s31, s4, 48
	s_add_u32 s24, s9, s24
	s_addc_u32 s25, s31, s25
	s_lshl_b64 s[4:5], s[4:5], 5
	v_lshl_add_u64 v[4:5], s[24:25], 0, v[4:5]
	s_add_u32 s24, s4, s36
	s_addc_u32 s25, s5, s37
	v_lshl_add_u64 v[192:193], v[40:41], 0, v[8:9]
	v_lshl_add_u64 v[8:9], s[38:39], 0, v[6:7]
	s_add_u32 s38, s24, s26
	s_addc_u32 s39, s25, s27
	s_add_u32 s28, s28, s34
	v_lshl_add_u64 v[196:197], v[40:41], 0, v[4:5]
	v_lshl_add_u64 v[4:5], s[38:39], 0, v[6:7]
	s_addc_u32 s29, s29, s35
	v_lshl_add_u64 v[198:199], v[40:41], 0, v[4:5]
	v_lshl_add_u64 v[4:5], s[28:29], 0, v[6:7]
	s_add_u32 s28, s24, s22
	s_addc_u32 s29, s25, s23
	v_lshl_add_u64 v[200:201], v[40:41], 0, v[4:5]
	v_lshl_add_u64 v[4:5], s[28:29], 0, v[6:7]
	s_add_u32 s28, s36, s34
	s_addc_u32 s29, s37, s35
	s_add_u32 s22, s28, s22
	v_lshl_add_u64 v[202:203], v[40:41], 0, v[4:5]
	v_lshl_add_u64 v[4:5], s[28:29], 0, v[6:7]
	s_addc_u32 s23, s29, s23
	v_lshl_add_u64 v[204:205], v[40:41], 0, v[4:5]
	v_lshl_add_u64 v[4:5], s[24:25], 0, v[6:7]
	s_add_u32 s14, s24, s14
	v_lshl_add_u64 v[206:207], v[40:41], 0, v[4:5]
	v_lshl_add_u64 v[4:5], s[22:23], 0, v[6:7]
	s_addc_u32 s15, s25, s15
	v_lshl_add_u64 v[208:209], v[40:41], 0, v[4:5]
	v_lshl_add_u64 v[4:5], s[14:15], 0, v[6:7]
	s_add_u32 s14, s28, s26
	s_addc_u32 s15, s29, s27
	s_add_u32 s4, s20, s4
	v_lshl_add_u64 v[210:211], v[40:41], 0, v[4:5]
	v_lshl_add_u64 v[4:5], s[14:15], 0, v[6:7]
	s_addc_u32 s5, s21, s5
	v_lshl_add_u64 v[212:213], v[40:41], 0, v[4:5]
	v_lshl_add_u64 v[4:5], s[4:5], 0, v[6:7]
	v_add_u32_e32 v217, 0x4300, v169
	v_add_u32_e32 v218, 0x4700, v169
	v_cmp_gt_u32_e64 s[0:1], 64, v42
	v_or_b32_e32 v222, 1, v216
	v_or_b32_e32 v223, 2, v216
	;; [unrolled: 1-line block ×3, first 2 shown]
	v_add_u32_e32 v227, 16, v216
	v_add_u32_e32 v228, 17, v216
	;; [unrolled: 1-line block ×12, first 2 shown]
	v_lshl_add_u64 v[188:189], v[40:41], 0, v[10:11]
	v_lshl_add_u64 v[194:195], v[40:41], 0, v[8:9]
	;; [unrolled: 1-line block ×3, first 2 shown]
	v_add_u32_e32 v239, v221, v12
	v_mov_b32_e32 v4, 0
	s_cmp_eq_u32 s17, s2
	s_cselect_b32 s26, s33, 0
	s_and_saveexec_b64 s[4:5], s[12:13]
	s_cbranch_execz .LBB50_136
.LBB50_132:
	s_cmp_lg_u32 s26, 0
	s_cselect_b64 s[14:15], -1, 0
	v_cmp_le_i32_e32 vcc, s26, v168
	s_and_b64 s[14:15], s[14:15], vcc
	s_and_saveexec_b64 s[20:21], s[14:15]
	s_xor_b64 s[14:15], exec, s[20:21]
	s_cbranch_execz .LBB50_134
; %bb.133:
	v_mov_b32_e32 v5, v4
	v_mov_b32_e32 v6, v4
	;; [unrolled: 1-line block ×3, first 2 shown]
	ds_write_b128 v217, v[4:7]
.LBB50_134:
	s_andn2_saveexec_b64 s[14:15], s[14:15]
	s_cbranch_execz .LBB50_136
; %bb.135:
	s_ashr_i32 s9, s8, 31
	v_lshl_add_u64 v[6:7], s[8:9], 4, v[170:171]
	flat_load_dwordx4 v[6:9], v[6:7]
	s_waitcnt vmcnt(0) lgkmcnt(0)
	ds_write2_b64 v217, v[6:7], v[8:9] offset1:1
.LBB50_136:                             ; =>This Inner Loop Header: Depth=1
	s_or_b64 exec, exec, s[4:5]
	s_cmp_eq_u32 s26, 0
	s_cselect_b64 s[14:15], -1, 0
	s_cmp_lg_u32 s26, 0
	s_cselect_b64 s[20:21], -1, 0
	v_lshl_add_u64 v[18:19], v[184:185], 0, v[174:175]
	s_and_b64 vcc, exec, s[20:21]
	s_waitcnt lgkmcnt(0)
	s_barrier
	s_cbranch_vccz .LBB50_144
; %bb.137:                              ;   in Loop: Header=BB50_136 Depth=1
	v_mov_b64_e32 v[10:11], 0
	v_cmp_gt_i32_e32 vcc, s26, v216
	v_mov_b64_e32 v[6:7], v[10:11]
	v_mov_b64_e32 v[8:9], v[10:11]
	s_and_saveexec_b64 s[4:5], vcc
	s_cbranch_execz .LBB50_139
; %bb.138:                              ;   in Loop: Header=BB50_136 Depth=1
	flat_load_dwordx4 v[6:9], v[18:19]
.LBB50_139:                             ;   in Loop: Header=BB50_136 Depth=1
	s_or_b64 exec, exec, s[4:5]
	v_cmp_gt_i32_e32 vcc, s26, v222
	v_mov_b64_e32 v[12:13], v[10:11]
	s_and_saveexec_b64 s[4:5], vcc
	s_cbranch_execz .LBB50_141
; %bb.140:                              ;   in Loop: Header=BB50_136 Depth=1
	v_lshl_add_u64 v[10:11], v[180:181], 0, v[174:175]
	flat_load_dwordx4 v[10:13], v[10:11]
.LBB50_141:                             ;   in Loop: Header=BB50_136 Depth=1
	s_or_b64 exec, exec, s[4:5]
	v_mov_b64_e32 v[14:15], 0
	v_cmp_gt_i32_e32 vcc, s26, v223
	s_mov_b64 s[24:25], 0
	v_mov_b64_e32 v[16:17], v[14:15]
	s_and_saveexec_b64 s[4:5], vcc
	s_cbranch_execz .LBB50_143
; %bb.142:                              ;   in Loop: Header=BB50_136 Depth=1
	v_lshl_add_u64 v[14:15], v[188:189], 0, v[174:175]
	flat_load_dwordx4 v[14:17], v[14:15]
.LBB50_143:                             ;   in Loop: Header=BB50_136 Depth=1
	s_or_b64 exec, exec, s[4:5]
	v_cmp_gt_i32_e64 s[4:5], s26, v224
	s_mov_b64 s[22:23], 0
	s_and_b64 vcc, exec, s[24:25]
	s_cbranch_vccnz .LBB50_145
	s_branch .LBB50_146
.LBB50_144:                             ;   in Loop: Header=BB50_136 Depth=1
	s_mov_b64 s[4:5], 0
                                        ; implicit-def: $sgpr22_sgpr23
                                        ; implicit-def: $vgpr16_vgpr17
                                        ; implicit-def: $vgpr12_vgpr13
                                        ; implicit-def: $vgpr8_vgpr9
	s_cbranch_execz .LBB50_146
.LBB50_145:                             ;   in Loop: Header=BB50_136 Depth=1
	s_waitcnt vmcnt(0) lgkmcnt(0)
	v_lshl_add_u64 v[10:11], v[180:181], 0, v[174:175]
	v_lshl_add_u64 v[14:15], v[176:177], 0, v[174:175]
	flat_load_dwordx4 v[6:9], v[18:19]
	s_or_b64 s[4:5], s[4:5], exec
	flat_load_dwordx4 v[10:13], v[10:11]
                                        ; implicit-def: $sgpr22_sgpr23
	s_nop 0
	flat_load_dwordx4 v[14:17], v[14:15]
.LBB50_146:                             ;   in Loop: Header=BB50_136 Depth=1
	v_mov_b64_e32 v[18:19], s[22:23]
	v_mov_b64_e32 v[20:21], s[22:23]
	s_and_saveexec_b64 s[22:23], s[4:5]
	s_cbranch_execz .LBB50_148
; %bb.147:                              ;   in Loop: Header=BB50_136 Depth=1
	v_lshl_add_u64 v[18:19], v[192:193], 0, v[174:175]
	flat_load_dwordx4 v[18:21], v[18:19]
.LBB50_148:                             ;   in Loop: Header=BB50_136 Depth=1
	s_or_b64 exec, exec, s[22:23]
	ds_read_b128 v[34:37], v218
	ds_read_b128 v[22:25], v225
	v_cndmask_b32_e64 v5, 0, 1, s[20:21]
	v_cmp_ne_u32_e64 s[4:5], 1, v5
	s_andn2_b64 vcc, exec, s[20:21]
	s_waitcnt vmcnt(0) lgkmcnt(0)
	v_mul_f64 v[26:27], v[8:9], v[36:37]
	v_mul_f64 v[28:29], v[8:9], v[34:35]
	;; [unrolled: 1-line block ×3, first 2 shown]
	v_fmac_f64_e32 v[26:27], v[6:7], v[34:35]
	v_fma_f64 v[28:29], v[6:7], v[36:37], -v[28:29]
	v_mul_f64 v[32:33], v[12:13], v[34:35]
	ds_write_b128 v226, v[26:29]
	v_fmac_f64_e32 v[30:31], v[10:11], v[34:35]
	v_fma_f64 v[32:33], v[10:11], v[36:37], -v[32:33]
	v_mul_f64 v[38:39], v[16:17], v[36:37]
	v_mul_f64 v[40:41], v[16:17], v[34:35]
	;; [unrolled: 1-line block ×3, first 2 shown]
	ds_read_b128 v[26:29], v225 offset:16
	ds_write_b128 v226, v[30:33] offset:1072
	v_fmac_f64_e32 v[38:39], v[14:15], v[34:35]
	v_fma_f64 v[40:41], v[14:15], v[36:37], -v[40:41]
	v_fmac_f64_e32 v[42:43], v[18:19], v[34:35]
	v_mul_f64 v[34:35], v[20:21], v[34:35]
	ds_read_b128 v[30:33], v225 offset:32
	ds_write_b128 v226, v[38:41] offset:2144
	v_fma_f64 v[44:45], v[18:19], v[36:37], -v[34:35]
	ds_read_b128 v[38:41], v225 offset:48
	ds_write_b128 v226, v[42:45] offset:3216
	s_waitcnt lgkmcnt(0)
	s_barrier
	ds_read_b128 v[98:101], v221
	ds_read_b128 v[94:97], v221 offset:16
	ds_read_b128 v[86:89], v221 offset:32
	;; [unrolled: 1-line block ×3, first 2 shown]
	v_lshl_add_u64 v[50:51], v[204:205], 0, v[174:175]
	s_waitcnt lgkmcnt(0)
	s_barrier
	s_cbranch_vccnz .LBB50_156
; %bb.149:                              ;   in Loop: Header=BB50_136 Depth=1
	v_mov_b64_e32 v[42:43], 0
	v_cmp_gt_i32_e32 vcc, s26, v227
	v_mov_b64_e32 v[34:35], v[42:43]
	v_mov_b64_e32 v[36:37], v[42:43]
	s_and_saveexec_b64 s[20:21], vcc
	s_cbranch_execz .LBB50_151
; %bb.150:                              ;   in Loop: Header=BB50_136 Depth=1
	flat_load_dwordx4 v[34:37], v[50:51]
.LBB50_151:                             ;   in Loop: Header=BB50_136 Depth=1
	s_or_b64 exec, exec, s[20:21]
	v_cmp_gt_i32_e32 vcc, s26, v228
	v_mov_b64_e32 v[44:45], v[42:43]
	s_and_saveexec_b64 s[20:21], vcc
	s_cbranch_execz .LBB50_153
; %bb.152:                              ;   in Loop: Header=BB50_136 Depth=1
	v_lshl_add_u64 v[42:43], v[200:201], 0, v[174:175]
	flat_load_dwordx4 v[42:45], v[42:43]
.LBB50_153:                             ;   in Loop: Header=BB50_136 Depth=1
	s_or_b64 exec, exec, s[20:21]
	v_mov_b64_e32 v[46:47], 0
	v_cmp_gt_i32_e32 vcc, s26, v229
	s_mov_b64 s[24:25], 0
	v_mov_b64_e32 v[48:49], v[46:47]
	s_and_saveexec_b64 s[20:21], vcc
	s_cbranch_execz .LBB50_155
; %bb.154:                              ;   in Loop: Header=BB50_136 Depth=1
	v_lshl_add_u64 v[46:47], v[208:209], 0, v[174:175]
	flat_load_dwordx4 v[46:49], v[46:47]
.LBB50_155:                             ;   in Loop: Header=BB50_136 Depth=1
	s_or_b64 exec, exec, s[20:21]
	v_cmp_gt_i32_e64 s[20:21], s26, v230
	s_mov_b64 s[22:23], 0
	s_and_b64 vcc, exec, s[24:25]
	s_cbranch_vccnz .LBB50_157
	s_branch .LBB50_158
.LBB50_156:                             ;   in Loop: Header=BB50_136 Depth=1
	s_mov_b64 s[20:21], 0
                                        ; implicit-def: $sgpr22_sgpr23
                                        ; implicit-def: $vgpr48_vgpr49
                                        ; implicit-def: $vgpr44_vgpr45
                                        ; implicit-def: $vgpr36_vgpr37
	s_cbranch_execz .LBB50_158
.LBB50_157:                             ;   in Loop: Header=BB50_136 Depth=1
	s_waitcnt vmcnt(0) lgkmcnt(0)
	v_lshl_add_u64 v[42:43], v[200:201], 0, v[174:175]
	v_lshl_add_u64 v[46:47], v[194:195], 0, v[174:175]
	flat_load_dwordx4 v[34:37], v[50:51]
	s_or_b64 s[20:21], s[20:21], exec
	flat_load_dwordx4 v[42:45], v[42:43]
                                        ; implicit-def: $sgpr22_sgpr23
	s_nop 0
	flat_load_dwordx4 v[46:49], v[46:47]
.LBB50_158:                             ;   in Loop: Header=BB50_136 Depth=1
	v_mov_b64_e32 v[50:51], s[22:23]
	v_mov_b64_e32 v[52:53], s[22:23]
	s_and_saveexec_b64 s[22:23], s[20:21]
	s_cbranch_execz .LBB50_160
; %bb.159:                              ;   in Loop: Header=BB50_136 Depth=1
	v_lshl_add_u64 v[50:51], v[212:213], 0, v[174:175]
	flat_load_dwordx4 v[50:53], v[50:51]
.LBB50_160:                             ;   in Loop: Header=BB50_136 Depth=1
	s_or_b64 exec, exec, s[22:23]
	ds_read_b128 v[66:69], v218
	ds_read_b128 v[54:57], v225 offset:256
	s_and_b64 vcc, exec, s[4:5]
	v_lshl_add_u64 v[90:91], v[206:207], 0, v[174:175]
	s_waitcnt vmcnt(0) lgkmcnt(0)
	v_mul_f64 v[58:59], v[36:37], v[68:69]
	v_mul_f64 v[60:61], v[36:37], v[66:67]
	;; [unrolled: 1-line block ×3, first 2 shown]
	v_fmac_f64_e32 v[58:59], v[34:35], v[66:67]
	v_fma_f64 v[60:61], v[34:35], v[68:69], -v[60:61]
	v_mul_f64 v[64:65], v[44:45], v[66:67]
	ds_write_b128 v226, v[58:61]
	v_fmac_f64_e32 v[62:63], v[42:43], v[66:67]
	v_fma_f64 v[64:65], v[42:43], v[68:69], -v[64:65]
	v_mul_f64 v[70:71], v[48:49], v[68:69]
	v_mul_f64 v[72:73], v[48:49], v[66:67]
	ds_read_b128 v[58:61], v225 offset:272
	ds_write_b128 v226, v[62:65] offset:1072
	v_fmac_f64_e32 v[70:71], v[46:47], v[66:67]
	v_fma_f64 v[72:73], v[46:47], v[68:69], -v[72:73]
	ds_read_b128 v[62:65], v225 offset:288
	ds_write_b128 v226, v[70:73] offset:2144
	v_mul_f64 v[70:71], v[52:53], v[68:69]
	v_fmac_f64_e32 v[70:71], v[50:51], v[66:67]
	v_mul_f64 v[66:67], v[52:53], v[66:67]
	v_fma_f64 v[72:73], v[50:51], v[68:69], -v[66:67]
	ds_read_b128 v[74:77], v225 offset:304
	ds_write_b128 v226, v[70:73] offset:3216
	s_waitcnt lgkmcnt(0)
	s_barrier
	ds_read_b128 v[146:149], v221
	ds_read_b128 v[142:145], v221 offset:16
	ds_read_b128 v[138:141], v221 offset:32
	;; [unrolled: 1-line block ×3, first 2 shown]
	s_waitcnt lgkmcnt(0)
	s_barrier
	s_cbranch_vccnz .LBB50_168
; %bb.161:                              ;   in Loop: Header=BB50_136 Depth=1
	v_mov_b64_e32 v[70:71], 0
	v_cmp_gt_i32_e32 vcc, s26, v231
	v_mov_b64_e32 v[66:67], v[70:71]
	v_mov_b64_e32 v[68:69], v[70:71]
	s_and_saveexec_b64 s[20:21], vcc
	s_cbranch_execz .LBB50_163
; %bb.162:                              ;   in Loop: Header=BB50_136 Depth=1
	flat_load_dwordx4 v[66:69], v[90:91]
.LBB50_163:                             ;   in Loop: Header=BB50_136 Depth=1
	s_or_b64 exec, exec, s[20:21]
	v_cmp_gt_i32_e32 vcc, s26, v232
	v_mov_b64_e32 v[72:73], v[70:71]
	s_and_saveexec_b64 s[20:21], vcc
	s_cbranch_execz .LBB50_165
; %bb.164:                              ;   in Loop: Header=BB50_136 Depth=1
	v_lshl_add_u64 v[70:71], v[210:211], 0, v[174:175]
	flat_load_dwordx4 v[70:73], v[70:71]
.LBB50_165:                             ;   in Loop: Header=BB50_136 Depth=1
	s_or_b64 exec, exec, s[20:21]
	v_mov_b64_e32 v[78:79], 0
	v_cmp_gt_i32_e32 vcc, s26, v233
	s_mov_b64 s[24:25], 0
	v_mov_b64_e32 v[80:81], v[78:79]
	s_and_saveexec_b64 s[20:21], vcc
	s_cbranch_execz .LBB50_167
; %bb.166:                              ;   in Loop: Header=BB50_136 Depth=1
	v_lshl_add_u64 v[78:79], v[202:203], 0, v[174:175]
	flat_load_dwordx4 v[78:81], v[78:79]
.LBB50_167:                             ;   in Loop: Header=BB50_136 Depth=1
	s_or_b64 exec, exec, s[20:21]
	v_cmp_gt_i32_e64 s[20:21], s26, v234
	s_mov_b64 s[22:23], 0
	s_and_b64 vcc, exec, s[24:25]
	s_cbranch_vccnz .LBB50_169
	s_branch .LBB50_170
.LBB50_168:                             ;   in Loop: Header=BB50_136 Depth=1
	s_mov_b64 s[20:21], 0
                                        ; implicit-def: $sgpr22_sgpr23
                                        ; implicit-def: $vgpr80_vgpr81
                                        ; implicit-def: $vgpr72_vgpr73
                                        ; implicit-def: $vgpr68_vgpr69
	s_cbranch_execz .LBB50_170
.LBB50_169:                             ;   in Loop: Header=BB50_136 Depth=1
	s_waitcnt vmcnt(0) lgkmcnt(0)
	v_lshl_add_u64 v[70:71], v[210:211], 0, v[174:175]
	v_lshl_add_u64 v[78:79], v[214:215], 0, v[174:175]
	flat_load_dwordx4 v[66:69], v[90:91]
	s_or_b64 s[20:21], s[20:21], exec
	flat_load_dwordx4 v[70:73], v[70:71]
                                        ; implicit-def: $sgpr22_sgpr23
	s_nop 0
	flat_load_dwordx4 v[78:81], v[78:79]
.LBB50_170:                             ;   in Loop: Header=BB50_136 Depth=1
	v_mov_b64_e32 v[90:91], s[22:23]
	v_mov_b64_e32 v[92:93], s[22:23]
	s_and_saveexec_b64 s[22:23], s[20:21]
	s_cbranch_execz .LBB50_172
; %bb.171:                              ;   in Loop: Header=BB50_136 Depth=1
	v_lshl_add_u64 v[90:91], v[198:199], 0, v[174:175]
	flat_load_dwordx4 v[90:93], v[90:91]
.LBB50_172:                             ;   in Loop: Header=BB50_136 Depth=1
	s_or_b64 exec, exec, s[22:23]
	ds_read_b128 v[114:117], v218
	ds_read_b128 v[102:105], v225 offset:512
	s_and_b64 vcc, exec, s[4:5]
	v_lshl_add_u64 v[130:131], v[186:187], 0, v[174:175]
	s_waitcnt vmcnt(0) lgkmcnt(0)
	v_mul_f64 v[106:107], v[68:69], v[116:117]
	v_mul_f64 v[108:109], v[68:69], v[114:115]
	;; [unrolled: 1-line block ×3, first 2 shown]
	v_fmac_f64_e32 v[106:107], v[66:67], v[114:115]
	v_fma_f64 v[108:109], v[66:67], v[116:117], -v[108:109]
	v_mul_f64 v[112:113], v[72:73], v[114:115]
	ds_write_b128 v226, v[106:109]
	v_fmac_f64_e32 v[110:111], v[70:71], v[114:115]
	v_fma_f64 v[112:113], v[70:71], v[116:117], -v[112:113]
	v_mul_f64 v[118:119], v[80:81], v[116:117]
	v_mul_f64 v[120:121], v[80:81], v[114:115]
	;; [unrolled: 1-line block ×3, first 2 shown]
	ds_read_b128 v[106:109], v225 offset:528
	ds_write_b128 v226, v[110:113] offset:1072
	v_fmac_f64_e32 v[118:119], v[78:79], v[114:115]
	v_fma_f64 v[120:121], v[78:79], v[116:117], -v[120:121]
	v_fmac_f64_e32 v[122:123], v[90:91], v[114:115]
	v_mul_f64 v[114:115], v[92:93], v[114:115]
	ds_read_b128 v[110:113], v225 offset:544
	ds_write_b128 v226, v[118:121] offset:2144
	v_fma_f64 v[124:125], v[90:91], v[116:117], -v[114:115]
	ds_read_b128 v[118:121], v225 offset:560
	ds_write_b128 v226, v[122:125] offset:3216
	s_waitcnt lgkmcnt(0)
	s_barrier
	ds_read_b128 v[162:165], v221
	ds_read_b128 v[158:161], v221 offset:16
	ds_read_b128 v[154:157], v221 offset:32
	;; [unrolled: 1-line block ×3, first 2 shown]
	s_waitcnt lgkmcnt(0)
	s_barrier
	s_cbranch_vccnz .LBB50_180
; %bb.173:                              ;   in Loop: Header=BB50_136 Depth=1
	v_mov_b64_e32 v[122:123], 0
	v_cmp_gt_i32_e32 vcc, s26, v235
	v_mov_b64_e32 v[114:115], v[122:123]
	v_mov_b64_e32 v[116:117], v[122:123]
	s_and_saveexec_b64 s[4:5], vcc
	s_cbranch_execz .LBB50_175
; %bb.174:                              ;   in Loop: Header=BB50_136 Depth=1
	flat_load_dwordx4 v[114:117], v[130:131]
.LBB50_175:                             ;   in Loop: Header=BB50_136 Depth=1
	s_or_b64 exec, exec, s[4:5]
	v_cmp_gt_i32_e32 vcc, s26, v236
	v_mov_b64_e32 v[124:125], v[122:123]
	s_and_saveexec_b64 s[4:5], vcc
	s_cbranch_execz .LBB50_177
; %bb.176:                              ;   in Loop: Header=BB50_136 Depth=1
	v_lshl_add_u64 v[122:123], v[190:191], 0, v[174:175]
	flat_load_dwordx4 v[122:125], v[122:123]
.LBB50_177:                             ;   in Loop: Header=BB50_136 Depth=1
	s_or_b64 exec, exec, s[4:5]
	v_mov_b64_e32 v[126:127], 0
	v_cmp_gt_i32_e32 vcc, s26, v237
	s_mov_b64 s[22:23], 0
	v_mov_b64_e32 v[128:129], v[126:127]
	s_and_saveexec_b64 s[4:5], vcc
	s_cbranch_execz .LBB50_179
; %bb.178:                              ;   in Loop: Header=BB50_136 Depth=1
	v_lshl_add_u64 v[126:127], v[182:183], 0, v[174:175]
	flat_load_dwordx4 v[126:129], v[126:127]
.LBB50_179:                             ;   in Loop: Header=BB50_136 Depth=1
	s_or_b64 exec, exec, s[4:5]
	v_cmp_gt_i32_e64 s[4:5], s26, v238
	s_mov_b64 s[20:21], 0
	s_and_b64 vcc, exec, s[22:23]
	s_cbranch_vccnz .LBB50_181
	s_branch .LBB50_182
.LBB50_180:                             ;   in Loop: Header=BB50_136 Depth=1
	s_mov_b64 s[4:5], 0
                                        ; implicit-def: $sgpr20_sgpr21
                                        ; implicit-def: $vgpr128_vgpr129
                                        ; implicit-def: $vgpr124_vgpr125
                                        ; implicit-def: $vgpr116_vgpr117
	s_cbranch_execz .LBB50_182
.LBB50_181:                             ;   in Loop: Header=BB50_136 Depth=1
	s_waitcnt vmcnt(0) lgkmcnt(0)
	v_lshl_add_u64 v[122:123], v[190:191], 0, v[174:175]
	v_lshl_add_u64 v[126:127], v[196:197], 0, v[174:175]
	flat_load_dwordx4 v[114:117], v[130:131]
	s_or_b64 s[4:5], s[4:5], exec
	flat_load_dwordx4 v[122:125], v[122:123]
                                        ; implicit-def: $sgpr20_sgpr21
	s_nop 0
	flat_load_dwordx4 v[126:129], v[126:127]
.LBB50_182:                             ;   in Loop: Header=BB50_136 Depth=1
	v_mov_b64_e32 v[130:131], s[20:21]
	v_mov_b64_e32 v[132:133], s[20:21]
	s_and_saveexec_b64 s[20:21], s[4:5]
	s_cbranch_execz .LBB50_184
; %bb.183:                              ;   in Loop: Header=BB50_136 Depth=1
	v_lshl_add_u64 v[130:131], v[178:179], 0, v[174:175]
	flat_load_dwordx4 v[130:133], v[130:131]
.LBB50_184:                             ;   in Loop: Header=BB50_136 Depth=1
	s_or_b64 exec, exec, s[20:21]
	v_add_f64 v[146:147], v[146:147], 0
	v_add_f64 v[148:149], v[148:149], 0
	;; [unrolled: 1-line block ×6, first 2 shown]
	ds_read_b128 v[142:145], v218
	v_add_f64 v[162:163], v[162:163], 0
	v_add_f64 v[98:99], v[98:99], 0
	;; [unrolled: 1-line block ×11, first 2 shown]
	ds_read_b128 v[86:89], v225 offset:768
	s_waitcnt vmcnt(0) lgkmcnt(0)
	v_mul_f64 v[94:95], v[116:117], v[144:145]
	v_mul_f64 v[96:97], v[116:117], v[142:143]
	v_fmac_f64_e32 v[94:95], v[114:115], v[142:143]
	v_fma_f64 v[96:97], v[114:115], v[144:145], -v[96:97]
	v_mul_f64 v[98:99], v[124:125], v[144:145]
	v_mul_f64 v[100:101], v[124:125], v[142:143]
	v_add_f64 v[138:139], v[138:139], v[134:135]
	v_add_f64 v[140:141], v[140:141], v[136:137]
	ds_write_b128 v226, v[94:97]
	v_fmac_f64_e32 v[98:99], v[122:123], v[142:143]
	v_fma_f64 v[100:101], v[122:123], v[144:145], -v[100:101]
	v_mul_f64 v[134:135], v[128:129], v[144:145]
	v_mul_f64 v[136:137], v[128:129], v[142:143]
	;; [unrolled: 1-line block ×3, first 2 shown]
	ds_read_b128 v[94:97], v225 offset:784
	ds_write_b128 v226, v[98:101] offset:1072
	v_fmac_f64_e32 v[134:135], v[126:127], v[142:143]
	v_fma_f64 v[136:137], v[126:127], v[144:145], -v[136:137]
	v_fmac_f64_e32 v[146:147], v[130:131], v[142:143]
	v_mul_f64 v[142:143], v[132:133], v[142:143]
	ds_read_b128 v[98:101], v225 offset:800
	ds_write_b128 v226, v[134:137] offset:2144
	v_fma_f64 v[148:149], v[130:131], v[144:145], -v[142:143]
	v_add_f64 v[164:165], v[164:165], 0
	ds_read_b128 v[134:137], v225 offset:816
	ds_write_b128 v226, v[146:149] offset:3216
	s_waitcnt lgkmcnt(0)
	s_barrier
	ds_read_b128 v[142:145], v221
	v_add_f64 v[160:161], v[164:165], v[160:161]
	v_add_f64 v[156:157], v[160:161], v[156:157]
	;; [unrolled: 1-line block ×4, first 2 shown]
	ds_read_b128 v[146:149], v221 offset:16
	ds_read_b128 v[154:157], v221 offset:32
	;; [unrolled: 1-line block ×3, first 2 shown]
	s_waitcnt lgkmcnt(3)
	v_add_f64 v[142:143], v[142:143], 0
	v_add_f64 v[144:145], v[144:145], 0
	v_cmp_gt_i32_e32 vcc, s26, v168
	s_waitcnt lgkmcnt(2)
	v_add_f64 v[142:143], v[142:143], v[146:147]
	v_add_f64 v[144:145], v[144:145], v[148:149]
	s_or_b64 s[4:5], s[14:15], vcc
	s_waitcnt lgkmcnt(1)
	v_add_f64 v[142:143], v[142:143], v[154:155]
	v_add_f64 v[144:145], v[144:145], v[156:157]
	s_and_b64 s[14:15], s[0:1], s[4:5]
	s_waitcnt lgkmcnt(0)
	v_add_f64 v[142:143], v[142:143], v[158:159]
	v_add_f64 v[144:145], v[144:145], v[160:161]
	s_barrier
	ds_write_b128 v239, v[82:85]
	ds_write_b128 v239, v[138:141] offset:256
	ds_write_b128 v239, v[150:153] offset:512
	;; [unrolled: 1-line block ×3, first 2 shown]
	s_waitcnt lgkmcnt(0)
	s_barrier
	s_and_saveexec_b64 s[4:5], s[14:15]
	s_cbranch_execz .LBB50_186
; %bb.185:                              ;   in Loop: Header=BB50_136 Depth=1
	ds_read_b128 v[82:85], v219
	ds_read_b128 v[138:141], v219 offset:16
	ds_read_b128 v[142:145], v219 offset:32
	;; [unrolled: 1-line block ×3, first 2 shown]
	v_ashrrev_i32_e32 v173, 31, v172
	s_waitcnt lgkmcnt(2)
	v_add_f64 v[82:83], v[138:139], v[82:83]
	v_add_f64 v[138:139], v[140:141], v[84:85]
	s_waitcnt lgkmcnt(1)
	v_add_f64 v[140:141], v[82:83], v[142:143]
	ds_read_b128 v[82:85], v219 offset:64
	v_add_f64 v[142:143], v[138:139], v[144:145]
	s_waitcnt lgkmcnt(1)
	v_add_f64 v[144:145], v[140:141], v[146:147]
	ds_read_b128 v[138:141], v219 offset:80
	;; [unrolled: 4-line block ×9, first 2 shown]
	v_add_f64 v[84:85], v[146:147], v[84:85]
	s_waitcnt lgkmcnt(1)
	v_add_f64 v[138:139], v[82:83], v[138:139]
	v_add_f64 v[146:147], v[84:85], v[140:141]
	ds_read_b128 v[82:85], v219 offset:208
	s_waitcnt lgkmcnt(1)
	v_add_f64 v[148:149], v[138:139], v[142:143]
	ds_read_b128 v[138:141], v219 offset:224
	v_add_f64 v[146:147], v[146:147], v[144:145]
	ds_read_b128 v[142:145], v220
	s_waitcnt lgkmcnt(2)
	v_add_f64 v[82:83], v[148:149], v[82:83]
	v_add_f64 v[84:85], v[146:147], v[84:85]
	s_waitcnt lgkmcnt(1)
	v_add_f64 v[82:83], v[82:83], v[138:139]
	v_add_f64 v[84:85], v[84:85], v[140:141]
	;; [unrolled: 3-line block ×3, first 2 shown]
	v_lshl_add_u64 v[138:139], v[172:173], 4, s[6:7]
	global_store_dwordx4 v[138:139], v[82:85], off
.LBB50_186:                             ;   in Loop: Header=BB50_136 Depth=1
	s_or_b64 exec, exec, s[4:5]
	s_nop 0
	v_mul_f64 v[82:83], v[8:9], v[24:25]
	v_fma_f64 v[82:83], v[6:7], v[22:23], -v[82:83]
	v_mul_f64 v[6:7], v[6:7], v[24:25]
	v_mul_f64 v[24:25], v[12:13], v[28:29]
	v_add_f64 v[0:1], v[0:1], v[82:83]
	v_fma_f64 v[24:25], v[10:11], v[26:27], -v[24:25]
	v_add_f64 v[0:1], v[0:1], v[24:25]
	v_mul_f64 v[24:25], v[16:17], v[32:33]
	v_fma_f64 v[24:25], v[14:15], v[30:31], -v[24:25]
	v_add_f64 v[0:1], v[0:1], v[24:25]
	v_mul_f64 v[24:25], v[20:21], v[40:41]
	v_fmac_f64_e32 v[6:7], v[8:9], v[22:23]
	v_fma_f64 v[24:25], v[18:19], v[38:39], -v[24:25]
	v_add_f64 v[2:3], v[2:3], v[6:7]
	v_mul_f64 v[6:7], v[36:37], v[56:57]
	v_add_f64 v[0:1], v[0:1], v[24:25]
	v_fma_f64 v[6:7], v[34:35], v[54:55], -v[6:7]
	v_add_f64 v[0:1], v[0:1], v[6:7]
	v_mul_f64 v[6:7], v[44:45], v[60:61]
	v_fma_f64 v[6:7], v[42:43], v[58:59], -v[6:7]
	v_add_f64 v[0:1], v[0:1], v[6:7]
	v_mul_f64 v[6:7], v[48:49], v[64:65]
	;; [unrolled: 3-line block ×3, first 2 shown]
	v_fma_f64 v[6:7], v[50:51], v[74:75], -v[6:7]
	v_mul_f64 v[10:11], v[10:11], v[28:29]
	v_add_f64 v[0:1], v[0:1], v[6:7]
	v_mul_f64 v[6:7], v[68:69], v[104:105]
	v_mul_f64 v[14:15], v[14:15], v[32:33]
	v_fmac_f64_e32 v[10:11], v[12:13], v[26:27]
	v_fma_f64 v[6:7], v[66:67], v[102:103], -v[6:7]
	v_mul_f64 v[18:19], v[18:19], v[40:41]
	v_add_f64 v[2:3], v[2:3], v[10:11]
	v_fmac_f64_e32 v[14:15], v[16:17], v[30:31]
	v_add_f64 v[0:1], v[0:1], v[6:7]
	v_mul_f64 v[6:7], v[72:73], v[108:109]
	v_add_f64 v[2:3], v[2:3], v[14:15]
	v_fmac_f64_e32 v[18:19], v[20:21], v[38:39]
	v_mul_f64 v[8:9], v[34:35], v[56:57]
	v_fma_f64 v[6:7], v[70:71], v[106:107], -v[6:7]
	v_add_f64 v[2:3], v[2:3], v[18:19]
	v_mul_f64 v[10:11], v[42:43], v[60:61]
	v_fmac_f64_e32 v[8:9], v[36:37], v[54:55]
	v_add_f64 v[0:1], v[0:1], v[6:7]
	v_mul_f64 v[6:7], v[80:81], v[112:113]
	v_mul_f64 v[12:13], v[46:47], v[64:65]
	v_add_f64 v[2:3], v[2:3], v[8:9]
	v_fmac_f64_e32 v[10:11], v[44:45], v[58:59]
	v_fma_f64 v[6:7], v[78:79], v[110:111], -v[6:7]
	v_mul_f64 v[14:15], v[50:51], v[76:77]
	v_add_f64 v[2:3], v[2:3], v[10:11]
	v_fmac_f64_e32 v[12:13], v[48:49], v[62:63]
	v_add_f64 v[0:1], v[0:1], v[6:7]
	v_mul_f64 v[6:7], v[92:93], v[120:121]
	v_add_f64 v[2:3], v[2:3], v[12:13]
	v_fmac_f64_e32 v[14:15], v[52:53], v[74:75]
	v_mul_f64 v[8:9], v[66:67], v[104:105]
	v_fma_f64 v[6:7], v[90:91], v[118:119], -v[6:7]
	v_add_f64 v[2:3], v[2:3], v[14:15]
	v_mul_f64 v[10:11], v[70:71], v[108:109]
	v_add_f64 v[0:1], v[0:1], v[6:7]
	v_fmac_f64_e32 v[8:9], v[68:69], v[102:103]
	v_mul_f64 v[6:7], v[116:117], v[88:89]
	v_mul_f64 v[12:13], v[78:79], v[112:113]
	v_add_f64 v[2:3], v[2:3], v[8:9]
	v_fmac_f64_e32 v[10:11], v[72:73], v[106:107]
	v_fma_f64 v[6:7], v[114:115], v[86:87], -v[6:7]
	v_mul_f64 v[14:15], v[90:91], v[120:121]
	v_add_f64 v[2:3], v[2:3], v[10:11]
	v_fmac_f64_e32 v[12:13], v[80:81], v[110:111]
	v_add_f64 v[0:1], v[0:1], v[6:7]
	v_mul_f64 v[6:7], v[124:125], v[96:97]
	v_add_f64 v[2:3], v[2:3], v[12:13]
	v_fmac_f64_e32 v[14:15], v[92:93], v[118:119]
	v_mul_f64 v[8:9], v[114:115], v[88:89]
	v_fma_f64 v[6:7], v[122:123], v[94:95], -v[6:7]
	v_add_f64 v[2:3], v[2:3], v[14:15]
	v_mul_f64 v[10:11], v[122:123], v[96:97]
	v_add_f64 v[0:1], v[0:1], v[6:7]
	v_mul_f64 v[6:7], v[128:129], v[100:101]
	v_fmac_f64_e32 v[8:9], v[116:117], v[86:87]
	v_fma_f64 v[6:7], v[126:127], v[98:99], -v[6:7]
	v_mul_f64 v[12:13], v[126:127], v[100:101]
	v_fmac_f64_e32 v[10:11], v[124:125], v[94:95]
	v_add_f64 v[2:3], v[2:3], v[8:9]
	v_add_f64 v[0:1], v[0:1], v[6:7]
	v_mul_f64 v[6:7], v[132:133], v[136:137]
	v_mul_f64 v[14:15], v[130:131], v[136:137]
	v_fmac_f64_e32 v[12:13], v[128:129], v[98:99]
	v_add_f64 v[2:3], v[2:3], v[10:11]
	v_fma_f64 v[6:7], v[130:131], v[134:135], -v[6:7]
	v_fmac_f64_e32 v[14:15], v[132:133], v[134:135]
	v_add_f64 v[2:3], v[2:3], v[12:13]
	s_add_i32 s4, s2, 1
	s_add_i32 s8, s8, s30
	;; [unrolled: 1-line block ×3, first 2 shown]
	v_add_f64 v[0:1], v[0:1], v[6:7]
	v_add_f64 v[2:3], v[2:3], v[14:15]
	v_add_u32_e32 v172, 64, v172
	v_lshl_add_u64 v[176:177], v[176:177], 0, s[10:11]
	v_lshl_add_u64 v[178:179], v[178:179], 0, s[10:11]
	;; [unrolled: 1-line block ×19, first 2 shown]
	s_cmp_ge_u32 s2, s3
	v_lshl_add_u64 v[214:215], v[214:215], 0, s[10:11]
	s_barrier
	s_cbranch_scc1 .LBB50_188
; %bb.187:                              ;   in Loop: Header=BB50_136 Depth=1
	s_mov_b32 s2, s4
	s_cmp_eq_u32 s17, s2
	s_cselect_b32 s26, s33, 0
	s_and_saveexec_b64 s[4:5], s[12:13]
	s_cbranch_execnz .LBB50_132
	s_branch .LBB50_136
.LBB50_188:
	s_movk_i32 s0, 0x430
	v_cmp_gt_i32_e32 vcc, s16, v168
	v_mad_u32_u24 v4, v167, s0, v169
	s_or_b64 s[0:1], s[18:19], vcc
	s_and_b64 s[0:1], s[12:13], s[0:1]
	ds_write_b128 v4, v[0:3]
	s_waitcnt lgkmcnt(0)
	s_barrier
	s_and_saveexec_b64 s[2:3], s[0:1]
	s_cbranch_execz .LBB50_190
; %bb.189:
	ds_read_b128 v[0:3], v169 offset:1072
	ds_read_b128 v[4:7], v169
	ds_read_b128 v[8:11], v169 offset:2144
	ds_read_b128 v[12:15], v169 offset:3216
	v_ashrrev_i32_e32 v167, 31, v166
	s_waitcnt lgkmcnt(2)
	v_add_f64 v[0:1], v[0:1], v[4:5]
	v_add_f64 v[2:3], v[2:3], v[6:7]
	s_waitcnt lgkmcnt(1)
	v_add_f64 v[0:1], v[0:1], v[8:9]
	v_add_f64 v[2:3], v[2:3], v[10:11]
	;; [unrolled: 3-line block ×3, first 2 shown]
	v_lshl_add_u64 v[4:5], v[166:167], 4, s[6:7]
	global_store_dwordx4 v[4:5], v[0:3], off
.LBB50_190:
	s_endpgm
	.section	.rodata,"a",@progbits
	.p2align	6, 0x0
	.amdhsa_kernel _ZL26rocblas_hemvn_kernel_upperILb1ELi64ELi4ELi33ELi32ELi16EiPK19rocblas_complex_numIdEPKS3_PS1_EviT6_lT7_lT5_lS8_lS9_lS7_lT8_i
		.amdhsa_group_segment_fixed_size 19200
		.amdhsa_private_segment_fixed_size 0
		.amdhsa_kernarg_size 376
		.amdhsa_user_sgpr_count 2
		.amdhsa_user_sgpr_dispatch_ptr 0
		.amdhsa_user_sgpr_queue_ptr 0
		.amdhsa_user_sgpr_kernarg_segment_ptr 1
		.amdhsa_user_sgpr_dispatch_id 0
		.amdhsa_user_sgpr_kernarg_preload_length 0
		.amdhsa_user_sgpr_kernarg_preload_offset 0
		.amdhsa_user_sgpr_private_segment_size 0
		.amdhsa_uses_dynamic_stack 0
		.amdhsa_enable_private_segment 0
		.amdhsa_system_sgpr_workgroup_id_x 1
		.amdhsa_system_sgpr_workgroup_id_y 0
		.amdhsa_system_sgpr_workgroup_id_z 1
		.amdhsa_system_sgpr_workgroup_info 0
		.amdhsa_system_vgpr_workitem_id 1
		.amdhsa_next_free_vgpr 240
		.amdhsa_next_free_sgpr 40
		.amdhsa_accum_offset 240
		.amdhsa_reserve_vcc 1
		.amdhsa_float_round_mode_32 0
		.amdhsa_float_round_mode_16_64 0
		.amdhsa_float_denorm_mode_32 3
		.amdhsa_float_denorm_mode_16_64 3
		.amdhsa_dx10_clamp 1
		.amdhsa_ieee_mode 1
		.amdhsa_fp16_overflow 0
		.amdhsa_tg_split 0
		.amdhsa_exception_fp_ieee_invalid_op 0
		.amdhsa_exception_fp_denorm_src 0
		.amdhsa_exception_fp_ieee_div_zero 0
		.amdhsa_exception_fp_ieee_overflow 0
		.amdhsa_exception_fp_ieee_underflow 0
		.amdhsa_exception_fp_ieee_inexact 0
		.amdhsa_exception_int_div_zero 0
	.end_amdhsa_kernel
	.section	.text._ZL26rocblas_hemvn_kernel_upperILb1ELi64ELi4ELi33ELi32ELi16EiPK19rocblas_complex_numIdEPKS3_PS1_EviT6_lT7_lT5_lS8_lS9_lS7_lT8_i,"axG",@progbits,_ZL26rocblas_hemvn_kernel_upperILb1ELi64ELi4ELi33ELi32ELi16EiPK19rocblas_complex_numIdEPKS3_PS1_EviT6_lT7_lT5_lS8_lS9_lS7_lT8_i,comdat
.Lfunc_end50:
	.size	_ZL26rocblas_hemvn_kernel_upperILb1ELi64ELi4ELi33ELi32ELi16EiPK19rocblas_complex_numIdEPKS3_PS1_EviT6_lT7_lT5_lS8_lS9_lS7_lT8_i, .Lfunc_end50-_ZL26rocblas_hemvn_kernel_upperILb1ELi64ELi4ELi33ELi32ELi16EiPK19rocblas_complex_numIdEPKS3_PS1_EviT6_lT7_lT5_lS8_lS9_lS7_lT8_i
                                        ; -- End function
	.section	.AMDGPU.csdata,"",@progbits
; Kernel info:
; codeLenInByte = 10824
; NumSgprs: 46
; NumVgprs: 240
; NumAgprs: 0
; TotalNumVgprs: 240
; ScratchSize: 0
; MemoryBound: 1
; FloatMode: 240
; IeeeMode: 1
; LDSByteSize: 19200 bytes/workgroup (compile time only)
; SGPRBlocks: 5
; VGPRBlocks: 29
; NumSGPRsForWavesPerEU: 46
; NumVGPRsForWavesPerEU: 240
; AccumOffset: 240
; Occupancy: 2
; WaveLimiterHint : 1
; COMPUTE_PGM_RSRC2:SCRATCH_EN: 0
; COMPUTE_PGM_RSRC2:USER_SGPR: 2
; COMPUTE_PGM_RSRC2:TRAP_HANDLER: 0
; COMPUTE_PGM_RSRC2:TGID_X_EN: 1
; COMPUTE_PGM_RSRC2:TGID_Y_EN: 0
; COMPUTE_PGM_RSRC2:TGID_Z_EN: 1
; COMPUTE_PGM_RSRC2:TIDIG_COMP_CNT: 1
; COMPUTE_PGM_RSRC3_GFX90A:ACCUM_OFFSET: 59
; COMPUTE_PGM_RSRC3_GFX90A:TG_SPLIT: 0
	.section	.text._ZL36rocblas_hemvn_kernel_upper_block_sumILi64EiPK19rocblas_complex_numIdEPKPS1_S1_EviT1_lS7_lT2_lT0_lPT3_i,"axG",@progbits,_ZL36rocblas_hemvn_kernel_upper_block_sumILi64EiPK19rocblas_complex_numIdEPKPS1_S1_EviT1_lS7_lT2_lT0_lPT3_i,comdat
	.globl	_ZL36rocblas_hemvn_kernel_upper_block_sumILi64EiPK19rocblas_complex_numIdEPKPS1_S1_EviT1_lS7_lT2_lT0_lPT3_i ; -- Begin function _ZL36rocblas_hemvn_kernel_upper_block_sumILi64EiPK19rocblas_complex_numIdEPKPS1_S1_EviT1_lS7_lT2_lT0_lPT3_i
	.p2align	8
	.type	_ZL36rocblas_hemvn_kernel_upper_block_sumILi64EiPK19rocblas_complex_numIdEPKPS1_S1_EviT1_lS7_lT2_lT0_lPT3_i,@function
_ZL36rocblas_hemvn_kernel_upper_block_sumILi64EiPK19rocblas_complex_numIdEPKPS1_S1_EviT1_lS7_lT2_lT0_lPT3_i: ; @_ZL36rocblas_hemvn_kernel_upper_block_sumILi64EiPK19rocblas_complex_numIdEPKPS1_S1_EviT1_lS7_lT2_lT0_lPT3_i
; %bb.0:
	s_load_dwordx8 s[4:11], s[0:1], 0x8
	s_mov_b32 s18, s3
	s_waitcnt lgkmcnt(0)
	s_mul_i32 s3, s3, s7
	s_mul_hi_u32 s7, s18, s6
	s_add_i32 s7, s7, s3
	s_mul_i32 s6, s18, s6
	s_lshl_b64 s[6:7], s[6:7], 4
	s_add_u32 s4, s4, s6
	s_addc_u32 s5, s5, s7
	s_load_dwordx4 s[12:15], s[4:5], 0x0
	s_mul_i32 s3, s18, s11
	s_mul_hi_u32 s4, s18, s10
	s_add_i32 s5, s4, s3
	s_mul_i32 s4, s18, s10
	s_lshl_b64 s[4:5], s[4:5], 4
	s_add_u32 s4, s8, s4
	s_addc_u32 s5, s9, s5
	s_load_dwordx4 s[8:11], s[4:5], 0x0
	s_waitcnt lgkmcnt(0)
	v_cmp_neq_f64_e64 s[4:5], s[12:13], 0
	v_cmp_neq_f64_e64 s[6:7], s[14:15], 0
	s_or_b64 s[4:5], s[4:5], s[6:7]
	s_mov_b64 s[6:7], -1
	s_and_b64 vcc, exec, s[4:5]
	s_cbranch_vccnz .LBB51_2
; %bb.1:
	v_cmp_neq_f64_e64 s[6:7], s[8:9], 1.0
	v_cmp_neq_f64_e64 s[16:17], s[10:11], 0
	s_or_b64 s[6:7], s[6:7], s[16:17]
.LBB51_2:
	s_andn2_b64 vcc, exec, s[6:7]
	s_cbranch_vccnz .LBB51_22
; %bb.3:
	s_load_dwordx4 s[24:27], s[0:1], 0x28
	s_load_dword s3, s[0:1], 0x38
	s_load_dword s20, s[0:1], 0x0
	s_mov_b32 s19, 0
	s_lshl_b64 s[6:7], s[18:19], 3
	s_xor_b64 s[4:5], s[4:5], -1
	s_waitcnt lgkmcnt(0)
	s_add_u32 s6, s24, s6
	s_addc_u32 s7, s25, s7
	s_load_dwordx2 s[6:7], s[6:7], 0x0
	s_lshl_b64 s[16:17], s[26:27], 4
	v_lshl_or_b32 v4, s2, 6, v0
	s_waitcnt lgkmcnt(0)
	s_add_u32 s6, s6, s16
	s_addc_u32 s7, s7, s17
	s_andn2_b64 vcc, exec, s[4:5]
	v_cmp_gt_i32_e64 s[4:5], s20, v4
	s_cbranch_vccnz .LBB51_8
; %bb.4:
	s_mov_b64 s[22:23], 0
	s_mov_b64 s[16:17], 0
                                        ; implicit-def: $vgpr2_vgpr3
                                        ; implicit-def: $vgpr6_vgpr7
	s_and_saveexec_b64 s[24:25], s[4:5]
	s_cbranch_execz .LBB51_9
; %bb.5:
	v_cmp_neq_f64_e64 s[4:5], s[8:9], 0
	v_cmp_neq_f64_e64 s[16:17], s[10:11], 0
	v_mov_b64_e32 v[2:3], 0
	v_mul_lo_u32 v6, v4, s3
	s_or_b64 s[4:5], s[4:5], s[16:17]
	v_ashrrev_i32_e32 v7, 31, v6
	s_andn2_b64 vcc, exec, s[4:5]
	v_mov_b64_e32 v[0:1], v[2:3]
	s_cbranch_vccnz .LBB51_7
; %bb.6:
	v_lshl_add_u64 v[0:1], v[6:7], 4, s[6:7]
	global_load_dwordx4 v[8:11], v[0:1], off
	s_waitcnt vmcnt(0)
	v_mul_f64 v[0:1], s[10:11], v[10:11]
	v_mul_f64 v[2:3], s[8:9], v[10:11]
	v_fma_f64 v[0:1], s[8:9], v[8:9], -v[0:1]
	v_fmac_f64_e32 v[2:3], s[10:11], v[8:9]
.LBB51_7:
	s_mov_b64 s[16:17], exec
	s_or_b64 exec, exec, s[24:25]
	s_and_b64 vcc, exec, s[22:23]
	s_cbranch_vccnz .LBB51_10
	s_branch .LBB51_20
.LBB51_8:
	s_mov_b64 s[16:17], 0
                                        ; implicit-def: $vgpr2_vgpr3
                                        ; implicit-def: $vgpr6_vgpr7
	s_cbranch_execnz .LBB51_10
	s_branch .LBB51_20
.LBB51_9:
	s_or_b64 exec, exec, s[24:25]
	s_and_b64 vcc, exec, s[22:23]
	s_cbranch_vccz .LBB51_20
.LBB51_10:
	v_cmp_gt_i32_e32 vcc, s20, v4
                                        ; implicit-def: $vgpr2_vgpr3
                                        ; implicit-def: $vgpr6_vgpr7
	s_and_saveexec_b64 s[4:5], vcc
	s_cbranch_execz .LBB51_19
; %bb.11:
	v_mov_b64_e32 v[0:1], 0
	s_cmp_lt_i32 s2, 0
	v_mov_b64_e32 v[8:9], v[0:1]
	s_cbranch_scc1 .LBB51_14
; %bb.12:
	s_load_dwordx2 s[22:23], s[0:1], 0x48
	s_load_dword s19, s[0:1], 0x58
	s_ashr_i32 s21, s20, 31
	s_mul_hi_u32 s0, s20, s18
	s_mul_i32 s1, s21, s18
	s_add_i32 s0, s0, s1
	s_mul_i32 s18, s20, s18
	s_waitcnt lgkmcnt(0)
	s_mul_i32 s0, s0, s19
	s_mul_hi_u32 s1, s18, s19
	s_add_i32 s1, s1, s0
	s_mul_i32 s0, s18, s19
	s_add_i32 s2, s2, 1
	s_lshl_b64 s[0:1], s[0:1], 4
	s_add_u32 s0, s22, s0
	v_mov_b32_e32 v5, 0
	s_addc_u32 s1, s23, s1
	v_lshl_add_u64 v[0:1], v[4:5], 4, s[0:1]
	v_lshl_add_u64 v[2:3], v[0:1], 0, 8
	v_mov_b64_e32 v[0:1], 0
	s_lshl_b64 s[0:1], s[20:21], 4
	v_mov_b64_e32 v[8:9], v[0:1]
.LBB51_13:                              ; =>This Inner Loop Header: Depth=1
	global_load_dwordx4 v[10:13], v[2:3], off offset:-8
	s_add_i32 s2, s2, -1
	v_lshl_add_u64 v[2:3], v[2:3], 0, s[0:1]
	s_cmp_eq_u32 s2, 0
	s_waitcnt vmcnt(0)
	v_add_f64 v[8:9], v[8:9], v[10:11]
	v_add_f64 v[0:1], v[0:1], v[12:13]
	s_cbranch_scc0 .LBB51_13
.LBB51_14:
	v_cmp_neq_f64_e64 s[18:19], s[8:9], 0
	v_cmp_neq_f64_e64 s[20:21], s[10:11], 0
	s_or_b64 s[18:19], s[18:19], s[20:21]
	v_mul_f64 v[10:11], s[14:15], v[0:1]
	v_mul_f64 v[2:3], s[12:13], v[0:1]
	v_mul_lo_u32 v6, v4, s3
	s_mov_b64 s[0:1], 0
	s_andn2_b64 vcc, exec, s[18:19]
	v_fma_f64 v[0:1], s[12:13], v[8:9], -v[10:11]
	v_fmac_f64_e32 v[2:3], s[14:15], v[8:9]
	v_ashrrev_i32_e32 v7, 31, v6
	s_cbranch_vccnz .LBB51_16
; %bb.15:
	s_mov_b64 s[0:1], -1
.LBB51_16:
	s_andn2_b64 vcc, exec, s[0:1]
	s_cbranch_vccnz .LBB51_18
; %bb.17:
	v_lshl_add_u64 v[4:5], v[6:7], 4, s[6:7]
	global_load_dwordx4 v[8:11], v[4:5], off
	s_waitcnt vmcnt(0)
	v_mul_f64 v[4:5], s[10:11], v[10:11]
	v_mul_f64 v[10:11], s[8:9], v[10:11]
	v_fma_f64 v[4:5], s[8:9], v[8:9], -v[4:5]
	v_fmac_f64_e32 v[10:11], s[10:11], v[8:9]
	v_add_f64 v[0:1], v[0:1], v[4:5]
	v_add_f64 v[2:3], v[2:3], v[10:11]
.LBB51_18:
	s_or_b64 s[16:17], s[16:17], exec
.LBB51_19:
	s_or_b64 exec, exec, s[4:5]
.LBB51_20:
	s_and_saveexec_b64 s[0:1], s[16:17]
	s_cbranch_execz .LBB51_22
; %bb.21:
	v_lshl_add_u64 v[4:5], v[6:7], 4, s[6:7]
	global_store_dwordx4 v[4:5], v[0:3], off
.LBB51_22:
	s_endpgm
	.section	.rodata,"a",@progbits
	.p2align	6, 0x0
	.amdhsa_kernel _ZL36rocblas_hemvn_kernel_upper_block_sumILi64EiPK19rocblas_complex_numIdEPKPS1_S1_EviT1_lS7_lT2_lT0_lPT3_i
		.amdhsa_group_segment_fixed_size 0
		.amdhsa_private_segment_fixed_size 0
		.amdhsa_kernarg_size 344
		.amdhsa_user_sgpr_count 2
		.amdhsa_user_sgpr_dispatch_ptr 0
		.amdhsa_user_sgpr_queue_ptr 0
		.amdhsa_user_sgpr_kernarg_segment_ptr 1
		.amdhsa_user_sgpr_dispatch_id 0
		.amdhsa_user_sgpr_kernarg_preload_length 0
		.amdhsa_user_sgpr_kernarg_preload_offset 0
		.amdhsa_user_sgpr_private_segment_size 0
		.amdhsa_uses_dynamic_stack 0
		.amdhsa_enable_private_segment 0
		.amdhsa_system_sgpr_workgroup_id_x 1
		.amdhsa_system_sgpr_workgroup_id_y 0
		.amdhsa_system_sgpr_workgroup_id_z 1
		.amdhsa_system_sgpr_workgroup_info 0
		.amdhsa_system_vgpr_workitem_id 0
		.amdhsa_next_free_vgpr 14
		.amdhsa_next_free_sgpr 28
		.amdhsa_accum_offset 16
		.amdhsa_reserve_vcc 1
		.amdhsa_float_round_mode_32 0
		.amdhsa_float_round_mode_16_64 0
		.amdhsa_float_denorm_mode_32 3
		.amdhsa_float_denorm_mode_16_64 3
		.amdhsa_dx10_clamp 1
		.amdhsa_ieee_mode 1
		.amdhsa_fp16_overflow 0
		.amdhsa_tg_split 0
		.amdhsa_exception_fp_ieee_invalid_op 0
		.amdhsa_exception_fp_denorm_src 0
		.amdhsa_exception_fp_ieee_div_zero 0
		.amdhsa_exception_fp_ieee_overflow 0
		.amdhsa_exception_fp_ieee_underflow 0
		.amdhsa_exception_fp_ieee_inexact 0
		.amdhsa_exception_int_div_zero 0
	.end_amdhsa_kernel
	.section	.text._ZL36rocblas_hemvn_kernel_upper_block_sumILi64EiPK19rocblas_complex_numIdEPKPS1_S1_EviT1_lS7_lT2_lT0_lPT3_i,"axG",@progbits,_ZL36rocblas_hemvn_kernel_upper_block_sumILi64EiPK19rocblas_complex_numIdEPKPS1_S1_EviT1_lS7_lT2_lT0_lPT3_i,comdat
.Lfunc_end51:
	.size	_ZL36rocblas_hemvn_kernel_upper_block_sumILi64EiPK19rocblas_complex_numIdEPKPS1_S1_EviT1_lS7_lT2_lT0_lPT3_i, .Lfunc_end51-_ZL36rocblas_hemvn_kernel_upper_block_sumILi64EiPK19rocblas_complex_numIdEPKPS1_S1_EviT1_lS7_lT2_lT0_lPT3_i
                                        ; -- End function
	.section	.AMDGPU.csdata,"",@progbits
; Kernel info:
; codeLenInByte = 768
; NumSgprs: 34
; NumVgprs: 14
; NumAgprs: 0
; TotalNumVgprs: 14
; ScratchSize: 0
; MemoryBound: 0
; FloatMode: 240
; IeeeMode: 1
; LDSByteSize: 0 bytes/workgroup (compile time only)
; SGPRBlocks: 4
; VGPRBlocks: 1
; NumSGPRsForWavesPerEU: 34
; NumVGPRsForWavesPerEU: 14
; AccumOffset: 16
; Occupancy: 8
; WaveLimiterHint : 1
; COMPUTE_PGM_RSRC2:SCRATCH_EN: 0
; COMPUTE_PGM_RSRC2:USER_SGPR: 2
; COMPUTE_PGM_RSRC2:TRAP_HANDLER: 0
; COMPUTE_PGM_RSRC2:TGID_X_EN: 1
; COMPUTE_PGM_RSRC2:TGID_Y_EN: 0
; COMPUTE_PGM_RSRC2:TGID_Z_EN: 1
; COMPUTE_PGM_RSRC2:TIDIG_COMP_CNT: 0
; COMPUTE_PGM_RSRC3_GFX90A:ACCUM_OFFSET: 3
; COMPUTE_PGM_RSRC3_GFX90A:TG_SPLIT: 0
	.section	.text._ZL26rocblas_hemvn_kernel_upperILb1ELi64ELi4ELi33ELi32ELi16El19rocblas_complex_numIdEPKPKS1_PS1_EviT6_lT7_lT5_lS8_lS9_lS7_lT8_i,"axG",@progbits,_ZL26rocblas_hemvn_kernel_upperILb1ELi64ELi4ELi33ELi32ELi16El19rocblas_complex_numIdEPKPKS1_PS1_EviT6_lT7_lT5_lS8_lS9_lS7_lT8_i,comdat
	.globl	_ZL26rocblas_hemvn_kernel_upperILb1ELi64ELi4ELi33ELi32ELi16El19rocblas_complex_numIdEPKPKS1_PS1_EviT6_lT7_lT5_lS8_lS9_lS7_lT8_i ; -- Begin function _ZL26rocblas_hemvn_kernel_upperILb1ELi64ELi4ELi33ELi32ELi16El19rocblas_complex_numIdEPKPKS1_PS1_EviT6_lT7_lT5_lS8_lS9_lS7_lT8_i
	.p2align	8
	.type	_ZL26rocblas_hemvn_kernel_upperILb1ELi64ELi4ELi33ELi32ELi16El19rocblas_complex_numIdEPKPKS1_PS1_EviT6_lT7_lT5_lS8_lS9_lS7_lT8_i,@function
_ZL26rocblas_hemvn_kernel_upperILb1ELi64ELi4ELi33ELi32ELi16El19rocblas_complex_numIdEPKPKS1_PS1_EviT6_lT7_lT5_lS8_lS9_lS7_lT8_i: ; @_ZL26rocblas_hemvn_kernel_upperILb1ELi64ELi4ELi33ELi32ELi16El19rocblas_complex_numIdEPKPKS1_PS1_EviT6_lT7_lT5_lS8_lS9_lS7_lT8_i
; %bb.0:
	s_load_dwordx2 s[4:5], s[0:1], 0x94
	s_add_u32 s14, s0, 0x88
	s_mov_b32 s26, s3
	s_addc_u32 s15, s1, 0
	s_waitcnt lgkmcnt(0)
	s_and_b32 s3, s5, 0xffff
	s_lshr_b32 s5, s4, 16
	s_and_b32 s4, s4, 0xffff
	s_mul_i32 s4, s5, s4
	s_mul_i32 s4, s4, s3
	s_cmpk_lg_i32 s4, 0x100
	s_cbranch_scc1 .LBB52_190
; %bb.1:
	s_load_dwordx4 s[16:19], s[0:1], 0x8
	s_load_dwordx4 s[4:7], s[0:1], 0x20
	s_load_dwordx2 s[24:25], s[0:1], 0x30
	s_mov_b64 s[8:9], 0
	s_waitcnt lgkmcnt(0)
	v_cmp_neq_f64_e64 s[10:11], s[16:17], 0
	v_cmp_neq_f64_e64 s[12:13], s[18:19], 0
	s_or_b64 s[16:17], s[10:11], s[12:13]
	s_and_b64 vcc, exec, s[16:17]
	s_cbranch_vccnz .LBB52_3
; %bb.2:
	s_load_dwordx4 s[8:11], s[0:1], 0x60
	s_mov_b64 s[12:13], 0
	s_waitcnt lgkmcnt(0)
	v_cmp_neq_f64_e64 s[8:9], s[8:9], 1.0
	v_cmp_neq_f64_e64 s[10:11], s[10:11], 0
	s_or_b64 s[8:9], s[8:9], s[10:11]
	s_cbranch_execz .LBB52_4
	s_branch .LBB52_5
.LBB52_3:
	s_mov_b64 s[12:13], -1
.LBB52_4:
	s_mov_b32 s27, 0
	s_lshl_b64 s[8:9], s[26:27], 3
	s_add_u32 s4, s4, s8
	s_addc_u32 s5, s5, s9
	s_load_dwordx2 s[4:5], s[4:5], 0x0
	s_lshl_b64 s[6:7], s[6:7], 4
	s_mov_b64 s[8:9], -1
	s_waitcnt lgkmcnt(0)
	s_add_u32 s12, s4, s6
	s_addc_u32 s13, s5, s7
.LBB52_5:
	s_andn2_b64 vcc, exec, s[8:9]
	s_cbranch_vccnz .LBB52_190
; %bb.6:
	s_load_dwordx4 s[8:11], s[0:1], 0x40
	s_load_dwordx2 s[18:19], s[0:1], 0x50
	v_cndmask_b32_e64 v1, 0, 1, s[16:17]
	v_cmp_ne_u32_e64 s[4:5], 1, v1
	s_andn2_b64 vcc, exec, s[16:17]
	s_mov_b64 s[6:7], 0
	s_cbranch_vccnz .LBB52_8
; %bb.7:
	s_mov_b32 s27, 0
	s_lshl_b64 s[6:7], s[26:27], 3
	s_waitcnt lgkmcnt(0)
	s_add_u32 s6, s8, s6
	s_addc_u32 s7, s9, s7
	s_load_dwordx2 s[6:7], s[6:7], 0x0
	s_lshl_b64 s[8:9], s[10:11], 4
	s_waitcnt lgkmcnt(0)
	s_add_u32 s6, s6, s8
	s_addc_u32 s7, s7, s9
.LBB52_8:
	s_and_b64 vcc, exec, s[4:5]
	s_cbranch_vccnz .LBB52_190
; %bb.9:
	s_load_dword s3, s[14:15], 0x0
	s_load_dword s33, s[0:1], 0x0
	v_and_b32_e32 v204, 0x3ff, v0
	s_lshl_b32 s28, s2, 6
	v_add_u32_e32 v166, s28, v204
	s_waitcnt lgkmcnt(0)
	s_add_i32 s4, s3, -1
	s_ashr_i32 s34, s33, 31
	s_lshr_b32 s5, s34, 26
	s_add_i32 s5, s33, s5
	s_andn2_b32 s5, s5, 63
	s_sub_i32 s27, s33, s5
	v_ashrrev_i32_e32 v167, 31, v166
	v_bfe_u32 v205, v0, 10, 10
	s_cmp_eq_u32 s2, s4
	v_mul_lo_u32 v2, v167, s18
	v_mul_lo_u32 v3, v166, s19
	v_mad_u64_u32 v[0:1], s[4:5], v166, s18, 0
	v_add3_u32 v1, v1, v3, v2
	s_cselect_b32 s20, s27, 0
	v_lshl_add_u64 v[36:37], v[0:1], 4, s[6:7]
	v_cmp_eq_u32_e64 s[4:5], 0, v205
	s_and_saveexec_b64 s[6:7], s[4:5]
	s_cbranch_execz .LBB52_14
; %bb.10:
	s_cmp_lg_u32 s20, 0
	s_cselect_b64 s[8:9], -1, 0
	v_cmp_le_i32_e32 vcc, s20, v204
	v_mov_b32_e32 v0, 0x4700
	s_and_b64 s[8:9], s[8:9], vcc
	v_lshl_add_u32 v0, v204, 4, v0
	s_and_saveexec_b64 s[10:11], s[8:9]
	s_xor_b64 s[8:9], exec, s[10:11]
	s_cbranch_execz .LBB52_12
; %bb.11:
	v_mov_b32_e32 v2, 0
	v_mov_b32_e32 v3, v2
	;; [unrolled: 1-line block ×4, first 2 shown]
	ds_write_b128 v0, v[2:5]
                                        ; implicit-def: $vgpr0
.LBB52_12:
	s_andn2_saveexec_b64 s[8:9], s[8:9]
	s_cbranch_execz .LBB52_14
; %bb.13:
	flat_load_dwordx4 v[2:5], v[36:37]
	s_waitcnt vmcnt(0) lgkmcnt(0)
	ds_write2_b64 v0, v[2:3], v[4:5] offset1:1
.LBB52_14:
	s_or_b64 exec, exec, s[6:7]
	s_ashr_i32 s29, s28, 31
	v_lshl_add_u32 v42, v205, 6, v204
	s_lshl_b64 s[6:7], s[28:29], 4
	v_and_b32_e32 v4, 31, v204
	v_lshrrev_b32_e32 v14, 5, v42
	s_add_u32 s8, s12, s6
	v_mov_b32_e32 v5, 0
	s_addc_u32 s9, s13, s7
	v_mad_u64_u32 v[38:39], s[6:7], v14, s24, v[4:5]
	v_mov_b32_e32 v0, v39
	v_mad_u64_u32 v[0:1], s[6:7], v14, s25, v[0:1]
	s_mul_i32 s6, s28, s25
	s_mul_hi_u32 s7, s28, s24
	s_add_i32 s6, s7, s6
	s_mul_i32 s7, s29, s24
	s_add_i32 s7, s6, s7
	s_mul_i32 s6, s28, s24
	s_lshl_b64 s[6:7], s[6:7], 4
	s_add_u32 s6, s6, s8
	s_addc_u32 s7, s7, s9
	s_cmp_eq_u32 s20, 0
	s_cselect_b64 s[22:23], -1, 0
	s_cmp_lg_u32 s20, 0
	v_mov_b32_e32 v39, v0
	s_cselect_b64 s[30:31], -1, 0
	v_lshl_add_u64 v[0:1], v[38:39], 4, s[6:7]
	s_and_b64 vcc, exec, s[30:31]
	v_cmp_gt_i32_e64 s[6:7], s20, v4
	v_lshlrev_b32_e32 v6, 4, v4
	v_mul_u32_u24_e32 v5, 33, v14
	s_mul_i32 s35, s25, 0x180
	s_cbranch_vccz .LBB52_32
; %bb.15:
	v_sub_co_u32_e32 v2, vcc, v0, v6
	s_ashr_i32 s21, s20, 31
	s_nop 0
	v_subbrev_co_u32_e32 v3, vcc, 0, v1, vcc
	v_lshl_add_u64 v[2:3], s[20:21], 4, v[2:3]
	v_lshl_add_u64 v[2:3], v[2:3], 0, -16
	v_cndmask_b32_e64 v3, v3, v1, s[6:7]
	v_cndmask_b32_e64 v2, v2, v0, s[6:7]
	v_cmp_le_i32_e32 vcc, s20, v14
	v_add_lshl_u32 v7, v5, v4, 4
	s_and_saveexec_b64 s[8:9], vcc
	s_xor_b64 s[8:9], exec, s[8:9]
	s_cbranch_execz .LBB52_17
; %bb.16:
	v_mov_b32_e32 v8, 0
	v_mov_b32_e32 v9, v8
	;; [unrolled: 1-line block ×4, first 2 shown]
	ds_write_b128 v7, v[8:11]
.LBB52_17:
	s_andn2_saveexec_b64 s[8:9], s[8:9]
	s_cbranch_execz .LBB52_19
; %bb.18:
	flat_load_dwordx4 v[8:11], v[2:3]
	s_waitcnt vmcnt(0) lgkmcnt(0)
	ds_write2_b64 v7, v[8:9], v[10:11] offset1:1
.LBB52_19:
	s_or_b64 exec, exec, s[8:9]
	v_add_u32_e32 v8, 8, v14
	v_cmp_le_i32_e32 vcc, s20, v8
	s_and_saveexec_b64 s[8:9], vcc
	s_xor_b64 s[8:9], exec, s[8:9]
	s_cbranch_execz .LBB52_21
; %bb.20:
	v_mul_u32_u24_e32 v8, 33, v8
	v_add_lshl_u32 v12, v8, v4, 4
	v_mov_b32_e32 v8, 0
	v_mov_b32_e32 v9, v8
	;; [unrolled: 1-line block ×4, first 2 shown]
	ds_write_b128 v12, v[8:11]
.LBB52_21:
	s_andn2_saveexec_b64 s[8:9], s[8:9]
	s_cbranch_execz .LBB52_23
; %bb.22:
	s_lshl_b64 s[10:11], s[24:25], 7
	v_lshl_add_u64 v[8:9], v[2:3], 0, s[10:11]
	flat_load_dwordx4 v[8:11], v[8:9]
	v_add_u32_e32 v12, 0x1080, v7
	s_waitcnt vmcnt(0) lgkmcnt(0)
	ds_write2_b64 v12, v[8:9], v[10:11] offset1:1
.LBB52_23:
	s_or_b64 exec, exec, s[8:9]
	v_add_u32_e32 v8, 16, v14
	v_cmp_le_i32_e32 vcc, s20, v8
	s_and_saveexec_b64 s[8:9], vcc
	s_xor_b64 s[8:9], exec, s[8:9]
	s_cbranch_execz .LBB52_25
; %bb.24:
	v_mov_b32_e32 v8, 0
	v_mov_b32_e32 v9, v8
	;; [unrolled: 1-line block ×4, first 2 shown]
	ds_write_b128 v7, v[8:11] offset:8448
.LBB52_25:
	s_andn2_saveexec_b64 s[8:9], s[8:9]
	s_cbranch_execz .LBB52_27
; %bb.26:
	s_lshl_b64 s[10:11], s[24:25], 8
	v_lshl_add_u64 v[8:9], v[2:3], 0, s[10:11]
	flat_load_dwordx4 v[8:11], v[8:9]
	v_add_u32_e32 v12, 0x2100, v7
	s_waitcnt vmcnt(0) lgkmcnt(0)
	ds_write2_b64 v12, v[8:9], v[10:11] offset1:1
.LBB52_27:
	s_or_b64 exec, exec, s[8:9]
	v_add_u32_e32 v8, 24, v14
	v_cmp_le_i32_e32 vcc, s20, v8
	s_and_saveexec_b64 s[8:9], vcc
	s_xor_b64 s[8:9], exec, s[8:9]
	s_cbranch_execz .LBB52_29
; %bb.28:
	v_mov_b32_e32 v8, 0
	v_mov_b32_e32 v9, v8
	;; [unrolled: 1-line block ×4, first 2 shown]
	ds_write_b128 v7, v[8:11] offset:12672
                                        ; implicit-def: $vgpr7
.LBB52_29:
	s_andn2_saveexec_b64 s[8:9], s[8:9]
	s_cbranch_execz .LBB52_31
; %bb.30:
	v_mov_b32_e32 v8, 0x180
	v_mad_u64_u32 v[8:9], s[10:11], s24, v8, v[2:3]
	v_add_u32_e32 v9, s35, v9
	flat_load_dwordx4 v[8:11], v[8:9]
	v_add_u32_e32 v7, 0x3180, v7
	s_waitcnt vmcnt(0) lgkmcnt(0)
	ds_write2_b64 v7, v[8:9], v[10:11] offset1:1
.LBB52_31:
	s_or_b64 exec, exec, s[8:9]
	v_mov_b32_e32 v7, 0
	v_lshl_add_u64 v[2:3], v[2:3], 0, v[6:7]
	s_lshl_b64 s[8:9], s[20:21], 4
	v_mov_b32_e32 v7, s9
	v_subrev_co_u32_e32 v2, vcc, s8, v2
	s_nop 1
	v_subb_co_u32_e32 v3, vcc, v3, v7, vcc
	v_lshl_add_u64 v[2:3], v[2:3], 0, 16
	v_cndmask_b32_e64 v9, v3, v1, s[6:7]
	v_cndmask_b32_e64 v8, v2, v0, s[6:7]
	s_branch .LBB52_34
.LBB52_32:
                                        ; implicit-def: $vgpr8_vgpr9
	s_cbranch_execz .LBB52_34
; %bb.33:
	flat_load_dwordx4 v[8:11], v[0:1]
	v_add_lshl_u32 v7, v5, v4, 4
	s_lshl_b64 s[6:7], s[24:25], 7
	v_lshl_add_u64 v[2:3], v[0:1], 0, s[6:7]
	v_add_u32_e32 v12, 0x1080, v7
	s_waitcnt vmcnt(0) lgkmcnt(0)
	ds_write2_b64 v7, v[8:9], v[10:11] offset1:1
	flat_load_dwordx4 v[8:11], v[2:3]
	v_lshl_add_u64 v[2:3], v[2:3], 0, s[6:7]
	s_waitcnt vmcnt(0) lgkmcnt(0)
	ds_write2_b64 v12, v[8:9], v[10:11] offset1:1
	flat_load_dwordx4 v[8:11], v[2:3]
	v_mov_b32_e32 v2, 0x180
	v_add_u32_e32 v12, 0x2100, v7
	v_mad_u64_u32 v[2:3], s[6:7], s24, v2, v[0:1]
	v_add_u32_e32 v3, s35, v3
	s_waitcnt vmcnt(0) lgkmcnt(0)
	ds_write2_b64 v12, v[8:9], v[10:11] offset1:1
	flat_load_dwordx4 v[8:11], v[2:3]
	v_add_u32_e32 v2, 0x3180, v7
	s_waitcnt vmcnt(0) lgkmcnt(0)
	ds_write2_b64 v2, v[8:9], v[10:11] offset1:1
	v_mov_b64_e32 v[8:9], v[0:1]
.LBB52_34:
	v_lshlrev_b32_e32 v19, 2, v14
	v_cmp_le_u32_e64 s[6:7], v19, v4
	s_waitcnt lgkmcnt(0)
	s_barrier
	s_and_saveexec_b64 s[8:9], s[6:7]
	s_xor_b64 s[8:9], exec, s[8:9]
	s_cbranch_execz .LBB52_38
; %bb.35:
	v_cmp_eq_u32_e32 vcc, v19, v4
	s_and_saveexec_b64 s[10:11], vcc
	s_cbranch_execz .LBB52_37
; %bb.36:
	v_mul_u32_u24_e32 v0, 34, v4
	v_lshlrev_b32_e32 v2, 4, v0
	v_mov_b32_e32 v0, 0
	v_mov_b32_e32 v1, v0
	ds_write_b64 v2, v[0:1] offset:8
.LBB52_37:
	s_or_b64 exec, exec, s[10:11]
.LBB52_38:
	s_or_saveexec_b64 s[8:9], s[8:9]
	v_mul_u32_u24_e32 v15, 33, v4
	v_add_lshl_u32 v17, v19, v15, 4
	s_xor_b64 exec, exec, s[8:9]
	s_cbranch_execz .LBB52_40
; %bb.39:
	v_mul_u32_u24_e32 v0, 0x84, v14
	v_add_lshl_u32 v0, v0, v4, 4
	ds_read_b128 v[0:3], v0
	s_waitcnt lgkmcnt(0)
	v_xor_b32_e32 v3, 0x80000000, v3
	ds_write_b128 v17, v[0:3]
.LBB52_40:
	s_or_b64 exec, exec, s[8:9]
	v_or_b32_e32 v18, 1, v19
	v_cmp_ge_u32_e64 s[8:9], v19, v4
	v_mul_u32_u24_e32 v0, 33, v18
	s_and_saveexec_b64 s[10:11], s[8:9]
	s_xor_b64 s[10:11], exec, s[10:11]
	s_cbranch_execz .LBB52_42
; %bb.41:
	v_add_lshl_u32 v1, v0, v4, 4
	ds_read_b128 v[10:13], v1
	s_waitcnt lgkmcnt(0)
	v_xor_b32_e32 v13, 0x80000000, v13
	ds_write_b128 v17, v[10:13] offset:16
.LBB52_42:
	s_andn2_saveexec_b64 s[10:11], s[10:11]
	s_cbranch_execz .LBB52_46
; %bb.43:
	v_cmp_eq_u32_e32 vcc, v18, v4
	s_and_saveexec_b64 s[12:13], vcc
	s_cbranch_execz .LBB52_45
; %bb.44:
	v_mul_u32_u24_e32 v1, 34, v4
	v_mov_b32_e32 v2, 0
	v_lshlrev_b32_e32 v1, 4, v1
	v_mov_b32_e32 v3, v2
	ds_write_b64 v1, v[2:3] offset:8
.LBB52_45:
	s_or_b64 exec, exec, s[12:13]
.LBB52_46:
	s_or_b64 exec, exec, s[10:11]
	v_or_b32_e32 v20, 2, v19
	v_cmp_le_u32_e64 s[10:11], v20, v4
	s_and_saveexec_b64 s[12:13], s[10:11]
	s_xor_b64 s[12:13], exec, s[12:13]
	s_cbranch_execz .LBB52_50
; %bb.47:
	v_cmp_eq_u32_e32 vcc, v20, v4
	s_and_saveexec_b64 s[14:15], vcc
	s_cbranch_execz .LBB52_49
; %bb.48:
	v_mul_u32_u24_e32 v1, 34, v4
	v_mov_b32_e32 v2, 0
	v_lshlrev_b32_e32 v1, 4, v1
	v_mov_b32_e32 v3, v2
	ds_write_b64 v1, v[2:3] offset:8
.LBB52_49:
	s_or_b64 exec, exec, s[14:15]
.LBB52_50:
	s_andn2_saveexec_b64 s[12:13], s[12:13]
	s_cbranch_execz .LBB52_52
; %bb.51:
	v_mul_u32_u24_e32 v1, 33, v20
	v_add_lshl_u32 v1, v1, v4, 4
	ds_read_b128 v[10:13], v1
	s_waitcnt lgkmcnt(0)
	v_xor_b32_e32 v13, 0x80000000, v13
	ds_write_b128 v17, v[10:13] offset:32
.LBB52_52:
	s_or_b64 exec, exec, s[12:13]
	v_or_b32_e32 v21, 3, v19
	v_cmp_le_u32_e64 s[12:13], v21, v4
	s_and_saveexec_b64 s[14:15], s[12:13]
	s_xor_b64 s[14:15], exec, s[14:15]
	s_cbranch_execz .LBB52_56
; %bb.53:
	v_cmp_eq_u32_e32 vcc, v21, v4
	s_and_saveexec_b64 s[16:17], vcc
	s_cbranch_execz .LBB52_55
; %bb.54:
	v_mul_u32_u24_e32 v1, 34, v4
	v_mov_b32_e32 v2, 0
	v_lshlrev_b32_e32 v1, 4, v1
	v_mov_b32_e32 v3, v2
	ds_write_b64 v1, v[2:3] offset:8
.LBB52_55:
	s_or_b64 exec, exec, s[16:17]
.LBB52_56:
	s_andn2_saveexec_b64 s[14:15], s[14:15]
	s_cbranch_execz .LBB52_58
; %bb.57:
	v_mul_u32_u24_e32 v1, 33, v21
	v_add_lshl_u32 v1, v1, v4, 4
	ds_read_b128 v[10:13], v1
	s_waitcnt lgkmcnt(0)
	v_xor_b32_e32 v13, 0x80000000, v13
	ds_write_b128 v17, v[10:13] offset:48
.LBB52_58:
	s_or_b64 exec, exec, s[14:15]
	v_mul_u32_u24_e32 v1, 0x84, v14
	v_lshlrev_b32_e32 v22, 4, v19
	s_waitcnt lgkmcnt(0)
	s_barrier
	v_add_lshl_u32 v16, v1, v4, 4
	ds_read_b128 v[10:13], v22 offset:18176
	ds_read_b128 v[24:27], v22 offset:18192
	ds_read_b128 v[28:31], v16
	ds_read_b128 v[32:35], v22 offset:18208
	ds_read_b128 v[46:49], v22 offset:18224
	v_add_lshl_u32 v45, v0, v4, 4
	ds_read_b128 v[0:3], v45
	s_waitcnt lgkmcnt(3)
	v_mul_f64 v[40:41], v[12:13], v[30:31]
	v_fma_f64 v[40:41], v[10:11], v[28:29], -v[40:41]
	v_mul_f64 v[10:11], v[10:11], v[30:31]
	v_fmac_f64_e32 v[10:11], v[12:13], v[28:29]
	v_add_f64 v[30:31], v[10:11], 0
	s_waitcnt lgkmcnt(0)
	v_mul_f64 v[10:11], v[26:27], v[2:3]
	v_add_f64 v[28:29], v[40:41], 0
	v_fma_f64 v[40:41], v[24:25], v[0:1], -v[10:11]
	v_mul_f64 v[2:3], v[24:25], v[2:3]
	ds_read_b128 v[10:13], v45 offset:528
	v_fmac_f64_e32 v[2:3], v[26:27], v[0:1]
	v_add_f64 v[26:27], v[30:31], v[2:3]
	ds_read_b128 v[0:3], v45 offset:1056
	v_add_f64 v[24:25], v[28:29], v[40:41]
	s_waitcnt lgkmcnt(1)
	v_mul_f64 v[28:29], v[34:35], v[12:13]
	v_fma_f64 v[28:29], v[32:33], v[10:11], -v[28:29]
	v_mul_f64 v[12:13], v[32:33], v[12:13]
	v_fmac_f64_e32 v[12:13], v[34:35], v[10:11]
	v_add_f64 v[10:11], v[24:25], v[28:29]
	s_waitcnt lgkmcnt(0)
	v_mul_f64 v[24:25], v[48:49], v[2:3]
	v_mul_f64 v[2:3], v[46:47], v[2:3]
	v_add_f64 v[12:13], v[26:27], v[12:13]
	v_fma_f64 v[24:25], v[46:47], v[0:1], -v[24:25]
	v_fmac_f64_e32 v[2:3], v[48:49], v[0:1]
	v_add_f64 v[0:1], v[10:11], v[24:25]
	v_add_f64 v[2:3], v[12:13], v[2:3]
	v_add_lshl_u32 v44, v14, v15, 4
	s_barrier
	ds_write_b128 v44, v[0:3]
	v_mov_b64_e32 v[0:1], 0
	v_cmp_gt_u32_e64 s[14:15], 32, v42
	v_lshlrev_b32_e32 v43, 4, v15
	v_mov_b64_e32 v[2:3], v[0:1]
	s_waitcnt lgkmcnt(0)
	s_barrier
	s_and_saveexec_b64 s[16:17], s[14:15]
	s_cbranch_execz .LBB52_60
; %bb.59:
	ds_read_b128 v[0:3], v43
	ds_read_b128 v[10:13], v43 offset:16
	ds_read_b128 v[24:27], v43 offset:32
	;; [unrolled: 1-line block ×3, first 2 shown]
	s_waitcnt lgkmcnt(2)
	v_add_f64 v[0:1], v[10:11], v[0:1]
	v_add_f64 v[10:11], v[12:13], v[2:3]
	s_waitcnt lgkmcnt(1)
	v_add_f64 v[12:13], v[0:1], v[24:25]
	ds_read_b128 v[0:3], v43 offset:64
	v_add_f64 v[10:11], v[10:11], v[26:27]
	s_waitcnt lgkmcnt(1)
	v_add_f64 v[24:25], v[12:13], v[28:29]
	v_add_f64 v[28:29], v[10:11], v[30:31]
	ds_read_b128 v[10:13], v43 offset:80
	s_waitcnt lgkmcnt(1)
	v_add_f64 v[30:31], v[24:25], v[0:1]
	ds_read_b128 v[24:27], v43 offset:96
	v_add_f64 v[28:29], v[28:29], v[2:3]
	ds_read_b128 v[0:3], v43 offset:112
	s_waitcnt lgkmcnt(2)
	v_add_f64 v[10:11], v[30:31], v[10:11]
	v_add_f64 v[12:13], v[28:29], v[12:13]
	s_waitcnt lgkmcnt(1)
	v_add_f64 v[10:11], v[10:11], v[24:25]
	v_add_f64 v[12:13], v[12:13], v[26:27]
	;; [unrolled: 3-line block ×3, first 2 shown]
.LBB52_60:
	s_or_b64 exec, exec, s[16:17]
	s_lshl_b64 s[16:17], s[24:25], 9
	v_lshl_add_u64 v[12:13], v[8:9], 0, s[16:17]
	s_mov_b64 s[16:17], 0x200
	v_lshl_add_u64 v[10:11], v[12:13], 0, s[16:17]
	s_and_b64 vcc, exec, s[30:31]
	s_barrier
	s_cbranch_vccz .LBB52_78
; %bb.61:
	v_or_b32_e32 v7, 32, v4
	v_lshlrev_b32_e32 v8, 4, v7
	v_sub_co_u32_e32 v8, vcc, v10, v8
	s_ashr_i32 s21, s20, 31
	s_nop 0
	v_subbrev_co_u32_e32 v9, vcc, 0, v11, vcc
	v_lshl_add_u64 v[8:9], s[20:21], 4, v[8:9]
	v_lshl_add_u64 v[8:9], v[8:9], 0, -16
	v_cmp_gt_i32_e32 vcc, s20, v7
	s_sub_i32 s36, s20, 32
	v_cmp_le_i32_e64 s[16:17], s36, v14
	v_cndmask_b32_e32 v9, v9, v11, vcc
	v_cndmask_b32_e32 v8, v8, v10, vcc
	v_add_lshl_u32 v7, v5, v4, 4
	s_and_saveexec_b64 s[38:39], s[16:17]
	s_xor_b64 s[16:17], exec, s[38:39]
	s_cbranch_execz .LBB52_63
; %bb.62:
	v_mov_b32_e32 v24, 0
	v_mov_b32_e32 v25, v24
	;; [unrolled: 1-line block ×4, first 2 shown]
	ds_write_b128 v7, v[24:27]
.LBB52_63:
	s_andn2_saveexec_b64 s[16:17], s[16:17]
	s_cbranch_execz .LBB52_65
; %bb.64:
	flat_load_dwordx4 v[24:27], v[8:9]
	s_waitcnt vmcnt(0) lgkmcnt(0)
	ds_write2_b64 v7, v[24:25], v[26:27] offset1:1
.LBB52_65:
	s_or_b64 exec, exec, s[16:17]
	v_add_u32_e32 v23, 8, v14
	v_cmp_le_i32_e64 s[16:17], s36, v23
	s_and_saveexec_b64 s[38:39], s[16:17]
	s_xor_b64 s[16:17], exec, s[38:39]
	s_cbranch_execz .LBB52_67
; %bb.66:
	v_mul_u32_u24_e32 v23, 33, v23
	v_mov_b32_e32 v24, 0
	v_add_lshl_u32 v23, v23, v4, 4
	v_mov_b32_e32 v25, v24
	v_mov_b32_e32 v26, v24
	;; [unrolled: 1-line block ×3, first 2 shown]
	ds_write_b128 v23, v[24:27]
.LBB52_67:
	s_andn2_saveexec_b64 s[16:17], s[16:17]
	s_cbranch_execz .LBB52_69
; %bb.68:
	s_lshl_b64 s[38:39], s[24:25], 7
	v_lshl_add_u64 v[24:25], v[8:9], 0, s[38:39]
	flat_load_dwordx4 v[24:27], v[24:25]
	v_add_u32_e32 v23, 0x1080, v7
	s_waitcnt vmcnt(0) lgkmcnt(0)
	ds_write2_b64 v23, v[24:25], v[26:27] offset1:1
.LBB52_69:
	s_or_b64 exec, exec, s[16:17]
	v_add_u32_e32 v23, 16, v14
	v_cmp_le_i32_e64 s[16:17], s36, v23
	s_and_saveexec_b64 s[38:39], s[16:17]
	s_xor_b64 s[16:17], exec, s[38:39]
	s_cbranch_execz .LBB52_71
; %bb.70:
	v_mov_b32_e32 v24, 0
	v_mov_b32_e32 v25, v24
	;; [unrolled: 1-line block ×4, first 2 shown]
	ds_write_b128 v7, v[24:27] offset:8448
.LBB52_71:
	s_andn2_saveexec_b64 s[16:17], s[16:17]
	s_cbranch_execz .LBB52_73
; %bb.72:
	s_lshl_b64 s[38:39], s[24:25], 8
	v_lshl_add_u64 v[24:25], v[8:9], 0, s[38:39]
	flat_load_dwordx4 v[24:27], v[24:25]
	v_add_u32_e32 v23, 0x2100, v7
	s_waitcnt vmcnt(0) lgkmcnt(0)
	ds_write2_b64 v23, v[24:25], v[26:27] offset1:1
.LBB52_73:
	s_or_b64 exec, exec, s[16:17]
	v_add_u32_e32 v23, 24, v14
	v_cmp_le_i32_e64 s[16:17], s36, v23
	s_and_saveexec_b64 s[36:37], s[16:17]
	s_xor_b64 s[16:17], exec, s[36:37]
	s_cbranch_execz .LBB52_75
; %bb.74:
	v_mov_b32_e32 v24, 0
	v_mov_b32_e32 v25, v24
	;; [unrolled: 1-line block ×4, first 2 shown]
	ds_write_b128 v7, v[24:27] offset:12672
                                        ; implicit-def: $vgpr7
.LBB52_75:
	s_andn2_saveexec_b64 s[16:17], s[16:17]
	s_cbranch_execz .LBB52_77
; %bb.76:
	v_mov_b32_e32 v23, 0x180
	v_mad_u64_u32 v[24:25], s[36:37], s24, v23, v[8:9]
	v_add_u32_e32 v25, s35, v25
	flat_load_dwordx4 v[24:27], v[24:25]
	v_add_u32_e32 v7, 0x3180, v7
	s_waitcnt vmcnt(0) lgkmcnt(0)
	ds_write2_b64 v7, v[24:25], v[26:27] offset1:1
.LBB52_77:
	s_or_b64 exec, exec, s[16:17]
	v_mov_b32_e32 v7, 0
	v_lshl_add_u64 v[8:9], v[8:9], 0, v[6:7]
	s_lshl_b64 s[16:17], s[20:21], 4
	v_mov_b32_e32 v7, s17
	v_subrev_co_u32_e64 v8, s[16:17], s16, v8
	s_nop 1
	v_subb_co_u32_e64 v9, s[16:17], v9, v7, s[16:17]
	s_mov_b64 s[16:17], 0x210
	s_nop 0
	v_lshl_add_u64 v[8:9], v[8:9], 0, s[16:17]
	v_cndmask_b32_e32 v9, v9, v11, vcc
	v_cndmask_b32_e32 v8, v8, v10, vcc
	s_branch .LBB52_80
.LBB52_78:
                                        ; implicit-def: $vgpr8_vgpr9
	s_cbranch_execz .LBB52_80
; %bb.79:
	flat_load_dwordx4 v[24:27], v[10:11]
	v_add_lshl_u32 v7, v5, v4, 4
	s_lshl_b64 s[16:17], s[24:25], 7
	v_lshl_add_u64 v[8:9], v[12:13], 0, s[16:17]
	v_add_u32_e32 v23, 0x1080, v7
	s_waitcnt vmcnt(0) lgkmcnt(0)
	ds_write2_b64 v7, v[24:25], v[26:27] offset1:1
	flat_load_dwordx4 v[24:27], v[8:9] offset:512
	v_lshl_add_u64 v[8:9], v[8:9], 0, s[16:17]
	s_waitcnt vmcnt(0) lgkmcnt(0)
	ds_write2_b64 v23, v[24:25], v[26:27] offset1:1
	flat_load_dwordx4 v[24:27], v[8:9] offset:512
	v_mov_b32_e32 v8, 0x180
	v_add_u32_e32 v23, 0x2100, v7
	v_mad_u64_u32 v[8:9], s[16:17], s24, v8, v[12:13]
	v_add_u32_e32 v9, s35, v9
	v_add_u32_e32 v7, 0x3180, v7
	s_waitcnt vmcnt(0) lgkmcnt(0)
	ds_write2_b64 v23, v[24:25], v[26:27] offset1:1
	flat_load_dwordx4 v[24:27], v[8:9] offset:512
	v_mov_b64_e32 v[8:9], v[10:11]
	s_waitcnt vmcnt(0) lgkmcnt(0)
	ds_write2_b64 v7, v[24:25], v[26:27] offset1:1
.LBB52_80:
	s_waitcnt lgkmcnt(0)
	s_barrier
	s_and_saveexec_b64 s[16:17], s[6:7]
	s_xor_b64 s[6:7], exec, s[16:17]
	s_cbranch_execnz .LBB52_109
; %bb.81:
	s_andn2_saveexec_b64 s[6:7], s[6:7]
	s_cbranch_execnz .LBB52_112
.LBB52_82:
	s_or_b64 exec, exec, s[6:7]
	s_and_saveexec_b64 s[6:7], s[8:9]
	s_xor_b64 s[6:7], exec, s[6:7]
	s_cbranch_execnz .LBB52_113
.LBB52_83:
	s_andn2_saveexec_b64 s[6:7], s[6:7]
	s_cbranch_execnz .LBB52_114
.LBB52_84:
	s_or_b64 exec, exec, s[6:7]
	s_and_saveexec_b64 s[6:7], s[10:11]
	s_xor_b64 s[6:7], exec, s[6:7]
	s_cbranch_execnz .LBB52_117
.LBB52_85:
	s_andn2_saveexec_b64 s[6:7], s[6:7]
	s_cbranch_execnz .LBB52_120
.LBB52_86:
	s_or_b64 exec, exec, s[6:7]
	s_and_saveexec_b64 s[6:7], s[12:13]
	s_xor_b64 s[6:7], exec, s[6:7]
	s_cbranch_execnz .LBB52_121
.LBB52_87:
	s_or_saveexec_b64 s[6:7], s[6:7]
	v_add_u32_e32 v18, 0x4700, v22
	s_xor_b64 exec, exec, s[6:7]
	s_cbranch_execz .LBB52_89
.LBB52_88:
	ds_read_b128 v[10:13], v45 offset:1056
	s_waitcnt lgkmcnt(0)
	v_xor_b32_e32 v13, 0x80000000, v13
	ds_write_b128 v17, v[10:13] offset:48
.LBB52_89:
	s_or_b64 exec, exec, s[6:7]
	s_waitcnt lgkmcnt(0)
	s_barrier
	ds_read_b128 v[10:13], v18 offset:512
	ds_read_b128 v[20:23], v16
	ds_read_b128 v[24:27], v18 offset:528
	ds_read_b128 v[28:31], v18 offset:544
	v_cmp_eq_u32_e64 s[6:7], 1, v14
	s_waitcnt lgkmcnt(2)
	v_mul_f64 v[32:33], v[12:13], v[22:23]
	v_fma_f64 v[40:41], v[10:11], v[20:21], -v[32:33]
	ds_read_b128 v[32:35], v18 offset:560
	ds_read_b128 v[46:49], v45
	v_mul_f64 v[10:11], v[10:11], v[22:23]
	v_fmac_f64_e32 v[10:11], v[12:13], v[20:21]
	v_add_f64 v[22:23], v[10:11], 0
	v_add_f64 v[20:21], v[40:41], 0
	s_waitcnt lgkmcnt(0)
	v_mul_f64 v[10:11], v[26:27], v[48:49]
	v_fma_f64 v[40:41], v[24:25], v[46:47], -v[10:11]
	v_mul_f64 v[24:25], v[24:25], v[48:49]
	ds_read_b128 v[10:13], v45 offset:528
	v_fmac_f64_e32 v[24:25], v[26:27], v[46:47]
	v_add_f64 v[26:27], v[20:21], v[40:41]
	v_add_f64 v[24:25], v[22:23], v[24:25]
	ds_read_b128 v[20:23], v45 offset:1056
	s_waitcnt lgkmcnt(1)
	v_mul_f64 v[40:41], v[30:31], v[12:13]
	v_mul_f64 v[12:13], v[28:29], v[12:13]
	v_fmac_f64_e32 v[12:13], v[30:31], v[10:11]
	v_fma_f64 v[40:41], v[28:29], v[10:11], -v[40:41]
	v_add_f64 v[12:13], v[24:25], v[12:13]
	s_waitcnt lgkmcnt(0)
	v_mul_f64 v[24:25], v[34:35], v[22:23]
	v_mul_f64 v[22:23], v[32:33], v[22:23]
	v_add_f64 v[10:11], v[26:27], v[40:41]
	v_fma_f64 v[24:25], v[32:33], v[20:21], -v[24:25]
	v_fmac_f64_e32 v[22:23], v[34:35], v[20:21]
	v_add_f64 v[10:11], v[10:11], v[24:25]
	v_add_f64 v[12:13], v[12:13], v[22:23]
	s_barrier
	ds_write_b128 v44, v[10:13]
	s_waitcnt lgkmcnt(0)
	s_barrier
	s_and_saveexec_b64 s[8:9], s[6:7]
	s_cbranch_execz .LBB52_91
; %bb.90:
	ds_read_b128 v[0:3], v43
	ds_read_b128 v[10:13], v43 offset:16
	ds_read_b128 v[20:23], v43 offset:32
	;; [unrolled: 1-line block ×3, first 2 shown]
	s_waitcnt lgkmcnt(2)
	v_add_f64 v[0:1], v[10:11], v[0:1]
	v_add_f64 v[10:11], v[12:13], v[2:3]
	s_waitcnt lgkmcnt(1)
	v_add_f64 v[12:13], v[0:1], v[20:21]
	ds_read_b128 v[0:3], v43 offset:64
	v_add_f64 v[10:11], v[10:11], v[22:23]
	s_waitcnt lgkmcnt(1)
	v_add_f64 v[20:21], v[12:13], v[24:25]
	v_add_f64 v[24:25], v[10:11], v[26:27]
	ds_read_b128 v[10:13], v43 offset:80
	s_waitcnt lgkmcnt(1)
	v_add_f64 v[26:27], v[20:21], v[0:1]
	ds_read_b128 v[20:23], v43 offset:96
	v_add_f64 v[24:25], v[24:25], v[2:3]
	ds_read_b128 v[0:3], v43 offset:112
	s_waitcnt lgkmcnt(2)
	v_add_f64 v[10:11], v[26:27], v[10:11]
	v_add_f64 v[12:13], v[24:25], v[12:13]
	s_waitcnt lgkmcnt(1)
	v_add_f64 v[10:11], v[10:11], v[20:21]
	v_add_f64 v[12:13], v[12:13], v[22:23]
	;; [unrolled: 3-line block ×3, first 2 shown]
.LBB52_91:
	s_or_b64 exec, exec, s[8:9]
	s_movk_i32 s8, 0xfe00
	s_mov_b32 s9, -1
	v_lshl_add_u64 v[8:9], v[8:9], 0, s[8:9]
	s_and_b64 vcc, exec, s[30:31]
	s_barrier
	s_cbranch_vccz .LBB52_124
; %bb.92:
	v_sub_co_u32_e32 v10, vcc, v8, v6
	s_ashr_i32 s21, s20, 31
	s_nop 0
	v_subbrev_co_u32_e32 v11, vcc, 0, v9, vcc
	v_lshl_add_u64 v[10:11], s[20:21], 4, v[10:11]
	v_lshl_add_u64 v[10:11], v[10:11], 0, -16
	v_cmp_gt_i32_e32 vcc, s20, v4
	s_sub_i32 s10, s20, 32
	v_cmp_le_i32_e64 s[8:9], s10, v14
	v_cndmask_b32_e32 v11, v11, v9, vcc
	v_cndmask_b32_e32 v10, v10, v8, vcc
	v_add_lshl_u32 v7, v5, v4, 4
	s_and_saveexec_b64 s[12:13], s[8:9]
	s_xor_b64 s[8:9], exec, s[12:13]
	s_cbranch_execz .LBB52_94
; %bb.93:
	v_mov_b32_e32 v20, 0
	v_mov_b32_e32 v21, v20
	;; [unrolled: 1-line block ×4, first 2 shown]
	ds_write_b128 v7, v[20:23]
.LBB52_94:
	s_andn2_saveexec_b64 s[8:9], s[8:9]
	s_cbranch_execz .LBB52_96
; %bb.95:
	flat_load_dwordx4 v[20:23], v[10:11]
	s_waitcnt vmcnt(0) lgkmcnt(0)
	ds_write2_b64 v7, v[20:21], v[22:23] offset1:1
.LBB52_96:
	s_or_b64 exec, exec, s[8:9]
	v_add_u32_e32 v12, 8, v14
	v_cmp_le_i32_e64 s[8:9], s10, v12
	s_and_saveexec_b64 s[12:13], s[8:9]
	s_xor_b64 s[8:9], exec, s[12:13]
	s_cbranch_execz .LBB52_98
; %bb.97:
	v_mul_u32_u24_e32 v13, 33, v12
	v_mov_b32_e32 v20, 0
	v_add_lshl_u32 v13, v13, v4, 4
	v_mov_b32_e32 v21, v20
	v_mov_b32_e32 v22, v20
	;; [unrolled: 1-line block ×3, first 2 shown]
	ds_write_b128 v13, v[20:23]
.LBB52_98:
	s_andn2_saveexec_b64 s[8:9], s[8:9]
	s_cbranch_execz .LBB52_100
; %bb.99:
	s_lshl_b64 s[12:13], s[24:25], 7
	v_lshl_add_u64 v[20:21], v[10:11], 0, s[12:13]
	flat_load_dwordx4 v[20:23], v[20:21]
	v_add_u32_e32 v13, 0x1080, v7
	s_waitcnt vmcnt(0) lgkmcnt(0)
	ds_write2_b64 v13, v[20:21], v[22:23] offset1:1
.LBB52_100:
	s_or_b64 exec, exec, s[8:9]
	v_add_u32_e32 v13, 16, v14
	v_cmp_le_i32_e64 s[8:9], s10, v13
	s_and_saveexec_b64 s[12:13], s[8:9]
	s_xor_b64 s[8:9], exec, s[12:13]
	s_cbranch_execz .LBB52_102
; %bb.101:
	v_mov_b32_e32 v20, 0
	v_mov_b32_e32 v21, v20
	;; [unrolled: 1-line block ×4, first 2 shown]
	ds_write_b128 v7, v[20:23] offset:8448
.LBB52_102:
	s_andn2_saveexec_b64 s[8:9], s[8:9]
	s_cbranch_execz .LBB52_104
; %bb.103:
	s_lshl_b64 s[12:13], s[24:25], 8
	v_lshl_add_u64 v[20:21], v[10:11], 0, s[12:13]
	flat_load_dwordx4 v[20:23], v[20:21]
	v_add_u32_e32 v17, 0x2100, v7
	s_waitcnt vmcnt(0) lgkmcnt(0)
	ds_write2_b64 v17, v[20:21], v[22:23] offset1:1
.LBB52_104:
	s_or_b64 exec, exec, s[8:9]
	v_add_u32_e32 v17, 24, v14
	v_cmp_le_i32_e64 s[8:9], s10, v17
	s_and_saveexec_b64 s[10:11], s[8:9]
	s_xor_b64 s[8:9], exec, s[10:11]
	s_cbranch_execz .LBB52_106
; %bb.105:
	v_mov_b32_e32 v20, 0
	v_mov_b32_e32 v21, v20
	;; [unrolled: 1-line block ×4, first 2 shown]
	ds_write_b128 v7, v[20:23] offset:12672
                                        ; implicit-def: $vgpr7
.LBB52_106:
	s_andn2_saveexec_b64 s[8:9], s[8:9]
	s_cbranch_execz .LBB52_108
; %bb.107:
	v_mov_b32_e32 v19, 0x180
	v_mad_u64_u32 v[20:21], s[10:11], s24, v19, v[10:11]
	v_add_u32_e32 v21, s35, v21
	flat_load_dwordx4 v[20:23], v[20:21]
	v_add_u32_e32 v7, 0x3180, v7
	s_waitcnt vmcnt(0) lgkmcnt(0)
	ds_write2_b64 v7, v[20:21], v[22:23] offset1:1
.LBB52_108:
	s_or_b64 exec, exec, s[8:9]
	v_mov_b32_e32 v7, 0
	v_lshl_add_u64 v[6:7], v[10:11], 0, v[6:7]
	s_lshl_b64 s[8:9], s[20:21], 4
	v_mov_b32_e32 v10, s9
	v_subrev_co_u32_e64 v6, s[8:9], s8, v6
	s_nop 1
	v_subb_co_u32_e64 v7, s[8:9], v7, v10, s[8:9]
	v_lshl_add_u64 v[6:7], v[6:7], 0, 16
	v_cndmask_b32_e32 v41, v7, v9, vcc
	v_cndmask_b32_e32 v40, v6, v8, vcc
	s_branch .LBB52_126
.LBB52_109:
	v_cmp_eq_u32_e32 vcc, v19, v4
	s_and_saveexec_b64 s[16:17], vcc
	s_cbranch_execz .LBB52_111
; %bb.110:
	v_mul_u32_u24_e32 v7, 34, v4
	v_mov_b32_e32 v10, 0
	v_lshlrev_b32_e32 v7, 4, v7
	v_mov_b32_e32 v11, v10
	ds_write_b64 v7, v[10:11] offset:8
.LBB52_111:
	s_or_b64 exec, exec, s[16:17]
	s_andn2_saveexec_b64 s[6:7], s[6:7]
	s_cbranch_execz .LBB52_82
.LBB52_112:
	ds_read_b128 v[10:13], v16
	s_waitcnt lgkmcnt(0)
	v_xor_b32_e32 v13, 0x80000000, v13
	ds_write_b128 v17, v[10:13]
	s_or_b64 exec, exec, s[6:7]
	s_and_saveexec_b64 s[6:7], s[8:9]
	s_xor_b64 s[6:7], exec, s[6:7]
	s_cbranch_execz .LBB52_83
.LBB52_113:
	ds_read_b128 v[10:13], v45
                                        ; implicit-def: $vgpr18
	s_waitcnt lgkmcnt(0)
	v_xor_b32_e32 v13, 0x80000000, v13
	ds_write_b128 v17, v[10:13] offset:16
	s_andn2_saveexec_b64 s[6:7], s[6:7]
	s_cbranch_execz .LBB52_84
.LBB52_114:
	v_cmp_eq_u32_e32 vcc, v18, v4
	s_and_saveexec_b64 s[8:9], vcc
	s_cbranch_execz .LBB52_116
; %bb.115:
	v_mul_u32_u24_e32 v7, 34, v4
	v_mov_b32_e32 v10, 0
	v_lshlrev_b32_e32 v7, 4, v7
	v_mov_b32_e32 v11, v10
	ds_write_b64 v7, v[10:11] offset:8
.LBB52_116:
	s_or_b64 exec, exec, s[8:9]
	s_or_b64 exec, exec, s[6:7]
	s_and_saveexec_b64 s[6:7], s[10:11]
	s_xor_b64 s[6:7], exec, s[6:7]
	s_cbranch_execz .LBB52_85
.LBB52_117:
	v_cmp_eq_u32_e32 vcc, v20, v4
	s_and_saveexec_b64 s[8:9], vcc
	s_cbranch_execz .LBB52_119
; %bb.118:
	v_mul_u32_u24_e32 v7, 34, v4
	v_mov_b32_e32 v10, 0
	v_lshlrev_b32_e32 v7, 4, v7
	v_mov_b32_e32 v11, v10
	ds_write_b64 v7, v[10:11] offset:8
.LBB52_119:
	s_or_b64 exec, exec, s[8:9]
	s_andn2_saveexec_b64 s[6:7], s[6:7]
	s_cbranch_execz .LBB52_86
.LBB52_120:
	ds_read_b128 v[10:13], v45 offset:528
	s_waitcnt lgkmcnt(0)
	v_xor_b32_e32 v13, 0x80000000, v13
	ds_write_b128 v17, v[10:13] offset:32
	s_or_b64 exec, exec, s[6:7]
	s_and_saveexec_b64 s[6:7], s[12:13]
	s_xor_b64 s[6:7], exec, s[6:7]
	s_cbranch_execz .LBB52_87
.LBB52_121:
	v_cmp_eq_u32_e32 vcc, v21, v4
	s_and_saveexec_b64 s[8:9], vcc
	s_cbranch_execz .LBB52_123
; %bb.122:
	v_mul_u32_u24_e32 v7, 34, v4
	v_mov_b32_e32 v10, 0
	v_lshlrev_b32_e32 v7, 4, v7
	v_mov_b32_e32 v11, v10
	ds_write_b64 v7, v[10:11] offset:8
.LBB52_123:
	s_or_b64 exec, exec, s[8:9]
                                        ; implicit-def: $vgpr17
	s_or_saveexec_b64 s[6:7], s[6:7]
	v_add_u32_e32 v18, 0x4700, v22
	s_xor_b64 exec, exec, s[6:7]
	s_cbranch_execnz .LBB52_88
	s_branch .LBB52_89
.LBB52_124:
                                        ; implicit-def: $vgpr40_vgpr41
                                        ; implicit-def: $vgpr12
                                        ; implicit-def: $vgpr13
                                        ; implicit-def: $vgpr17
	s_cbranch_execz .LBB52_126
; %bb.125:
	flat_load_dwordx4 v[10:13], v[8:9]
	v_add_lshl_u32 v19, v5, v4, 4
	s_lshl_b64 s[8:9], s[24:25], 7
	v_lshl_add_u64 v[20:21], v[8:9], 0, s[8:9]
	v_add_u32_e32 v17, 24, v14
	v_mov_b64_e32 v[40:41], v[8:9]
	s_waitcnt vmcnt(0) lgkmcnt(0)
	ds_write2_b64 v19, v[10:11], v[12:13] offset1:1
	flat_load_dwordx4 v[4:7], v[20:21]
	v_add_u32_e32 v12, 0x1080, v19
	v_lshl_add_u64 v[10:11], v[20:21], 0, s[8:9]
	v_add_u32_e32 v13, 16, v14
	s_waitcnt vmcnt(0) lgkmcnt(0)
	ds_write2_b64 v12, v[4:5], v[6:7] offset1:1
	flat_load_dwordx4 v[4:7], v[10:11]
	v_mov_b32_e32 v10, 0x180
	v_add_u32_e32 v12, 0x2100, v19
	v_mad_u64_u32 v[10:11], s[8:9], s24, v10, v[8:9]
	v_add_u32_e32 v11, s35, v11
	s_waitcnt vmcnt(0) lgkmcnt(0)
	ds_write2_b64 v12, v[4:5], v[6:7] offset1:1
	flat_load_dwordx4 v[4:7], v[10:11]
	v_add_u32_e32 v12, 8, v14
	v_add_u32_e32 v10, 0x3180, v19
	s_waitcnt vmcnt(0) lgkmcnt(0)
	ds_write2_b64 v10, v[4:5], v[6:7] offset1:1
.LBB52_126:
	v_lshlrev_b32_e32 v4, 4, v14
	s_waitcnt lgkmcnt(0)
	s_barrier
	ds_read_b128 v[46:49], v44
	ds_read_b128 v[50:53], v4 offset:18176
	v_add_lshl_u32 v4, v12, v15, 4
	v_lshlrev_b32_e32 v5, 4, v12
	ds_read_b128 v[54:57], v4
	ds_read_b128 v[58:61], v5 offset:18176
	s_waitcnt lgkmcnt(2)
	v_mul_f64 v[4:5], v[48:49], v[52:53]
	v_fmac_f64_e32 v[4:5], v[46:47], v[50:51]
	v_add_f64 v[4:5], v[4:5], 0
	s_waitcnt lgkmcnt(0)
	v_mul_f64 v[6:7], v[56:57], v[60:61]
	v_fmac_f64_e32 v[6:7], v[54:55], v[58:59]
	v_add_f64 v[4:5], v[4:5], v[6:7]
	v_add_lshl_u32 v6, v13, v15, 4
	v_mul_f64 v[70:71], v[48:49], v[50:51]
	v_mul_f64 v[72:73], v[56:57], v[58:59]
	v_lshlrev_b32_e32 v7, 4, v13
	ds_read_b128 v[48:51], v6
	ds_read_b128 v[56:59], v7 offset:18176
	v_add_lshl_u32 v6, v17, v15, 4
	v_lshlrev_b32_e32 v7, 4, v17
	ds_read_b128 v[62:65], v6
	ds_read_b128 v[66:69], v7 offset:18176
	v_fma_f64 v[46:47], v[46:47], v[52:53], -v[70:71]
	s_waitcnt lgkmcnt(2)
	v_mul_f64 v[6:7], v[50:51], v[58:59]
	v_fmac_f64_e32 v[6:7], v[48:49], v[56:57]
	v_add_f64 v[4:5], v[4:5], v[6:7]
	s_waitcnt lgkmcnt(0)
	v_mul_f64 v[6:7], v[64:65], v[68:69]
	v_fmac_f64_e32 v[6:7], v[62:63], v[66:67]
	v_mul_f64 v[56:57], v[50:51], v[56:57]
	v_add_f64 v[50:51], v[4:5], v[6:7]
	ds_read_b128 v[20:23], v18 offset:528
	ds_read_b128 v[12:15], v18 offset:544
	;; [unrolled: 1-line block ×3, first 2 shown]
	ds_read_b128 v[32:35], v16
	ds_read_b128 v[4:7], v18 offset:560
	ds_read_b128 v[24:27], v45
	ds_read_b128 v[16:19], v45 offset:528
	ds_read_b128 v[8:11], v45 offset:1056
	v_add_f64 v[46:47], v[46:47], 0
	v_fma_f64 v[52:53], v[54:55], v[60:61], -v[72:73]
	v_mul_f64 v[64:65], v[64:65], v[66:67]
	v_add_f64 v[46:47], v[46:47], v[52:53]
	v_fma_f64 v[48:49], v[48:49], v[58:59], -v[56:57]
	v_add_f64 v[46:47], v[46:47], v[48:49]
	v_fma_f64 v[48:49], v[62:63], v[68:69], -v[64:65]
	v_add_f64 v[52:53], v[46:47], v[48:49]
	s_waitcnt lgkmcnt(0)
	s_barrier
	ds_write_b128 v44, v[50:53]
	s_waitcnt lgkmcnt(0)
	s_barrier
	s_and_saveexec_b64 s[8:9], s[6:7]
	s_cbranch_execz .LBB52_128
; %bb.127:
	ds_read_b128 v[46:49], v43
	ds_read_b128 v[50:53], v43 offset:16
	ds_read_b128 v[54:57], v43 offset:32
	;; [unrolled: 1-line block ×3, first 2 shown]
	s_waitcnt lgkmcnt(3)
	v_add_f64 v[0:1], v[0:1], v[46:47]
	v_add_f64 v[2:3], v[2:3], v[48:49]
	s_waitcnt lgkmcnt(2)
	v_add_f64 v[0:1], v[0:1], v[50:51]
	v_add_f64 v[46:47], v[2:3], v[52:53]
	s_waitcnt lgkmcnt(1)
	v_add_f64 v[48:49], v[0:1], v[54:55]
	ds_read_b128 v[0:3], v43 offset:64
	v_add_f64 v[46:47], v[46:47], v[56:57]
	s_waitcnt lgkmcnt(1)
	v_add_f64 v[50:51], v[48:49], v[58:59]
	v_add_f64 v[54:55], v[46:47], v[60:61]
	ds_read_b128 v[46:49], v43 offset:80
	s_waitcnt lgkmcnt(1)
	v_add_f64 v[56:57], v[50:51], v[0:1]
	ds_read_b128 v[50:53], v43 offset:96
	v_add_f64 v[54:55], v[54:55], v[2:3]
	ds_read_b128 v[0:3], v43 offset:112
	s_waitcnt lgkmcnt(2)
	v_add_f64 v[46:47], v[56:57], v[46:47]
	v_add_f64 v[48:49], v[54:55], v[48:49]
	s_waitcnt lgkmcnt(1)
	v_add_f64 v[46:47], v[46:47], v[50:51]
	v_add_f64 v[48:49], v[48:49], v[52:53]
	;; [unrolled: 3-line block ×3, first 2 shown]
.LBB52_128:
	s_or_b64 exec, exec, s[8:9]
	v_mul_f64 v[46:47], v[30:31], v[34:35]
	v_fma_f64 v[46:47], v[28:29], v[32:33], -v[46:47]
	v_mul_f64 v[28:29], v[28:29], v[34:35]
	v_fmac_f64_e32 v[28:29], v[30:31], v[32:33]
	v_mul_f64 v[32:33], v[22:23], v[26:27]
	v_fma_f64 v[32:33], v[20:21], v[24:25], -v[32:33]
	v_mul_f64 v[20:21], v[20:21], v[26:27]
	v_fmac_f64_e32 v[20:21], v[22:23], v[24:25]
	v_mul_f64 v[24:25], v[14:15], v[18:19]
	v_add_f64 v[30:31], v[46:47], 0
	v_add_f64 v[28:29], v[28:29], 0
	v_fma_f64 v[24:25], v[12:13], v[16:17], -v[24:25]
	v_mul_f64 v[12:13], v[12:13], v[18:19]
	v_add_f64 v[22:23], v[30:31], v[32:33]
	v_add_f64 v[20:21], v[28:29], v[20:21]
	v_fmac_f64_e32 v[12:13], v[14:15], v[16:17]
	v_mul_f64 v[16:17], v[6:7], v[10:11]
	v_mul_f64 v[10:11], v[4:5], v[10:11]
	v_add_f64 v[14:15], v[22:23], v[24:25]
	v_add_f64 v[12:13], v[20:21], v[12:13]
	v_fma_f64 v[16:17], v[4:5], v[8:9], -v[16:17]
	v_fmac_f64_e32 v[10:11], v[6:7], v[8:9]
	v_add_f64 v[4:5], v[14:15], v[16:17]
	v_add_f64 v[6:7], v[12:13], v[10:11]
	s_barrier
	ds_write_b128 v44, v[4:7]
	s_waitcnt lgkmcnt(0)
	s_barrier
	s_and_saveexec_b64 s[6:7], s[14:15]
	s_cbranch_execz .LBB52_130
; %bb.129:
	ds_read_b128 v[4:7], v43
	ds_read_b128 v[8:11], v43 offset:16
	ds_read_b128 v[12:15], v43 offset:32
	;; [unrolled: 1-line block ×3, first 2 shown]
	s_waitcnt lgkmcnt(3)
	v_add_f64 v[0:1], v[0:1], v[4:5]
	v_add_f64 v[2:3], v[2:3], v[6:7]
	s_waitcnt lgkmcnt(2)
	v_add_f64 v[0:1], v[0:1], v[8:9]
	v_add_f64 v[4:5], v[2:3], v[10:11]
	s_waitcnt lgkmcnt(1)
	v_add_f64 v[6:7], v[0:1], v[12:13]
	ds_read_b128 v[0:3], v43 offset:64
	v_add_f64 v[4:5], v[4:5], v[14:15]
	s_waitcnt lgkmcnt(1)
	v_add_f64 v[8:9], v[6:7], v[16:17]
	v_add_f64 v[12:13], v[4:5], v[18:19]
	ds_read_b128 v[4:7], v43 offset:80
	s_waitcnt lgkmcnt(1)
	v_add_f64 v[14:15], v[8:9], v[0:1]
	ds_read_b128 v[8:11], v43 offset:96
	v_add_f64 v[12:13], v[12:13], v[2:3]
	ds_read_b128 v[0:3], v43 offset:112
	s_waitcnt lgkmcnt(2)
	v_add_f64 v[4:5], v[14:15], v[4:5]
	v_add_f64 v[6:7], v[12:13], v[6:7]
	s_waitcnt lgkmcnt(1)
	v_add_f64 v[4:5], v[4:5], v[8:9]
	v_add_f64 v[6:7], v[6:7], v[10:11]
	;; [unrolled: 3-line block ×3, first 2 shown]
.LBB52_130:
	s_or_b64 exec, exec, s[6:7]
	s_load_dwordx2 s[0:1], s[0:1], 0x78
	s_mul_hi_u32 s6, s33, s26
	s_mul_i32 s34, s34, s26
	s_add_i32 s6, s6, s34
	s_mul_i32 s8, s33, s26
	s_mul_i32 s6, s6, s3
	s_mul_hi_u32 s7, s8, s3
	s_add_i32 s7, s7, s6
	s_mul_i32 s6, s8, s3
	s_lshl_b64 s[6:7], s[6:7], 4
	s_waitcnt lgkmcnt(0)
	s_add_u32 s6, s0, s6
	s_addc_u32 s7, s1, s7
	s_mul_hi_i32 s1, s33, s2
	s_mul_i32 s0, s33, s2
	s_lshl_b64 s[0:1], s[0:1], 4
	s_add_u32 s8, s6, s0
	s_addc_u32 s9, s7, s1
	s_add_i32 s0, s2, 1
	s_cmp_ge_u32 s0, s3
	v_lshlrev_b32_e32 v168, 4, v204
	s_barrier
	s_cbranch_scc1 .LBB52_188
; %bb.131:
	s_mul_i32 s0, s28, s19
	s_mul_hi_u32 s1, s28, s18
	s_add_i32 s0, s1, s0
	s_mul_i32 s1, s29, s18
	s_add_i32 s1, s0, s1
	s_mul_i32 s0, s28, s18
	s_lshl_b64 s[0:1], s[0:1], 4
	v_mov_b32_e32 v4, s1
	v_subrev_co_u32_e32 v170, vcc, s0, v36
	v_and_b32_e32 v6, 48, v204
	s_nop 0
	v_subb_co_u32_e32 v171, vcc, v37, v4, vcc
	v_and_b32_e32 v4, 15, v204
	v_lshlrev_b32_e32 v7, 4, v6
	s_movk_i32 s0, 0x430
	v_lshrrev_b32_e32 v5, 4, v42
	v_mad_u32_u24 v209, v4, s0, v7
	v_or_b32_e32 v7, 0xf0, v168
	v_mad_u32_u24 v210, v4, s0, v7
	v_lshlrev_b32_e32 v7, 6, v5
	v_lshlrev_b32_e32 v12, 6, v205
	v_mad_u32_u24 v211, v4, s0, v7
	s_movk_i32 s0, 0x10c0
	v_mul_i32_i24_e32 v13, 0xffffffd0, v5
	v_add_u32_e32 v5, 0x220, v12
	v_mad_u32_u24 v216, v205, s0, v168
	v_or_b32_e32 v229, v6, v4
	v_mad_u64_u32 v[6:7], s[0:1], s24, v5, 0
	v_mov_b32_e32 v8, v7
	v_mad_u64_u32 v[8:9], s[0:1], s25, v5, v[8:9]
	v_mov_b32_e32 v5, v8
	v_lshlrev_b64 v[8:9], 4, v[38:39]
	v_sub_co_u32_e32 v6, vcc, v6, v8
	v_lshlrev_b32_e32 v206, 2, v205
	s_nop 0
	v_subb_co_u32_e32 v7, vcc, v5, v9, vcc
	v_add_u32_e32 v5, 0x530, v12
	v_lshl_add_u64 v[172:173], v[40:41], 0, v[6:7]
	v_mad_u64_u32 v[6:7], s[0:1], s24, v5, 0
	v_mov_b32_e32 v10, v7
	v_mad_u64_u32 v[10:11], s[0:1], s25, v5, v[10:11]
	v_mov_b32_e32 v5, v10
	v_sub_co_u32_e32 v6, vcc, v6, v8
	v_mov_b32_e32 v4, 0
	s_nop 0
	v_subb_co_u32_e32 v7, vcc, v5, v9, vcc
	v_add_u32_e32 v5, 0x210, v12
	v_lshl_add_u64 v[174:175], v[40:41], 0, v[6:7]
	v_mad_u64_u32 v[6:7], s[0:1], s24, v5, 0
	v_mov_b32_e32 v10, v7
	v_mad_u64_u32 v[10:11], s[0:1], s25, v5, v[10:11]
	v_mov_b32_e32 v5, v10
	v_sub_co_u32_e32 v6, vcc, v6, v8
	s_add_i32 s21, s3, -2
	s_nop 0
	v_subb_co_u32_e32 v7, vcc, v5, v9, vcc
	v_add_u32_e32 v5, 0x500, v12
	v_lshl_add_u64 v[176:177], v[40:41], 0, v[6:7]
	v_mad_u64_u32 v[6:7], s[0:1], s24, v5, 0
	v_mov_b32_e32 v10, v7
	v_mad_u64_u32 v[10:11], s[0:1], s25, v5, v[10:11]
	v_mov_b32_e32 v5, v10
	v_sub_co_u32_e32 v6, vcc, v6, v8
	v_add_u32_e32 v207, 0x4300, v168
	s_nop 0
	v_subb_co_u32_e32 v7, vcc, v5, v9, vcc
	v_add_u32_e32 v5, 0x200, v12
	v_lshl_add_u64 v[178:179], v[40:41], 0, v[6:7]
	v_mad_u64_u32 v[6:7], s[0:1], s24, v5, 0
	v_mov_b32_e32 v10, v7
	v_mad_u64_u32 v[10:11], s[0:1], s25, v5, v[10:11]
	v_mov_b32_e32 v5, v10
	v_sub_co_u32_e32 v6, vcc, v6, v8
	v_add_u32_e32 v208, 0x4700, v168
	s_nop 0
	v_subb_co_u32_e32 v7, vcc, v5, v9, vcc
	v_add_u32_e32 v5, 0x510, v12
	v_lshl_add_u64 v[180:181], v[40:41], 0, v[6:7]
	v_mad_u64_u32 v[6:7], s[0:1], s24, v5, 0
	v_mov_b32_e32 v10, v7
	v_mad_u64_u32 v[10:11], s[0:1], s25, v5, v[10:11]
	v_mov_b32_e32 v5, v10
	v_sub_co_u32_e32 v6, vcc, v6, v8
	v_cmp_gt_u32_e64 s[6:7], 64, v42
	s_nop 0
	v_subb_co_u32_e32 v7, vcc, v5, v9, vcc
	v_add_u32_e32 v5, 0x230, v12
	v_lshl_add_u64 v[182:183], v[40:41], 0, v[6:7]
	v_mad_u64_u32 v[6:7], s[0:1], s24, v5, 0
	v_mov_b32_e32 v10, v7
	v_mad_u64_u32 v[10:11], s[0:1], s25, v5, v[10:11]
	v_mov_b32_e32 v5, v10
	v_sub_co_u32_e32 v6, vcc, v6, v8
	v_or_b32_e32 v212, 1, v206
	s_nop 0
	v_subb_co_u32_e32 v7, vcc, v5, v9, vcc
	v_add_u32_e32 v5, 0x320, v12
	v_lshl_add_u64 v[184:185], v[40:41], 0, v[6:7]
	v_mad_u64_u32 v[6:7], s[0:1], s24, v5, 0
	v_mov_b32_e32 v10, v7
	v_mad_u64_u32 v[10:11], s[0:1], s25, v5, v[10:11]
	v_mov_b32_e32 v5, v10
	v_sub_co_u32_e32 v6, vcc, v6, v8
	v_or_b32_e32 v213, 2, v206
	;; [unrolled: 10-line block ×3, first 2 shown]
	s_nop 0
	v_subb_co_u32_e32 v7, vcc, v5, v9, vcc
	v_add_u32_e32 v5, 0x430, v12
	v_lshl_add_u64 v[188:189], v[40:41], 0, v[6:7]
	v_mad_u64_u32 v[6:7], s[0:1], s24, v5, 0
	v_mov_b32_e32 v10, v7
	v_mad_u64_u32 v[10:11], s[0:1], s25, v5, v[10:11]
	v_mov_b32_e32 v5, v10
	v_sub_co_u32_e32 v6, vcc, v6, v8
	v_add_u32_e32 v215, 0x4300, v12
	s_nop 0
	v_subb_co_u32_e32 v7, vcc, v5, v9, vcc
	v_add_u32_e32 v5, 0x310, v12
	v_lshl_add_u64 v[190:191], v[40:41], 0, v[6:7]
	v_mad_u64_u32 v[6:7], s[0:1], s24, v5, 0
	v_mov_b32_e32 v10, v7
	v_mad_u64_u32 v[10:11], s[0:1], s25, v5, v[10:11]
	v_mov_b32_e32 v5, v10
	v_sub_co_u32_e32 v6, vcc, v6, v8
	v_add_u32_e32 v217, 16, v206
	;; [unrolled: 10-line block ×7, first 2 shown]
	s_nop 0
	v_subb_co_u32_e32 v7, vcc, v5, v9, vcc
	v_add_u32_e32 v223, 34, v206
	v_add_u32_e32 v224, 35, v206
	;; [unrolled: 1-line block ×6, first 2 shown]
	s_add_i32 s26, s28, 64
	v_mov_b32_e32 v169, v4
	s_lshl_b64 s[10:11], s[24:25], 10
	v_lshl_add_u64 v[202:203], v[40:41], 0, v[6:7]
	v_add_u32_e32 v230, v211, v13
	s_cmp_eq_u32 s21, s2
	s_cselect_b32 s28, s27, 0
	s_and_saveexec_b64 s[0:1], s[4:5]
	s_cbranch_execz .LBB52_136
.LBB52_132:
	s_cmp_lg_u32 s28, 0
	s_cselect_b64 s[12:13], -1, 0
	v_cmp_le_i32_e32 vcc, s28, v204
	s_and_b64 s[12:13], s[12:13], vcc
	s_and_saveexec_b64 s[14:15], s[12:13]
	s_xor_b64 s[12:13], exec, s[14:15]
	s_cbranch_execz .LBB52_134
; %bb.133:
	v_mov_b32_e32 v5, v4
	v_mov_b32_e32 v6, v4
	;; [unrolled: 1-line block ×3, first 2 shown]
	ds_write_b128 v207, v[4:7]
.LBB52_134:
	s_andn2_saveexec_b64 s[12:13], s[12:13]
	s_cbranch_execz .LBB52_136
; %bb.135:
	s_ashr_i32 s12, s26, 31
	s_mul_i32 s13, s26, s19
	s_mul_hi_u32 s14, s26, s18
	s_add_i32 s13, s14, s13
	s_mul_i32 s12, s12, s18
	s_add_i32 s13, s13, s12
	s_mul_i32 s12, s26, s18
	v_lshl_add_u64 v[6:7], s[12:13], 4, v[170:171]
	flat_load_dwordx4 v[6:9], v[6:7]
	s_waitcnt vmcnt(0) lgkmcnt(0)
	ds_write2_b64 v207, v[6:7], v[8:9] offset1:1
.LBB52_136:                             ; =>This Inner Loop Header: Depth=1
	s_or_b64 exec, exec, s[0:1]
	s_cmp_eq_u32 s28, 0
	s_cselect_b64 s[12:13], -1, 0
	s_cmp_lg_u32 s28, 0
	s_cselect_b64 s[14:15], -1, 0
	v_lshl_add_u64 v[18:19], v[180:181], 0, v[168:169]
	s_and_b64 vcc, exec, s[14:15]
	s_waitcnt lgkmcnt(0)
	s_barrier
	s_cbranch_vccz .LBB52_144
; %bb.137:                              ;   in Loop: Header=BB52_136 Depth=1
	v_mov_b64_e32 v[10:11], 0
	v_cmp_gt_i32_e32 vcc, s28, v206
	v_mov_b64_e32 v[6:7], v[10:11]
	v_mov_b64_e32 v[8:9], v[10:11]
	s_and_saveexec_b64 s[0:1], vcc
	s_cbranch_execz .LBB52_139
; %bb.138:                              ;   in Loop: Header=BB52_136 Depth=1
	flat_load_dwordx4 v[6:9], v[18:19]
.LBB52_139:                             ;   in Loop: Header=BB52_136 Depth=1
	s_or_b64 exec, exec, s[0:1]
	v_cmp_gt_i32_e32 vcc, s28, v212
	v_mov_b64_e32 v[12:13], v[10:11]
	s_and_saveexec_b64 s[0:1], vcc
	s_cbranch_execz .LBB52_141
; %bb.140:                              ;   in Loop: Header=BB52_136 Depth=1
	v_lshl_add_u64 v[10:11], v[176:177], 0, v[168:169]
	flat_load_dwordx4 v[10:13], v[10:11]
.LBB52_141:                             ;   in Loop: Header=BB52_136 Depth=1
	s_or_b64 exec, exec, s[0:1]
	v_mov_b64_e32 v[14:15], 0
	v_cmp_gt_i32_e32 vcc, s28, v213
	s_mov_b64 s[24:25], 0
	v_mov_b64_e32 v[16:17], v[14:15]
	s_and_saveexec_b64 s[0:1], vcc
	s_cbranch_execz .LBB52_143
; %bb.142:                              ;   in Loop: Header=BB52_136 Depth=1
	v_lshl_add_u64 v[14:15], v[172:173], 0, v[168:169]
	flat_load_dwordx4 v[14:17], v[14:15]
.LBB52_143:                             ;   in Loop: Header=BB52_136 Depth=1
	s_or_b64 exec, exec, s[0:1]
	v_cmp_gt_i32_e64 s[0:1], s28, v214
	s_mov_b64 s[16:17], 0
	s_and_b64 vcc, exec, s[24:25]
	s_cbranch_vccnz .LBB52_145
	s_branch .LBB52_146
.LBB52_144:                             ;   in Loop: Header=BB52_136 Depth=1
	s_mov_b64 s[0:1], 0
                                        ; implicit-def: $sgpr16_sgpr17
                                        ; implicit-def: $vgpr16_vgpr17
                                        ; implicit-def: $vgpr12_vgpr13
                                        ; implicit-def: $vgpr8_vgpr9
	s_cbranch_execz .LBB52_146
.LBB52_145:                             ;   in Loop: Header=BB52_136 Depth=1
	s_waitcnt vmcnt(0) lgkmcnt(0)
	v_lshl_add_u64 v[10:11], v[176:177], 0, v[168:169]
	v_lshl_add_u64 v[14:15], v[172:173], 0, v[168:169]
	flat_load_dwordx4 v[6:9], v[18:19]
	s_or_b64 s[0:1], s[0:1], exec
	flat_load_dwordx4 v[10:13], v[10:11]
                                        ; implicit-def: $sgpr16_sgpr17
	s_nop 0
	flat_load_dwordx4 v[14:17], v[14:15]
.LBB52_146:                             ;   in Loop: Header=BB52_136 Depth=1
	v_mov_b64_e32 v[18:19], s[16:17]
	v_mov_b64_e32 v[20:21], s[16:17]
	s_and_saveexec_b64 s[16:17], s[0:1]
	s_cbranch_execz .LBB52_148
; %bb.147:                              ;   in Loop: Header=BB52_136 Depth=1
	v_lshl_add_u64 v[18:19], v[184:185], 0, v[168:169]
	flat_load_dwordx4 v[18:21], v[18:19]
.LBB52_148:                             ;   in Loop: Header=BB52_136 Depth=1
	s_or_b64 exec, exec, s[16:17]
	ds_read_b128 v[34:37], v208
	ds_read_b128 v[22:25], v215
	v_cndmask_b32_e64 v5, 0, 1, s[14:15]
	v_cmp_ne_u32_e64 s[0:1], 1, v5
	s_andn2_b64 vcc, exec, s[14:15]
	s_waitcnt vmcnt(0) lgkmcnt(0)
	v_mul_f64 v[26:27], v[8:9], v[36:37]
	v_mul_f64 v[28:29], v[8:9], v[34:35]
	;; [unrolled: 1-line block ×3, first 2 shown]
	v_fmac_f64_e32 v[26:27], v[6:7], v[34:35]
	v_fma_f64 v[28:29], v[6:7], v[36:37], -v[28:29]
	v_mul_f64 v[32:33], v[12:13], v[34:35]
	ds_write_b128 v216, v[26:29]
	v_fmac_f64_e32 v[30:31], v[10:11], v[34:35]
	v_fma_f64 v[32:33], v[10:11], v[36:37], -v[32:33]
	v_mul_f64 v[38:39], v[16:17], v[36:37]
	v_mul_f64 v[40:41], v[16:17], v[34:35]
	;; [unrolled: 1-line block ×3, first 2 shown]
	ds_read_b128 v[26:29], v215 offset:16
	ds_write_b128 v216, v[30:33] offset:1072
	v_fmac_f64_e32 v[38:39], v[14:15], v[34:35]
	v_fma_f64 v[40:41], v[14:15], v[36:37], -v[40:41]
	v_fmac_f64_e32 v[42:43], v[18:19], v[34:35]
	v_mul_f64 v[34:35], v[20:21], v[34:35]
	ds_read_b128 v[30:33], v215 offset:32
	ds_write_b128 v216, v[38:41] offset:2144
	v_fma_f64 v[44:45], v[18:19], v[36:37], -v[34:35]
	ds_read_b128 v[38:41], v215 offset:48
	ds_write_b128 v216, v[42:45] offset:3216
	s_waitcnt lgkmcnt(0)
	s_barrier
	ds_read_b128 v[98:101], v211
	ds_read_b128 v[94:97], v211 offset:16
	ds_read_b128 v[86:89], v211 offset:32
	;; [unrolled: 1-line block ×3, first 2 shown]
	v_lshl_add_u64 v[50:51], v[196:197], 0, v[168:169]
	s_waitcnt lgkmcnt(0)
	s_barrier
	s_cbranch_vccnz .LBB52_156
; %bb.149:                              ;   in Loop: Header=BB52_136 Depth=1
	v_mov_b64_e32 v[42:43], 0
	v_cmp_gt_i32_e32 vcc, s28, v217
	v_mov_b64_e32 v[34:35], v[42:43]
	v_mov_b64_e32 v[36:37], v[42:43]
	s_and_saveexec_b64 s[14:15], vcc
	s_cbranch_execz .LBB52_151
; %bb.150:                              ;   in Loop: Header=BB52_136 Depth=1
	flat_load_dwordx4 v[34:37], v[50:51]
.LBB52_151:                             ;   in Loop: Header=BB52_136 Depth=1
	s_or_b64 exec, exec, s[14:15]
	v_cmp_gt_i32_e32 vcc, s28, v218
	v_mov_b64_e32 v[44:45], v[42:43]
	s_and_saveexec_b64 s[14:15], vcc
	s_cbranch_execz .LBB52_153
; %bb.152:                              ;   in Loop: Header=BB52_136 Depth=1
	v_lshl_add_u64 v[42:43], v[192:193], 0, v[168:169]
	flat_load_dwordx4 v[42:45], v[42:43]
.LBB52_153:                             ;   in Loop: Header=BB52_136 Depth=1
	s_or_b64 exec, exec, s[14:15]
	v_mov_b64_e32 v[46:47], 0
	v_cmp_gt_i32_e32 vcc, s28, v219
	s_mov_b64 s[24:25], 0
	v_mov_b64_e32 v[48:49], v[46:47]
	s_and_saveexec_b64 s[14:15], vcc
	s_cbranch_execz .LBB52_155
; %bb.154:                              ;   in Loop: Header=BB52_136 Depth=1
	v_lshl_add_u64 v[46:47], v[186:187], 0, v[168:169]
	flat_load_dwordx4 v[46:49], v[46:47]
.LBB52_155:                             ;   in Loop: Header=BB52_136 Depth=1
	s_or_b64 exec, exec, s[14:15]
	v_cmp_gt_i32_e64 s[14:15], s28, v220
	s_mov_b64 s[16:17], 0
	s_and_b64 vcc, exec, s[24:25]
	s_cbranch_vccnz .LBB52_157
	s_branch .LBB52_158
.LBB52_156:                             ;   in Loop: Header=BB52_136 Depth=1
	s_mov_b64 s[14:15], 0
                                        ; implicit-def: $sgpr16_sgpr17
                                        ; implicit-def: $vgpr48_vgpr49
                                        ; implicit-def: $vgpr44_vgpr45
                                        ; implicit-def: $vgpr36_vgpr37
	s_cbranch_execz .LBB52_158
.LBB52_157:                             ;   in Loop: Header=BB52_136 Depth=1
	s_waitcnt vmcnt(0) lgkmcnt(0)
	v_lshl_add_u64 v[42:43], v[192:193], 0, v[168:169]
	v_lshl_add_u64 v[46:47], v[186:187], 0, v[168:169]
	flat_load_dwordx4 v[34:37], v[50:51]
	s_or_b64 s[14:15], s[14:15], exec
	flat_load_dwordx4 v[42:45], v[42:43]
                                        ; implicit-def: $sgpr16_sgpr17
	s_nop 0
	flat_load_dwordx4 v[46:49], v[46:47]
.LBB52_158:                             ;   in Loop: Header=BB52_136 Depth=1
	v_mov_b64_e32 v[50:51], s[16:17]
	v_mov_b64_e32 v[52:53], s[16:17]
	s_and_saveexec_b64 s[16:17], s[14:15]
	s_cbranch_execz .LBB52_160
; %bb.159:                              ;   in Loop: Header=BB52_136 Depth=1
	v_lshl_add_u64 v[50:51], v[200:201], 0, v[168:169]
	flat_load_dwordx4 v[50:53], v[50:51]
.LBB52_160:                             ;   in Loop: Header=BB52_136 Depth=1
	s_or_b64 exec, exec, s[16:17]
	ds_read_b128 v[66:69], v208
	ds_read_b128 v[54:57], v215 offset:256
	s_and_b64 vcc, exec, s[0:1]
	v_lshl_add_u64 v[90:91], v[194:195], 0, v[168:169]
	s_waitcnt vmcnt(0) lgkmcnt(0)
	v_mul_f64 v[58:59], v[36:37], v[68:69]
	v_mul_f64 v[60:61], v[36:37], v[66:67]
	;; [unrolled: 1-line block ×3, first 2 shown]
	v_fmac_f64_e32 v[58:59], v[34:35], v[66:67]
	v_fma_f64 v[60:61], v[34:35], v[68:69], -v[60:61]
	v_mul_f64 v[64:65], v[44:45], v[66:67]
	ds_write_b128 v216, v[58:61]
	v_fmac_f64_e32 v[62:63], v[42:43], v[66:67]
	v_fma_f64 v[64:65], v[42:43], v[68:69], -v[64:65]
	v_mul_f64 v[70:71], v[48:49], v[68:69]
	v_mul_f64 v[72:73], v[48:49], v[66:67]
	ds_read_b128 v[58:61], v215 offset:272
	ds_write_b128 v216, v[62:65] offset:1072
	v_fmac_f64_e32 v[70:71], v[46:47], v[66:67]
	v_fma_f64 v[72:73], v[46:47], v[68:69], -v[72:73]
	ds_read_b128 v[62:65], v215 offset:288
	ds_write_b128 v216, v[70:73] offset:2144
	v_mul_f64 v[70:71], v[52:53], v[68:69]
	v_fmac_f64_e32 v[70:71], v[50:51], v[66:67]
	v_mul_f64 v[66:67], v[52:53], v[66:67]
	v_fma_f64 v[72:73], v[50:51], v[68:69], -v[66:67]
	ds_read_b128 v[74:77], v215 offset:304
	ds_write_b128 v216, v[70:73] offset:3216
	s_waitcnt lgkmcnt(0)
	s_barrier
	ds_read_b128 v[146:149], v211
	ds_read_b128 v[142:145], v211 offset:16
	ds_read_b128 v[138:141], v211 offset:32
	ds_read_b128 v[134:137], v211 offset:48
	s_waitcnt lgkmcnt(0)
	s_barrier
	s_cbranch_vccnz .LBB52_168
; %bb.161:                              ;   in Loop: Header=BB52_136 Depth=1
	v_mov_b64_e32 v[70:71], 0
	v_cmp_gt_i32_e32 vcc, s28, v221
	v_mov_b64_e32 v[66:67], v[70:71]
	v_mov_b64_e32 v[68:69], v[70:71]
	s_and_saveexec_b64 s[14:15], vcc
	s_cbranch_execz .LBB52_163
; %bb.162:                              ;   in Loop: Header=BB52_136 Depth=1
	flat_load_dwordx4 v[66:69], v[90:91]
.LBB52_163:                             ;   in Loop: Header=BB52_136 Depth=1
	s_or_b64 exec, exec, s[14:15]
	v_cmp_gt_i32_e32 vcc, s28, v222
	v_mov_b64_e32 v[72:73], v[70:71]
	s_and_saveexec_b64 s[14:15], vcc
	s_cbranch_execz .LBB52_165
; %bb.164:                              ;   in Loop: Header=BB52_136 Depth=1
	v_lshl_add_u64 v[70:71], v[198:199], 0, v[168:169]
	flat_load_dwordx4 v[70:73], v[70:71]
.LBB52_165:                             ;   in Loop: Header=BB52_136 Depth=1
	s_or_b64 exec, exec, s[14:15]
	v_mov_b64_e32 v[78:79], 0
	v_cmp_gt_i32_e32 vcc, s28, v223
	s_mov_b64 s[24:25], 0
	v_mov_b64_e32 v[80:81], v[78:79]
	s_and_saveexec_b64 s[14:15], vcc
	s_cbranch_execz .LBB52_167
; %bb.166:                              ;   in Loop: Header=BB52_136 Depth=1
	v_lshl_add_u64 v[78:79], v[202:203], 0, v[168:169]
	flat_load_dwordx4 v[78:81], v[78:79]
.LBB52_167:                             ;   in Loop: Header=BB52_136 Depth=1
	s_or_b64 exec, exec, s[14:15]
	v_cmp_gt_i32_e64 s[14:15], s28, v224
	s_mov_b64 s[16:17], 0
	s_and_b64 vcc, exec, s[24:25]
	s_cbranch_vccnz .LBB52_169
	s_branch .LBB52_170
.LBB52_168:                             ;   in Loop: Header=BB52_136 Depth=1
	s_mov_b64 s[14:15], 0
                                        ; implicit-def: $sgpr16_sgpr17
                                        ; implicit-def: $vgpr80_vgpr81
                                        ; implicit-def: $vgpr72_vgpr73
                                        ; implicit-def: $vgpr68_vgpr69
	s_cbranch_execz .LBB52_170
.LBB52_169:                             ;   in Loop: Header=BB52_136 Depth=1
	s_waitcnt vmcnt(0) lgkmcnt(0)
	v_lshl_add_u64 v[70:71], v[198:199], 0, v[168:169]
	v_lshl_add_u64 v[78:79], v[202:203], 0, v[168:169]
	flat_load_dwordx4 v[66:69], v[90:91]
	s_or_b64 s[14:15], s[14:15], exec
	flat_load_dwordx4 v[70:73], v[70:71]
                                        ; implicit-def: $sgpr16_sgpr17
	s_nop 0
	flat_load_dwordx4 v[78:81], v[78:79]
.LBB52_170:                             ;   in Loop: Header=BB52_136 Depth=1
	v_mov_b64_e32 v[90:91], s[16:17]
	v_mov_b64_e32 v[92:93], s[16:17]
	s_and_saveexec_b64 s[16:17], s[14:15]
	s_cbranch_execz .LBB52_172
; %bb.171:                              ;   in Loop: Header=BB52_136 Depth=1
	v_lshl_add_u64 v[90:91], v[190:191], 0, v[168:169]
	flat_load_dwordx4 v[90:93], v[90:91]
.LBB52_172:                             ;   in Loop: Header=BB52_136 Depth=1
	s_or_b64 exec, exec, s[16:17]
	ds_read_b128 v[114:117], v208
	ds_read_b128 v[102:105], v215 offset:512
	s_and_b64 vcc, exec, s[0:1]
	v_lshl_add_u64 v[130:131], v[178:179], 0, v[168:169]
	s_waitcnt vmcnt(0) lgkmcnt(0)
	v_mul_f64 v[106:107], v[68:69], v[116:117]
	v_mul_f64 v[108:109], v[68:69], v[114:115]
	;; [unrolled: 1-line block ×3, first 2 shown]
	v_fmac_f64_e32 v[106:107], v[66:67], v[114:115]
	v_fma_f64 v[108:109], v[66:67], v[116:117], -v[108:109]
	v_mul_f64 v[112:113], v[72:73], v[114:115]
	ds_write_b128 v216, v[106:109]
	v_fmac_f64_e32 v[110:111], v[70:71], v[114:115]
	v_fma_f64 v[112:113], v[70:71], v[116:117], -v[112:113]
	v_mul_f64 v[118:119], v[80:81], v[116:117]
	v_mul_f64 v[120:121], v[80:81], v[114:115]
	;; [unrolled: 1-line block ×3, first 2 shown]
	ds_read_b128 v[106:109], v215 offset:528
	ds_write_b128 v216, v[110:113] offset:1072
	v_fmac_f64_e32 v[118:119], v[78:79], v[114:115]
	v_fma_f64 v[120:121], v[78:79], v[116:117], -v[120:121]
	v_fmac_f64_e32 v[122:123], v[90:91], v[114:115]
	v_mul_f64 v[114:115], v[92:93], v[114:115]
	ds_read_b128 v[110:113], v215 offset:544
	ds_write_b128 v216, v[118:121] offset:2144
	v_fma_f64 v[124:125], v[90:91], v[116:117], -v[114:115]
	ds_read_b128 v[118:121], v215 offset:560
	ds_write_b128 v216, v[122:125] offset:3216
	s_waitcnt lgkmcnt(0)
	s_barrier
	ds_read_b128 v[162:165], v211
	ds_read_b128 v[158:161], v211 offset:16
	ds_read_b128 v[154:157], v211 offset:32
	;; [unrolled: 1-line block ×3, first 2 shown]
	s_waitcnt lgkmcnt(0)
	s_barrier
	s_cbranch_vccnz .LBB52_180
; %bb.173:                              ;   in Loop: Header=BB52_136 Depth=1
	v_mov_b64_e32 v[122:123], 0
	v_cmp_gt_i32_e32 vcc, s28, v225
	v_mov_b64_e32 v[114:115], v[122:123]
	v_mov_b64_e32 v[116:117], v[122:123]
	s_and_saveexec_b64 s[0:1], vcc
	s_cbranch_execz .LBB52_175
; %bb.174:                              ;   in Loop: Header=BB52_136 Depth=1
	flat_load_dwordx4 v[114:117], v[130:131]
.LBB52_175:                             ;   in Loop: Header=BB52_136 Depth=1
	s_or_b64 exec, exec, s[0:1]
	v_cmp_gt_i32_e32 vcc, s28, v226
	v_mov_b64_e32 v[124:125], v[122:123]
	s_and_saveexec_b64 s[0:1], vcc
	s_cbranch_execz .LBB52_177
; %bb.176:                              ;   in Loop: Header=BB52_136 Depth=1
	v_lshl_add_u64 v[122:123], v[182:183], 0, v[168:169]
	flat_load_dwordx4 v[122:125], v[122:123]
.LBB52_177:                             ;   in Loop: Header=BB52_136 Depth=1
	s_or_b64 exec, exec, s[0:1]
	v_mov_b64_e32 v[126:127], 0
	v_cmp_gt_i32_e32 vcc, s28, v227
	s_mov_b64 s[16:17], 0
	v_mov_b64_e32 v[128:129], v[126:127]
	s_and_saveexec_b64 s[0:1], vcc
	s_cbranch_execz .LBB52_179
; %bb.178:                              ;   in Loop: Header=BB52_136 Depth=1
	v_lshl_add_u64 v[126:127], v[188:189], 0, v[168:169]
	flat_load_dwordx4 v[126:129], v[126:127]
.LBB52_179:                             ;   in Loop: Header=BB52_136 Depth=1
	s_or_b64 exec, exec, s[0:1]
	v_cmp_gt_i32_e64 s[0:1], s28, v228
	s_mov_b64 s[14:15], 0
	s_and_b64 vcc, exec, s[16:17]
	s_cbranch_vccnz .LBB52_181
	s_branch .LBB52_182
.LBB52_180:                             ;   in Loop: Header=BB52_136 Depth=1
	s_mov_b64 s[0:1], 0
                                        ; implicit-def: $sgpr14_sgpr15
                                        ; implicit-def: $vgpr128_vgpr129
                                        ; implicit-def: $vgpr124_vgpr125
                                        ; implicit-def: $vgpr116_vgpr117
	s_cbranch_execz .LBB52_182
.LBB52_181:                             ;   in Loop: Header=BB52_136 Depth=1
	s_waitcnt vmcnt(0) lgkmcnt(0)
	v_lshl_add_u64 v[122:123], v[182:183], 0, v[168:169]
	v_lshl_add_u64 v[126:127], v[188:189], 0, v[168:169]
	flat_load_dwordx4 v[114:117], v[130:131]
	s_or_b64 s[0:1], s[0:1], exec
	flat_load_dwordx4 v[122:125], v[122:123]
                                        ; implicit-def: $sgpr14_sgpr15
	s_nop 0
	flat_load_dwordx4 v[126:129], v[126:127]
.LBB52_182:                             ;   in Loop: Header=BB52_136 Depth=1
	v_mov_b64_e32 v[130:131], s[14:15]
	v_mov_b64_e32 v[132:133], s[14:15]
	s_and_saveexec_b64 s[14:15], s[0:1]
	s_cbranch_execz .LBB52_184
; %bb.183:                              ;   in Loop: Header=BB52_136 Depth=1
	v_lshl_add_u64 v[130:131], v[174:175], 0, v[168:169]
	flat_load_dwordx4 v[130:133], v[130:131]
.LBB52_184:                             ;   in Loop: Header=BB52_136 Depth=1
	s_or_b64 exec, exec, s[14:15]
	v_add_f64 v[146:147], v[146:147], 0
	v_add_f64 v[148:149], v[148:149], 0
	v_add_f64 v[142:143], v[146:147], v[142:143]
	v_add_f64 v[144:145], v[148:149], v[144:145]
	v_add_f64 v[138:139], v[142:143], v[138:139]
	v_add_f64 v[140:141], v[144:145], v[140:141]
	ds_read_b128 v[142:145], v208
	v_add_f64 v[162:163], v[162:163], 0
	v_add_f64 v[98:99], v[98:99], 0
	;; [unrolled: 1-line block ×11, first 2 shown]
	ds_read_b128 v[86:89], v215 offset:768
	s_waitcnt vmcnt(0) lgkmcnt(0)
	v_mul_f64 v[94:95], v[116:117], v[144:145]
	v_mul_f64 v[96:97], v[116:117], v[142:143]
	v_fmac_f64_e32 v[94:95], v[114:115], v[142:143]
	v_fma_f64 v[96:97], v[114:115], v[144:145], -v[96:97]
	v_mul_f64 v[98:99], v[124:125], v[144:145]
	v_mul_f64 v[100:101], v[124:125], v[142:143]
	v_add_f64 v[138:139], v[138:139], v[134:135]
	v_add_f64 v[140:141], v[140:141], v[136:137]
	ds_write_b128 v216, v[94:97]
	v_fmac_f64_e32 v[98:99], v[122:123], v[142:143]
	v_fma_f64 v[100:101], v[122:123], v[144:145], -v[100:101]
	v_mul_f64 v[134:135], v[128:129], v[144:145]
	v_mul_f64 v[136:137], v[128:129], v[142:143]
	;; [unrolled: 1-line block ×3, first 2 shown]
	ds_read_b128 v[94:97], v215 offset:784
	ds_write_b128 v216, v[98:101] offset:1072
	v_fmac_f64_e32 v[134:135], v[126:127], v[142:143]
	v_fma_f64 v[136:137], v[126:127], v[144:145], -v[136:137]
	v_fmac_f64_e32 v[146:147], v[130:131], v[142:143]
	v_mul_f64 v[142:143], v[132:133], v[142:143]
	ds_read_b128 v[98:101], v215 offset:800
	ds_write_b128 v216, v[134:137] offset:2144
	v_fma_f64 v[148:149], v[130:131], v[144:145], -v[142:143]
	v_add_f64 v[164:165], v[164:165], 0
	ds_read_b128 v[134:137], v215 offset:816
	ds_write_b128 v216, v[146:149] offset:3216
	s_waitcnt lgkmcnt(0)
	s_barrier
	ds_read_b128 v[142:145], v211
	v_add_f64 v[160:161], v[164:165], v[160:161]
	v_add_f64 v[156:157], v[160:161], v[156:157]
	;; [unrolled: 1-line block ×4, first 2 shown]
	ds_read_b128 v[146:149], v211 offset:16
	ds_read_b128 v[154:157], v211 offset:32
	;; [unrolled: 1-line block ×3, first 2 shown]
	s_waitcnt lgkmcnt(3)
	v_add_f64 v[142:143], v[142:143], 0
	v_add_f64 v[144:145], v[144:145], 0
	v_cmp_gt_i32_e32 vcc, s28, v204
	s_waitcnt lgkmcnt(2)
	v_add_f64 v[142:143], v[142:143], v[146:147]
	v_add_f64 v[144:145], v[144:145], v[148:149]
	s_or_b64 s[0:1], s[12:13], vcc
	s_waitcnt lgkmcnt(1)
	v_add_f64 v[142:143], v[142:143], v[154:155]
	v_add_f64 v[144:145], v[144:145], v[156:157]
	s_and_b64 s[12:13], s[6:7], s[0:1]
	s_waitcnt lgkmcnt(0)
	v_add_f64 v[142:143], v[142:143], v[158:159]
	v_add_f64 v[144:145], v[144:145], v[160:161]
	s_barrier
	ds_write_b128 v230, v[82:85]
	ds_write_b128 v230, v[138:141] offset:256
	ds_write_b128 v230, v[150:153] offset:512
	;; [unrolled: 1-line block ×3, first 2 shown]
	s_waitcnt lgkmcnt(0)
	s_barrier
	s_and_saveexec_b64 s[0:1], s[12:13]
	s_cbranch_execz .LBB52_186
; %bb.185:                              ;   in Loop: Header=BB52_136 Depth=1
	ds_read_b128 v[82:85], v209
	ds_read_b128 v[138:141], v209 offset:16
	ds_read_b128 v[142:145], v209 offset:32
	;; [unrolled: 1-line block ×3, first 2 shown]
	s_waitcnt lgkmcnt(2)
	v_add_f64 v[82:83], v[138:139], v[82:83]
	v_add_f64 v[138:139], v[140:141], v[84:85]
	s_waitcnt lgkmcnt(1)
	v_add_f64 v[140:141], v[82:83], v[142:143]
	ds_read_b128 v[82:85], v209 offset:64
	v_add_f64 v[142:143], v[138:139], v[144:145]
	s_waitcnt lgkmcnt(1)
	v_add_f64 v[144:145], v[140:141], v[146:147]
	ds_read_b128 v[138:141], v209 offset:80
	;; [unrolled: 4-line block ×9, first 2 shown]
	v_add_f64 v[84:85], v[146:147], v[84:85]
	s_waitcnt lgkmcnt(1)
	v_add_f64 v[138:139], v[82:83], v[138:139]
	v_add_f64 v[146:147], v[84:85], v[140:141]
	ds_read_b128 v[82:85], v209 offset:208
	s_waitcnt lgkmcnt(1)
	v_add_f64 v[148:149], v[138:139], v[142:143]
	ds_read_b128 v[138:141], v209 offset:224
	v_add_f64 v[146:147], v[146:147], v[144:145]
	ds_read_b128 v[142:145], v210
	s_waitcnt lgkmcnt(2)
	v_add_f64 v[82:83], v[148:149], v[82:83]
	v_add_f64 v[84:85], v[146:147], v[84:85]
	s_waitcnt lgkmcnt(1)
	v_add_f64 v[82:83], v[82:83], v[138:139]
	v_add_u32_e32 v138, s26, v229
	v_add_f64 v[84:85], v[84:85], v[140:141]
	v_ashrrev_i32_e32 v139, 31, v138
	s_waitcnt lgkmcnt(0)
	v_add_f64 v[82:83], v[82:83], v[142:143]
	v_add_f64 v[84:85], v[84:85], v[144:145]
	v_lshl_add_u64 v[138:139], v[138:139], 4, s[8:9]
	global_store_dwordx4 v[138:139], v[82:85], off
.LBB52_186:                             ;   in Loop: Header=BB52_136 Depth=1
	s_or_b64 exec, exec, s[0:1]
	s_nop 0
	v_mul_f64 v[82:83], v[8:9], v[24:25]
	v_fma_f64 v[82:83], v[6:7], v[22:23], -v[82:83]
	v_mul_f64 v[6:7], v[6:7], v[24:25]
	v_mul_f64 v[24:25], v[12:13], v[28:29]
	v_add_f64 v[0:1], v[0:1], v[82:83]
	v_fma_f64 v[24:25], v[10:11], v[26:27], -v[24:25]
	v_add_f64 v[0:1], v[0:1], v[24:25]
	v_mul_f64 v[24:25], v[16:17], v[32:33]
	v_fma_f64 v[24:25], v[14:15], v[30:31], -v[24:25]
	v_add_f64 v[0:1], v[0:1], v[24:25]
	v_mul_f64 v[24:25], v[20:21], v[40:41]
	v_fmac_f64_e32 v[6:7], v[8:9], v[22:23]
	v_fma_f64 v[24:25], v[18:19], v[38:39], -v[24:25]
	v_add_f64 v[2:3], v[2:3], v[6:7]
	v_mul_f64 v[6:7], v[36:37], v[56:57]
	v_add_f64 v[0:1], v[0:1], v[24:25]
	v_fma_f64 v[6:7], v[34:35], v[54:55], -v[6:7]
	v_add_f64 v[0:1], v[0:1], v[6:7]
	v_mul_f64 v[6:7], v[44:45], v[60:61]
	v_fma_f64 v[6:7], v[42:43], v[58:59], -v[6:7]
	v_add_f64 v[0:1], v[0:1], v[6:7]
	v_mul_f64 v[6:7], v[48:49], v[64:65]
	;; [unrolled: 3-line block ×3, first 2 shown]
	v_fma_f64 v[6:7], v[50:51], v[74:75], -v[6:7]
	v_mul_f64 v[10:11], v[10:11], v[28:29]
	v_add_f64 v[0:1], v[0:1], v[6:7]
	v_mul_f64 v[6:7], v[68:69], v[104:105]
	v_mul_f64 v[14:15], v[14:15], v[32:33]
	v_fmac_f64_e32 v[10:11], v[12:13], v[26:27]
	v_fma_f64 v[6:7], v[66:67], v[102:103], -v[6:7]
	v_mul_f64 v[18:19], v[18:19], v[40:41]
	v_add_f64 v[2:3], v[2:3], v[10:11]
	v_fmac_f64_e32 v[14:15], v[16:17], v[30:31]
	v_add_f64 v[0:1], v[0:1], v[6:7]
	v_mul_f64 v[6:7], v[72:73], v[108:109]
	v_add_f64 v[2:3], v[2:3], v[14:15]
	v_fmac_f64_e32 v[18:19], v[20:21], v[38:39]
	v_mul_f64 v[8:9], v[34:35], v[56:57]
	v_fma_f64 v[6:7], v[70:71], v[106:107], -v[6:7]
	v_add_f64 v[2:3], v[2:3], v[18:19]
	v_mul_f64 v[10:11], v[42:43], v[60:61]
	v_fmac_f64_e32 v[8:9], v[36:37], v[54:55]
	v_add_f64 v[0:1], v[0:1], v[6:7]
	v_mul_f64 v[6:7], v[80:81], v[112:113]
	v_mul_f64 v[12:13], v[46:47], v[64:65]
	v_add_f64 v[2:3], v[2:3], v[8:9]
	v_fmac_f64_e32 v[10:11], v[44:45], v[58:59]
	v_fma_f64 v[6:7], v[78:79], v[110:111], -v[6:7]
	v_mul_f64 v[14:15], v[50:51], v[76:77]
	v_add_f64 v[2:3], v[2:3], v[10:11]
	v_fmac_f64_e32 v[12:13], v[48:49], v[62:63]
	v_add_f64 v[0:1], v[0:1], v[6:7]
	v_mul_f64 v[6:7], v[92:93], v[120:121]
	v_add_f64 v[2:3], v[2:3], v[12:13]
	v_fmac_f64_e32 v[14:15], v[52:53], v[74:75]
	v_mul_f64 v[8:9], v[66:67], v[104:105]
	v_fma_f64 v[6:7], v[90:91], v[118:119], -v[6:7]
	v_add_f64 v[2:3], v[2:3], v[14:15]
	v_mul_f64 v[10:11], v[70:71], v[108:109]
	v_add_f64 v[0:1], v[0:1], v[6:7]
	v_fmac_f64_e32 v[8:9], v[68:69], v[102:103]
	v_mul_f64 v[6:7], v[116:117], v[88:89]
	v_mul_f64 v[12:13], v[78:79], v[112:113]
	v_add_f64 v[2:3], v[2:3], v[8:9]
	v_fmac_f64_e32 v[10:11], v[72:73], v[106:107]
	v_fma_f64 v[6:7], v[114:115], v[86:87], -v[6:7]
	v_mul_f64 v[14:15], v[90:91], v[120:121]
	v_add_f64 v[2:3], v[2:3], v[10:11]
	v_fmac_f64_e32 v[12:13], v[80:81], v[110:111]
	v_add_f64 v[0:1], v[0:1], v[6:7]
	v_mul_f64 v[6:7], v[124:125], v[96:97]
	v_add_f64 v[2:3], v[2:3], v[12:13]
	v_fmac_f64_e32 v[14:15], v[92:93], v[118:119]
	v_mul_f64 v[8:9], v[114:115], v[88:89]
	v_fma_f64 v[6:7], v[122:123], v[94:95], -v[6:7]
	v_add_f64 v[2:3], v[2:3], v[14:15]
	v_mul_f64 v[10:11], v[122:123], v[96:97]
	v_add_f64 v[0:1], v[0:1], v[6:7]
	v_mul_f64 v[6:7], v[128:129], v[100:101]
	v_fmac_f64_e32 v[8:9], v[116:117], v[86:87]
	v_fma_f64 v[6:7], v[126:127], v[98:99], -v[6:7]
	v_mul_f64 v[12:13], v[126:127], v[100:101]
	v_fmac_f64_e32 v[10:11], v[124:125], v[94:95]
	v_add_f64 v[2:3], v[2:3], v[8:9]
	v_add_f64 v[0:1], v[0:1], v[6:7]
	v_mul_f64 v[6:7], v[132:133], v[136:137]
	v_mul_f64 v[14:15], v[130:131], v[136:137]
	v_fmac_f64_e32 v[12:13], v[128:129], v[98:99]
	v_add_f64 v[2:3], v[2:3], v[10:11]
	v_fma_f64 v[6:7], v[130:131], v[134:135], -v[6:7]
	v_fmac_f64_e32 v[14:15], v[132:133], v[134:135]
	v_add_f64 v[2:3], v[2:3], v[12:13]
	s_add_i32 s0, s2, 1
	s_add_i32 s26, s26, 64
	;; [unrolled: 1-line block ×3, first 2 shown]
	v_add_f64 v[0:1], v[0:1], v[6:7]
	v_add_f64 v[2:3], v[2:3], v[14:15]
	v_lshl_add_u64 v[172:173], v[172:173], 0, s[10:11]
	v_lshl_add_u64 v[174:175], v[174:175], 0, s[10:11]
	;; [unrolled: 1-line block ×15, first 2 shown]
	s_cmp_ge_u32 s1, s3
	v_lshl_add_u64 v[202:203], v[202:203], 0, s[10:11]
	s_barrier
	s_cbranch_scc1 .LBB52_188
; %bb.187:                              ;   in Loop: Header=BB52_136 Depth=1
	s_mov_b32 s2, s0
	s_cmp_eq_u32 s21, s2
	s_cselect_b32 s28, s27, 0
	s_and_saveexec_b64 s[0:1], s[4:5]
	s_cbranch_execnz .LBB52_132
	s_branch .LBB52_136
.LBB52_188:
	s_movk_i32 s0, 0x430
	v_cmp_gt_i32_e32 vcc, s20, v204
	v_mad_u32_u24 v4, v205, s0, v168
	s_or_b64 s[0:1], s[22:23], vcc
	s_and_b64 s[0:1], s[4:5], s[0:1]
	ds_write_b128 v4, v[0:3]
	s_waitcnt lgkmcnt(0)
	s_barrier
	s_and_saveexec_b64 s[2:3], s[0:1]
	s_cbranch_execz .LBB52_190
; %bb.189:
	ds_read_b128 v[0:3], v168 offset:1072
	ds_read_b128 v[4:7], v168
	ds_read_b128 v[8:11], v168 offset:2144
	ds_read_b128 v[12:15], v168 offset:3216
	s_waitcnt lgkmcnt(2)
	v_add_f64 v[0:1], v[0:1], v[4:5]
	v_add_f64 v[2:3], v[2:3], v[6:7]
	s_waitcnt lgkmcnt(1)
	v_add_f64 v[0:1], v[0:1], v[8:9]
	v_add_f64 v[2:3], v[2:3], v[10:11]
	;; [unrolled: 3-line block ×3, first 2 shown]
	v_lshl_add_u64 v[4:5], v[166:167], 4, s[8:9]
	global_store_dwordx4 v[4:5], v[0:3], off
.LBB52_190:
	s_endpgm
	.section	.rodata,"a",@progbits
	.p2align	6, 0x0
	.amdhsa_kernel _ZL26rocblas_hemvn_kernel_upperILb1ELi64ELi4ELi33ELi32ELi16El19rocblas_complex_numIdEPKPKS1_PS1_EviT6_lT7_lT5_lS8_lS9_lS7_lT8_i
		.amdhsa_group_segment_fixed_size 19200
		.amdhsa_private_segment_fixed_size 0
		.amdhsa_kernarg_size 392
		.amdhsa_user_sgpr_count 2
		.amdhsa_user_sgpr_dispatch_ptr 0
		.amdhsa_user_sgpr_queue_ptr 0
		.amdhsa_user_sgpr_kernarg_segment_ptr 1
		.amdhsa_user_sgpr_dispatch_id 0
		.amdhsa_user_sgpr_kernarg_preload_length 0
		.amdhsa_user_sgpr_kernarg_preload_offset 0
		.amdhsa_user_sgpr_private_segment_size 0
		.amdhsa_uses_dynamic_stack 0
		.amdhsa_enable_private_segment 0
		.amdhsa_system_sgpr_workgroup_id_x 1
		.amdhsa_system_sgpr_workgroup_id_y 0
		.amdhsa_system_sgpr_workgroup_id_z 1
		.amdhsa_system_sgpr_workgroup_info 0
		.amdhsa_system_vgpr_workitem_id 1
		.amdhsa_next_free_vgpr 231
		.amdhsa_next_free_sgpr 40
		.amdhsa_accum_offset 232
		.amdhsa_reserve_vcc 1
		.amdhsa_float_round_mode_32 0
		.amdhsa_float_round_mode_16_64 0
		.amdhsa_float_denorm_mode_32 3
		.amdhsa_float_denorm_mode_16_64 3
		.amdhsa_dx10_clamp 1
		.amdhsa_ieee_mode 1
		.amdhsa_fp16_overflow 0
		.amdhsa_tg_split 0
		.amdhsa_exception_fp_ieee_invalid_op 0
		.amdhsa_exception_fp_denorm_src 0
		.amdhsa_exception_fp_ieee_div_zero 0
		.amdhsa_exception_fp_ieee_overflow 0
		.amdhsa_exception_fp_ieee_underflow 0
		.amdhsa_exception_fp_ieee_inexact 0
		.amdhsa_exception_int_div_zero 0
	.end_amdhsa_kernel
	.section	.text._ZL26rocblas_hemvn_kernel_upperILb1ELi64ELi4ELi33ELi32ELi16El19rocblas_complex_numIdEPKPKS1_PS1_EviT6_lT7_lT5_lS8_lS9_lS7_lT8_i,"axG",@progbits,_ZL26rocblas_hemvn_kernel_upperILb1ELi64ELi4ELi33ELi32ELi16El19rocblas_complex_numIdEPKPKS1_PS1_EviT6_lT7_lT5_lS8_lS9_lS7_lT8_i,comdat
.Lfunc_end52:
	.size	_ZL26rocblas_hemvn_kernel_upperILb1ELi64ELi4ELi33ELi32ELi16El19rocblas_complex_numIdEPKPKS1_PS1_EviT6_lT7_lT5_lS8_lS9_lS7_lT8_i, .Lfunc_end52-_ZL26rocblas_hemvn_kernel_upperILb1ELi64ELi4ELi33ELi32ELi16El19rocblas_complex_numIdEPKPKS1_PS1_EviT6_lT7_lT5_lS8_lS9_lS7_lT8_i
                                        ; -- End function
	.section	.AMDGPU.csdata,"",@progbits
; Kernel info:
; codeLenInByte = 11044
; NumSgprs: 46
; NumVgprs: 231
; NumAgprs: 0
; TotalNumVgprs: 231
; ScratchSize: 0
; MemoryBound: 1
; FloatMode: 240
; IeeeMode: 1
; LDSByteSize: 19200 bytes/workgroup (compile time only)
; SGPRBlocks: 5
; VGPRBlocks: 28
; NumSGPRsForWavesPerEU: 46
; NumVGPRsForWavesPerEU: 231
; AccumOffset: 232
; Occupancy: 2
; WaveLimiterHint : 0
; COMPUTE_PGM_RSRC2:SCRATCH_EN: 0
; COMPUTE_PGM_RSRC2:USER_SGPR: 2
; COMPUTE_PGM_RSRC2:TRAP_HANDLER: 0
; COMPUTE_PGM_RSRC2:TGID_X_EN: 1
; COMPUTE_PGM_RSRC2:TGID_Y_EN: 0
; COMPUTE_PGM_RSRC2:TGID_Z_EN: 1
; COMPUTE_PGM_RSRC2:TIDIG_COMP_CNT: 1
; COMPUTE_PGM_RSRC3_GFX90A:ACCUM_OFFSET: 57
; COMPUTE_PGM_RSRC3_GFX90A:TG_SPLIT: 0
	.section	.text._ZL36rocblas_hemvn_kernel_upper_block_sumILi64El19rocblas_complex_numIdEPKPS1_S1_EviT1_lS5_lT2_lT0_lPT3_i,"axG",@progbits,_ZL36rocblas_hemvn_kernel_upper_block_sumILi64El19rocblas_complex_numIdEPKPS1_S1_EviT1_lS5_lT2_lT0_lPT3_i,comdat
	.globl	_ZL36rocblas_hemvn_kernel_upper_block_sumILi64El19rocblas_complex_numIdEPKPS1_S1_EviT1_lS5_lT2_lT0_lPT3_i ; -- Begin function _ZL36rocblas_hemvn_kernel_upper_block_sumILi64El19rocblas_complex_numIdEPKPS1_S1_EviT1_lS5_lT2_lT0_lPT3_i
	.p2align	8
	.type	_ZL36rocblas_hemvn_kernel_upper_block_sumILi64El19rocblas_complex_numIdEPKPS1_S1_EviT1_lS5_lT2_lT0_lPT3_i,@function
_ZL36rocblas_hemvn_kernel_upper_block_sumILi64El19rocblas_complex_numIdEPKPS1_S1_EviT1_lS5_lT2_lT0_lPT3_i: ; @_ZL36rocblas_hemvn_kernel_upper_block_sumILi64El19rocblas_complex_numIdEPKPS1_S1_EviT1_lS5_lT2_lT0_lPT3_i
; %bb.0:
	s_load_dwordx4 s[12:15], s[0:1], 0x8
	s_load_dwordx4 s[8:11], s[0:1], 0x20
	s_mov_b32 s20, s3
	s_waitcnt lgkmcnt(0)
	v_cmp_neq_f64_e64 s[4:5], s[12:13], 0
	v_cmp_neq_f64_e64 s[6:7], s[14:15], 0
	s_or_b64 s[16:17], s[4:5], s[6:7]
	s_mov_b64 s[4:5], -1
	s_and_b64 vcc, exec, s[16:17]
	s_cbranch_vccnz .LBB53_2
; %bb.1:
	v_cmp_neq_f64_e64 s[4:5], s[8:9], 1.0
	v_cmp_neq_f64_e64 s[6:7], s[10:11], 0
	s_or_b64 s[4:5], s[4:5], s[6:7]
.LBB53_2:
	s_andn2_b64 vcc, exec, s[4:5]
	s_cbranch_vccnz .LBB53_22
; %bb.3:
	s_load_dwordx2 s[18:19], s[0:1], 0x38
	s_load_dword s22, s[0:1], 0x0
	s_load_dwordx4 s[4:7], s[0:1], 0x40
	s_mov_b32 s21, 0
	s_lshl_b64 s[24:25], s[20:21], 3
	s_xor_b64 s[26:27], s[16:17], -1
	s_waitcnt lgkmcnt(0)
	s_add_u32 s16, s18, s24
	s_addc_u32 s17, s19, s25
	s_load_dwordx2 s[16:17], s[16:17], 0x0
	s_lshl_b64 s[4:5], s[4:5], 4
	v_lshl_or_b32 v4, s2, 6, v0
	s_waitcnt lgkmcnt(0)
	s_add_u32 s16, s16, s4
	s_addc_u32 s17, s17, s5
	s_andn2_b64 vcc, exec, s[26:27]
	v_cmp_gt_i32_e64 s[4:5], s22, v4
	s_cbranch_vccnz .LBB53_8
; %bb.4:
	s_mov_b64 s[24:25], 0
	s_mov_b64 s[18:19], 0
                                        ; implicit-def: $vgpr2_vgpr3
                                        ; implicit-def: $vgpr6_vgpr7
	s_and_saveexec_b64 s[26:27], s[4:5]
	s_cbranch_execz .LBB53_9
; %bb.5:
	v_cmp_neq_f64_e64 s[4:5], s[8:9], 0
	v_cmp_neq_f64_e64 s[18:19], s[10:11], 0
	v_ashrrev_i32_e32 v0, 31, v4
	v_mov_b64_e32 v[2:3], 0
	v_mul_lo_u32 v1, v4, s7
	v_mul_lo_u32 v0, v0, s6
	v_mad_u64_u32 v[6:7], s[28:29], v4, s6, 0
	s_or_b64 s[4:5], s[4:5], s[18:19]
	v_add3_u32 v7, v7, v1, v0
	s_andn2_b64 vcc, exec, s[4:5]
	v_mov_b64_e32 v[0:1], v[2:3]
	s_cbranch_vccnz .LBB53_7
; %bb.6:
	v_lshl_add_u64 v[0:1], v[6:7], 4, s[16:17]
	global_load_dwordx4 v[8:11], v[0:1], off
	s_waitcnt vmcnt(0)
	v_mul_f64 v[0:1], s[10:11], v[10:11]
	v_mul_f64 v[2:3], s[8:9], v[10:11]
	v_fma_f64 v[0:1], s[8:9], v[8:9], -v[0:1]
	v_fmac_f64_e32 v[2:3], s[10:11], v[8:9]
.LBB53_7:
	s_mov_b64 s[18:19], exec
	s_or_b64 exec, exec, s[26:27]
	s_and_b64 vcc, exec, s[24:25]
	s_cbranch_vccnz .LBB53_10
	s_branch .LBB53_20
.LBB53_8:
	s_mov_b64 s[18:19], 0
                                        ; implicit-def: $vgpr2_vgpr3
                                        ; implicit-def: $vgpr6_vgpr7
	s_cbranch_execnz .LBB53_10
	s_branch .LBB53_20
.LBB53_9:
	s_or_b64 exec, exec, s[26:27]
	s_and_b64 vcc, exec, s[24:25]
	s_cbranch_vccz .LBB53_20
.LBB53_10:
	v_cmp_gt_i32_e32 vcc, s22, v4
                                        ; implicit-def: $vgpr2_vgpr3
                                        ; implicit-def: $vgpr6_vgpr7
	s_and_saveexec_b64 s[4:5], vcc
	s_cbranch_execz .LBB53_19
; %bb.11:
	v_mov_b64_e32 v[0:1], 0
	v_ashrrev_i32_e32 v5, 31, v4
	s_cmp_lt_i32 s2, 0
	v_mov_b64_e32 v[6:7], v[0:1]
	s_cbranch_scc1 .LBB53_14
; %bb.12:
	s_load_dwordx2 s[24:25], s[0:1], 0x58
	s_load_dword s3, s[0:1], 0x68
	s_ashr_i32 s23, s22, 31
	s_mul_hi_u32 s0, s22, s20
	s_mul_i32 s1, s23, s20
	s_add_i32 s0, s0, s1
	s_mul_i32 s20, s22, s20
	s_waitcnt lgkmcnt(0)
	s_mul_i32 s0, s0, s3
	s_mul_hi_u32 s1, s20, s3
	s_add_i32 s1, s1, s0
	s_mul_i32 s0, s20, s3
	s_add_i32 s2, s2, 1
	s_lshl_b64 s[0:1], s[0:1], 4
	s_add_u32 s0, s24, s0
	s_addc_u32 s1, s25, s1
	v_lshl_add_u64 v[0:1], v[4:5], 4, s[0:1]
	v_lshl_add_u64 v[2:3], v[0:1], 0, 8
	v_mov_b64_e32 v[0:1], 0
	s_lshl_b64 s[0:1], s[22:23], 4
	v_mov_b64_e32 v[6:7], v[0:1]
.LBB53_13:                              ; =>This Inner Loop Header: Depth=1
	global_load_dwordx4 v[8:11], v[2:3], off offset:-8
	s_add_i32 s2, s2, -1
	v_lshl_add_u64 v[2:3], v[2:3], 0, s[0:1]
	s_cmp_eq_u32 s2, 0
	s_waitcnt vmcnt(0)
	v_add_f64 v[6:7], v[6:7], v[8:9]
	v_add_f64 v[0:1], v[0:1], v[10:11]
	s_cbranch_scc0 .LBB53_13
.LBB53_14:
	v_cmp_neq_f64_e64 s[2:3], s[8:9], 0
	v_cmp_neq_f64_e64 s[20:21], s[10:11], 0
	s_or_b64 s[2:3], s[2:3], s[20:21]
	v_mul_f64 v[8:9], s[14:15], v[0:1]
	v_mul_f64 v[2:3], s[12:13], v[0:1]
	s_mov_b64 s[0:1], 0
	s_andn2_b64 vcc, exec, s[2:3]
	v_fma_f64 v[0:1], s[12:13], v[6:7], -v[8:9]
	v_fmac_f64_e32 v[2:3], s[14:15], v[6:7]
	v_mul_lo_u32 v5, v5, s6
	v_mul_lo_u32 v8, v4, s7
	s_cbranch_vccz .LBB53_16
; %bb.15:
	v_mad_u64_u32 v[6:7], s[2:3], v4, s6, 0
	v_add3_u32 v7, v7, v8, v5
	s_andn2_b64 vcc, exec, s[0:1]
	s_cbranch_vccz .LBB53_17
	s_branch .LBB53_18
.LBB53_16:
                                        ; implicit-def: $vgpr6_vgpr7
.LBB53_17:
	v_mad_u64_u32 v[6:7], s[0:1], v4, s6, 0
	v_add3_u32 v7, v7, v8, v5
	v_lshl_add_u64 v[4:5], v[6:7], 4, s[16:17]
	global_load_dwordx4 v[8:11], v[4:5], off
	s_waitcnt vmcnt(0)
	v_mul_f64 v[4:5], s[10:11], v[10:11]
	v_mul_f64 v[10:11], s[8:9], v[10:11]
	v_fma_f64 v[4:5], s[8:9], v[8:9], -v[4:5]
	v_fmac_f64_e32 v[10:11], s[10:11], v[8:9]
	v_add_f64 v[0:1], v[0:1], v[4:5]
	v_add_f64 v[2:3], v[2:3], v[10:11]
.LBB53_18:
	s_or_b64 s[18:19], s[18:19], exec
.LBB53_19:
	s_or_b64 exec, exec, s[4:5]
.LBB53_20:
	s_and_saveexec_b64 s[0:1], s[18:19]
	s_cbranch_execz .LBB53_22
; %bb.21:
	v_lshl_add_u64 v[4:5], v[6:7], 4, s[16:17]
	global_store_dwordx4 v[4:5], v[0:3], off
.LBB53_22:
	s_endpgm
	.section	.rodata,"a",@progbits
	.p2align	6, 0x0
	.amdhsa_kernel _ZL36rocblas_hemvn_kernel_upper_block_sumILi64El19rocblas_complex_numIdEPKPS1_S1_EviT1_lS5_lT2_lT0_lPT3_i
		.amdhsa_group_segment_fixed_size 0
		.amdhsa_private_segment_fixed_size 0
		.amdhsa_kernarg_size 360
		.amdhsa_user_sgpr_count 2
		.amdhsa_user_sgpr_dispatch_ptr 0
		.amdhsa_user_sgpr_queue_ptr 0
		.amdhsa_user_sgpr_kernarg_segment_ptr 1
		.amdhsa_user_sgpr_dispatch_id 0
		.amdhsa_user_sgpr_kernarg_preload_length 0
		.amdhsa_user_sgpr_kernarg_preload_offset 0
		.amdhsa_user_sgpr_private_segment_size 0
		.amdhsa_uses_dynamic_stack 0
		.amdhsa_enable_private_segment 0
		.amdhsa_system_sgpr_workgroup_id_x 1
		.amdhsa_system_sgpr_workgroup_id_y 0
		.amdhsa_system_sgpr_workgroup_id_z 1
		.amdhsa_system_sgpr_workgroup_info 0
		.amdhsa_system_vgpr_workitem_id 0
		.amdhsa_next_free_vgpr 12
		.amdhsa_next_free_sgpr 30
		.amdhsa_accum_offset 12
		.amdhsa_reserve_vcc 1
		.amdhsa_float_round_mode_32 0
		.amdhsa_float_round_mode_16_64 0
		.amdhsa_float_denorm_mode_32 3
		.amdhsa_float_denorm_mode_16_64 3
		.amdhsa_dx10_clamp 1
		.amdhsa_ieee_mode 1
		.amdhsa_fp16_overflow 0
		.amdhsa_tg_split 0
		.amdhsa_exception_fp_ieee_invalid_op 0
		.amdhsa_exception_fp_denorm_src 0
		.amdhsa_exception_fp_ieee_div_zero 0
		.amdhsa_exception_fp_ieee_overflow 0
		.amdhsa_exception_fp_ieee_underflow 0
		.amdhsa_exception_fp_ieee_inexact 0
		.amdhsa_exception_int_div_zero 0
	.end_amdhsa_kernel
	.section	.text._ZL36rocblas_hemvn_kernel_upper_block_sumILi64El19rocblas_complex_numIdEPKPS1_S1_EviT1_lS5_lT2_lT0_lPT3_i,"axG",@progbits,_ZL36rocblas_hemvn_kernel_upper_block_sumILi64El19rocblas_complex_numIdEPKPS1_S1_EviT1_lS5_lT2_lT0_lPT3_i,comdat
.Lfunc_end53:
	.size	_ZL36rocblas_hemvn_kernel_upper_block_sumILi64El19rocblas_complex_numIdEPKPS1_S1_EviT1_lS5_lT2_lT0_lPT3_i, .Lfunc_end53-_ZL36rocblas_hemvn_kernel_upper_block_sumILi64El19rocblas_complex_numIdEPKPS1_S1_EviT1_lS5_lT2_lT0_lPT3_i
                                        ; -- End function
	.section	.AMDGPU.csdata,"",@progbits
; Kernel info:
; codeLenInByte = 760
; NumSgprs: 36
; NumVgprs: 12
; NumAgprs: 0
; TotalNumVgprs: 12
; ScratchSize: 0
; MemoryBound: 0
; FloatMode: 240
; IeeeMode: 1
; LDSByteSize: 0 bytes/workgroup (compile time only)
; SGPRBlocks: 4
; VGPRBlocks: 1
; NumSGPRsForWavesPerEU: 36
; NumVGPRsForWavesPerEU: 12
; AccumOffset: 12
; Occupancy: 8
; WaveLimiterHint : 1
; COMPUTE_PGM_RSRC2:SCRATCH_EN: 0
; COMPUTE_PGM_RSRC2:USER_SGPR: 2
; COMPUTE_PGM_RSRC2:TRAP_HANDLER: 0
; COMPUTE_PGM_RSRC2:TGID_X_EN: 1
; COMPUTE_PGM_RSRC2:TGID_Y_EN: 0
; COMPUTE_PGM_RSRC2:TGID_Z_EN: 1
; COMPUTE_PGM_RSRC2:TIDIG_COMP_CNT: 0
; COMPUTE_PGM_RSRC3_GFX90A:ACCUM_OFFSET: 2
; COMPUTE_PGM_RSRC3_GFX90A:TG_SPLIT: 0
	.section	.text._ZL26rocblas_hemvn_kernel_upperILb1ELi64ELi4ELi33ELi32ELi16Ei19rocblas_complex_numIdEPKPKS1_PS1_EviT6_lT7_lT5_lS8_lS9_lS7_lT8_i,"axG",@progbits,_ZL26rocblas_hemvn_kernel_upperILb1ELi64ELi4ELi33ELi32ELi16Ei19rocblas_complex_numIdEPKPKS1_PS1_EviT6_lT7_lT5_lS8_lS9_lS7_lT8_i,comdat
	.globl	_ZL26rocblas_hemvn_kernel_upperILb1ELi64ELi4ELi33ELi32ELi16Ei19rocblas_complex_numIdEPKPKS1_PS1_EviT6_lT7_lT5_lS8_lS9_lS7_lT8_i ; -- Begin function _ZL26rocblas_hemvn_kernel_upperILb1ELi64ELi4ELi33ELi32ELi16Ei19rocblas_complex_numIdEPKPKS1_PS1_EviT6_lT7_lT5_lS8_lS9_lS7_lT8_i
	.p2align	8
	.type	_ZL26rocblas_hemvn_kernel_upperILb1ELi64ELi4ELi33ELi32ELi16Ei19rocblas_complex_numIdEPKPKS1_PS1_EviT6_lT7_lT5_lS8_lS9_lS7_lT8_i,@function
_ZL26rocblas_hemvn_kernel_upperILb1ELi64ELi4ELi33ELi32ELi16Ei19rocblas_complex_numIdEPKPKS1_PS1_EviT6_lT7_lT5_lS8_lS9_lS7_lT8_i: ; @_ZL26rocblas_hemvn_kernel_upperILb1ELi64ELi4ELi33ELi32ELi16Ei19rocblas_complex_numIdEPKPKS1_PS1_EviT6_lT7_lT5_lS8_lS9_lS7_lT8_i
; %bb.0:
	s_load_dwordx2 s[4:5], s[0:1], 0x94
	s_add_u32 s8, s0, 0x88
	s_mov_b32 s22, s3
	s_addc_u32 s9, s1, 0
	s_waitcnt lgkmcnt(0)
	s_and_b32 s3, s5, 0xffff
	s_lshr_b32 s5, s4, 16
	s_and_b32 s4, s4, 0xffff
	s_mul_i32 s4, s5, s4
	s_mul_i32 s4, s4, s3
	s_cmpk_lg_i32 s4, 0x100
	s_cbranch_scc1 .LBB54_190
; %bb.1:
	s_load_dwordx4 s[12:15], s[0:1], 0x8
	s_mov_b64 s[4:5], 0
	s_waitcnt lgkmcnt(0)
	v_cmp_neq_f64_e64 s[6:7], s[12:13], 0
	v_cmp_neq_f64_e64 s[10:11], s[14:15], 0
	s_or_b64 s[10:11], s[6:7], s[10:11]
	s_and_b64 vcc, exec, s[10:11]
	s_cbranch_vccnz .LBB54_3
; %bb.2:
	s_load_dwordx4 s[12:15], s[0:1], 0x60
	s_mov_b64 s[6:7], 0
	s_waitcnt lgkmcnt(0)
	v_cmp_neq_f64_e64 s[4:5], s[12:13], 1.0
	v_cmp_neq_f64_e64 s[12:13], s[14:15], 0
	s_or_b64 s[4:5], s[4:5], s[12:13]
	s_cbranch_execz .LBB54_4
	s_branch .LBB54_5
.LBB54_3:
	s_mov_b64 s[6:7], -1
.LBB54_4:
	s_load_dwordx4 s[4:7], s[0:1], 0x20
	s_mov_b32 s23, 0
	s_lshl_b64 s[12:13], s[22:23], 3
	s_waitcnt lgkmcnt(0)
	s_add_u32 s4, s4, s12
	s_addc_u32 s5, s5, s13
	s_load_dwordx2 s[4:5], s[4:5], 0x0
	s_lshl_b64 s[6:7], s[6:7], 4
	s_waitcnt lgkmcnt(0)
	s_add_u32 s6, s4, s6
	s_addc_u32 s7, s5, s7
	s_mov_b64 s[4:5], -1
.LBB54_5:
	s_andn2_b64 vcc, exec, s[4:5]
	s_cbranch_vccnz .LBB54_190
; %bb.6:
	v_cndmask_b32_e64 v1, 0, 1, s[10:11]
	v_cmp_ne_u32_e64 s[4:5], 1, v1
	s_andn2_b64 vcc, exec, s[10:11]
	s_mov_b64 s[10:11], 0
	s_cbranch_vccnz .LBB54_8
; %bb.7:
	s_load_dwordx4 s[12:15], s[0:1], 0x40
	s_mov_b32 s23, 0
	s_lshl_b64 s[10:11], s[22:23], 3
	s_waitcnt lgkmcnt(0)
	s_add_u32 s10, s12, s10
	s_addc_u32 s11, s13, s11
	s_load_dwordx2 s[10:11], s[10:11], 0x0
	s_lshl_b64 s[12:13], s[14:15], 4
	s_waitcnt lgkmcnt(0)
	s_add_u32 s10, s10, s12
	s_addc_u32 s11, s11, s13
.LBB54_8:
	s_and_b64 vcc, exec, s[4:5]
	s_cbranch_vccnz .LBB54_190
; %bb.9:
	s_load_dword s3, s[8:9], 0x0
	s_load_dword s34, s[0:1], 0x0
	;; [unrolled: 1-line block ×3, first 2 shown]
	v_and_b32_e32 v168, 0x3ff, v0
	s_lshl_b32 s24, s2, 6
	v_add_u32_e32 v166, s24, v168
	s_waitcnt lgkmcnt(0)
	s_ashr_i32 s35, s34, 31
	s_lshr_b32 s5, s35, 26
	s_add_i32 s5, s34, s5
	s_andn2_b32 s5, s5, 63
	v_bfe_u32 v167, v0, 10, 10
	s_add_i32 s4, s3, -1
	s_sub_i32 s33, s34, s5
	v_mul_lo_u32 v0, v166, s23
	s_cmp_eq_u32 s2, s4
	v_ashrrev_i32_e32 v1, 31, v0
	s_cselect_b32 s18, s33, 0
	v_lshl_add_u64 v[38:39], v[0:1], 4, s[10:11]
	v_cmp_eq_u32_e64 s[4:5], 0, v167
	s_and_saveexec_b64 s[8:9], s[4:5]
	s_cbranch_execz .LBB54_14
; %bb.10:
	s_cmp_lg_u32 s18, 0
	s_cselect_b64 s[10:11], -1, 0
	v_cmp_le_i32_e32 vcc, s18, v168
	v_mov_b32_e32 v0, 0x4700
	s_and_b64 s[10:11], s[10:11], vcc
	v_lshl_add_u32 v0, v168, 4, v0
	s_and_saveexec_b64 s[12:13], s[10:11]
	s_xor_b64 s[10:11], exec, s[12:13]
	s_cbranch_execz .LBB54_12
; %bb.11:
	v_mov_b32_e32 v2, 0
	v_mov_b32_e32 v3, v2
	;; [unrolled: 1-line block ×4, first 2 shown]
	ds_write_b128 v0, v[2:5]
                                        ; implicit-def: $vgpr0
.LBB54_12:
	s_andn2_saveexec_b64 s[10:11], s[10:11]
	s_cbranch_execz .LBB54_14
; %bb.13:
	flat_load_dwordx4 v[2:5], v[38:39]
	s_waitcnt vmcnt(0) lgkmcnt(0)
	ds_write2_b64 v0, v[2:3], v[4:5] offset1:1
.LBB54_14:
	s_or_b64 exec, exec, s[8:9]
	s_load_dword s26, s[0:1], 0x30
	s_ashr_i32 s25, s24, 31
	v_lshl_add_u32 v42, v167, 6, v168
	s_lshl_b64 s[8:9], s[24:25], 4
	v_and_b32_e32 v4, 31, v168
	v_lshrrev_b32_e32 v5, 5, v42
	s_add_u32 s8, s6, s8
	s_addc_u32 s9, s7, s9
	s_waitcnt lgkmcnt(0)
	v_mad_u64_u32 v[36:37], s[6:7], v5, s26, v[4:5]
	s_mul_i32 s6, s24, s26
	s_ashr_i32 s7, s6, 31
	s_lshl_b64 s[6:7], s[6:7], 4
	s_add_u32 s6, s6, s8
	s_addc_u32 s7, s7, s9
	s_cmp_eq_u32 s18, 0
	s_cselect_b64 s[20:21], -1, 0
	s_cmp_lg_u32 s18, 0
	v_ashrrev_i32_e32 v37, 31, v36
	s_cselect_b64 s[30:31], -1, 0
	v_lshl_add_u64 v[0:1], v[36:37], 4, s[6:7]
	s_and_b64 vcc, exec, s[30:31]
	v_cmp_gt_i32_e64 s[6:7], s18, v4
	v_lshlrev_b32_e32 v6, 4, v4
	v_mul_u32_u24_e32 v14, 33, v5
	s_cbranch_vccz .LBB54_32
; %bb.15:
	v_sub_co_u32_e32 v2, vcc, v0, v6
	s_ashr_i32 s19, s18, 31
	s_nop 0
	v_subbrev_co_u32_e32 v3, vcc, 0, v1, vcc
	v_lshl_add_u64 v[2:3], s[18:19], 4, v[2:3]
	v_lshl_add_u64 v[2:3], v[2:3], 0, -16
	v_cndmask_b32_e64 v3, v3, v1, s[6:7]
	v_cndmask_b32_e64 v2, v2, v0, s[6:7]
	v_cmp_le_i32_e32 vcc, s18, v5
	v_add_lshl_u32 v7, v14, v4, 4
	s_and_saveexec_b64 s[8:9], vcc
	s_xor_b64 s[8:9], exec, s[8:9]
	s_cbranch_execz .LBB54_17
; %bb.16:
	v_mov_b32_e32 v8, 0
	v_mov_b32_e32 v9, v8
	;; [unrolled: 1-line block ×4, first 2 shown]
	ds_write_b128 v7, v[8:11]
.LBB54_17:
	s_andn2_saveexec_b64 s[8:9], s[8:9]
	s_cbranch_execz .LBB54_19
; %bb.18:
	flat_load_dwordx4 v[8:11], v[2:3]
	s_waitcnt vmcnt(0) lgkmcnt(0)
	ds_write2_b64 v7, v[8:9], v[10:11] offset1:1
.LBB54_19:
	s_or_b64 exec, exec, s[8:9]
	v_add_u32_e32 v8, 8, v5
	v_cmp_le_i32_e32 vcc, s18, v8
	s_and_saveexec_b64 s[8:9], vcc
	s_xor_b64 s[8:9], exec, s[8:9]
	s_cbranch_execz .LBB54_21
; %bb.20:
	v_mul_u32_u24_e32 v8, 33, v8
	v_add_lshl_u32 v12, v8, v4, 4
	v_mov_b32_e32 v8, 0
	v_mov_b32_e32 v9, v8
	;; [unrolled: 1-line block ×4, first 2 shown]
	ds_write_b128 v12, v[8:11]
.LBB54_21:
	s_andn2_saveexec_b64 s[8:9], s[8:9]
	s_cbranch_execz .LBB54_23
; %bb.22:
	s_lshl_b32 s10, s26, 3
	s_ashr_i32 s11, s10, 31
	v_lshl_add_u64 v[8:9], s[10:11], 4, v[2:3]
	flat_load_dwordx4 v[8:11], v[8:9]
	v_add_u32_e32 v12, 0x1080, v7
	s_waitcnt vmcnt(0) lgkmcnt(0)
	ds_write2_b64 v12, v[8:9], v[10:11] offset1:1
.LBB54_23:
	s_or_b64 exec, exec, s[8:9]
	v_add_u32_e32 v8, 16, v5
	v_cmp_le_i32_e32 vcc, s18, v8
	s_and_saveexec_b64 s[8:9], vcc
	s_xor_b64 s[8:9], exec, s[8:9]
	s_cbranch_execz .LBB54_25
; %bb.24:
	v_mul_u32_u24_e32 v8, 33, v8
	v_add_lshl_u32 v12, v8, v4, 4
	v_mov_b32_e32 v8, 0
	v_mov_b32_e32 v9, v8
	v_mov_b32_e32 v10, v8
	v_mov_b32_e32 v11, v8
	ds_write_b128 v12, v[8:11]
.LBB54_25:
	s_andn2_saveexec_b64 s[8:9], s[8:9]
	s_cbranch_execz .LBB54_27
; %bb.26:
	s_lshl_b32 s10, s26, 4
	s_ashr_i32 s11, s10, 31
	v_lshl_add_u64 v[8:9], s[10:11], 4, v[2:3]
	flat_load_dwordx4 v[8:11], v[8:9]
	v_add_u32_e32 v12, 0x2100, v7
	s_waitcnt vmcnt(0) lgkmcnt(0)
	ds_write2_b64 v12, v[8:9], v[10:11] offset1:1
.LBB54_27:
	s_or_b64 exec, exec, s[8:9]
	v_add_u32_e32 v8, 24, v5
	v_cmp_le_i32_e32 vcc, s18, v8
	s_and_saveexec_b64 s[8:9], vcc
	s_xor_b64 s[8:9], exec, s[8:9]
	s_cbranch_execz .LBB54_29
; %bb.28:
	v_mov_b32_e32 v8, 0
	v_mov_b32_e32 v9, v8
	;; [unrolled: 1-line block ×4, first 2 shown]
	ds_write_b128 v7, v[8:11] offset:12672
                                        ; implicit-def: $vgpr7
.LBB54_29:
	s_andn2_saveexec_b64 s[8:9], s[8:9]
	s_cbranch_execz .LBB54_31
; %bb.30:
	s_mul_i32 s10, s26, 24
	s_ashr_i32 s11, s10, 31
	v_lshl_add_u64 v[8:9], s[10:11], 4, v[2:3]
	flat_load_dwordx4 v[8:11], v[8:9]
	v_add_u32_e32 v7, 0x3180, v7
	s_waitcnt vmcnt(0) lgkmcnt(0)
	ds_write2_b64 v7, v[8:9], v[10:11] offset1:1
.LBB54_31:
	s_or_b64 exec, exec, s[8:9]
	v_mov_b32_e32 v7, 0
	v_lshl_add_u64 v[2:3], v[2:3], 0, v[6:7]
	s_lshl_b64 s[8:9], s[18:19], 4
	v_mov_b32_e32 v7, s9
	v_subrev_co_u32_e32 v2, vcc, s8, v2
	s_nop 1
	v_subb_co_u32_e32 v3, vcc, v3, v7, vcc
	v_lshl_add_u64 v[2:3], v[2:3], 0, 16
	v_cndmask_b32_e64 v9, v3, v1, s[6:7]
	v_cndmask_b32_e64 v8, v2, v0, s[6:7]
	s_branch .LBB54_34
.LBB54_32:
                                        ; implicit-def: $vgpr8_vgpr9
	s_cbranch_execz .LBB54_34
; %bb.33:
	flat_load_dwordx4 v[8:11], v[0:1]
	s_lshl_b32 s6, s26, 3
	v_add_lshl_u32 v7, v14, v4, 4
	s_ashr_i32 s7, s6, 31
	v_lshl_add_u64 v[2:3], s[6:7], 4, v[0:1]
	s_ashr_i32 s27, s26, 31
	v_add_u32_e32 v12, 0x1080, v7
	s_lshl_b64 s[6:7], s[26:27], 7
	s_waitcnt vmcnt(0) lgkmcnt(0)
	ds_write2_b64 v7, v[8:9], v[10:11] offset1:1
	flat_load_dwordx4 v[8:11], v[2:3]
	v_lshl_add_u64 v[2:3], v[2:3], 0, s[6:7]
	s_waitcnt vmcnt(0) lgkmcnt(0)
	ds_write2_b64 v12, v[8:9], v[10:11] offset1:1
	flat_load_dwordx4 v[8:11], v[2:3]
	v_add_u32_e32 v12, 0x2100, v7
	v_lshl_add_u64 v[2:3], v[2:3], 0, s[6:7]
	s_waitcnt vmcnt(0) lgkmcnt(0)
	ds_write2_b64 v12, v[8:9], v[10:11] offset1:1
	flat_load_dwordx4 v[8:11], v[2:3]
	v_add_u32_e32 v2, 0x3180, v7
	s_waitcnt vmcnt(0) lgkmcnt(0)
	ds_write2_b64 v2, v[8:9], v[10:11] offset1:1
	v_mov_b64_e32 v[8:9], v[0:1]
.LBB54_34:
	v_lshlrev_b32_e32 v19, 2, v5
	v_cmp_le_u32_e64 s[6:7], v19, v4
	s_waitcnt lgkmcnt(0)
	s_barrier
	s_and_saveexec_b64 s[8:9], s[6:7]
	s_xor_b64 s[8:9], exec, s[8:9]
	s_cbranch_execz .LBB54_38
; %bb.35:
	v_cmp_eq_u32_e32 vcc, v19, v4
	s_and_saveexec_b64 s[10:11], vcc
	s_cbranch_execz .LBB54_37
; %bb.36:
	v_mul_u32_u24_e32 v0, 34, v4
	v_lshlrev_b32_e32 v2, 4, v0
	v_mov_b32_e32 v0, 0
	v_mov_b32_e32 v1, v0
	ds_write_b64 v2, v[0:1] offset:8
.LBB54_37:
	s_or_b64 exec, exec, s[10:11]
.LBB54_38:
	s_or_saveexec_b64 s[8:9], s[8:9]
	v_mul_u32_u24_e32 v15, 33, v4
	v_add_lshl_u32 v17, v19, v15, 4
	s_xor_b64 exec, exec, s[8:9]
	s_cbranch_execz .LBB54_40
; %bb.39:
	v_mul_u32_u24_e32 v0, 0x84, v5
	v_add_lshl_u32 v0, v0, v4, 4
	ds_read_b128 v[0:3], v0
	s_waitcnt lgkmcnt(0)
	v_xor_b32_e32 v3, 0x80000000, v3
	ds_write_b128 v17, v[0:3]
.LBB54_40:
	s_or_b64 exec, exec, s[8:9]
	v_or_b32_e32 v18, 1, v19
	v_cmp_ge_u32_e64 s[8:9], v19, v4
	v_mul_u32_u24_e32 v0, 33, v18
	s_and_saveexec_b64 s[10:11], s[8:9]
	s_xor_b64 s[10:11], exec, s[10:11]
	s_cbranch_execz .LBB54_42
; %bb.41:
	v_add_lshl_u32 v1, v0, v4, 4
	ds_read_b128 v[10:13], v1
	s_waitcnt lgkmcnt(0)
	v_xor_b32_e32 v13, 0x80000000, v13
	ds_write_b128 v17, v[10:13] offset:16
.LBB54_42:
	s_andn2_saveexec_b64 s[10:11], s[10:11]
	s_cbranch_execz .LBB54_46
; %bb.43:
	v_cmp_eq_u32_e32 vcc, v18, v4
	s_and_saveexec_b64 s[12:13], vcc
	s_cbranch_execz .LBB54_45
; %bb.44:
	v_mul_u32_u24_e32 v1, 34, v4
	v_mov_b32_e32 v2, 0
	v_lshlrev_b32_e32 v1, 4, v1
	v_mov_b32_e32 v3, v2
	ds_write_b64 v1, v[2:3] offset:8
.LBB54_45:
	s_or_b64 exec, exec, s[12:13]
.LBB54_46:
	s_or_b64 exec, exec, s[10:11]
	v_or_b32_e32 v20, 2, v19
	v_cmp_le_u32_e64 s[10:11], v20, v4
	s_and_saveexec_b64 s[12:13], s[10:11]
	s_xor_b64 s[12:13], exec, s[12:13]
	s_cbranch_execz .LBB54_50
; %bb.47:
	v_cmp_eq_u32_e32 vcc, v20, v4
	s_and_saveexec_b64 s[14:15], vcc
	s_cbranch_execz .LBB54_49
; %bb.48:
	v_mul_u32_u24_e32 v1, 34, v4
	v_mov_b32_e32 v2, 0
	v_lshlrev_b32_e32 v1, 4, v1
	v_mov_b32_e32 v3, v2
	ds_write_b64 v1, v[2:3] offset:8
.LBB54_49:
	s_or_b64 exec, exec, s[14:15]
.LBB54_50:
	s_andn2_saveexec_b64 s[12:13], s[12:13]
	s_cbranch_execz .LBB54_52
; %bb.51:
	v_mul_u32_u24_e32 v1, 33, v20
	v_add_lshl_u32 v1, v1, v4, 4
	ds_read_b128 v[10:13], v1
	s_waitcnt lgkmcnt(0)
	v_xor_b32_e32 v13, 0x80000000, v13
	ds_write_b128 v17, v[10:13] offset:32
.LBB54_52:
	s_or_b64 exec, exec, s[12:13]
	v_or_b32_e32 v21, 3, v19
	v_cmp_le_u32_e64 s[12:13], v21, v4
	s_and_saveexec_b64 s[14:15], s[12:13]
	s_xor_b64 s[14:15], exec, s[14:15]
	s_cbranch_execz .LBB54_56
; %bb.53:
	v_cmp_eq_u32_e32 vcc, v21, v4
	s_and_saveexec_b64 s[16:17], vcc
	s_cbranch_execz .LBB54_55
; %bb.54:
	v_mul_u32_u24_e32 v1, 34, v4
	v_mov_b32_e32 v2, 0
	v_lshlrev_b32_e32 v1, 4, v1
	v_mov_b32_e32 v3, v2
	ds_write_b64 v1, v[2:3] offset:8
.LBB54_55:
	s_or_b64 exec, exec, s[16:17]
.LBB54_56:
	s_andn2_saveexec_b64 s[14:15], s[14:15]
	s_cbranch_execz .LBB54_58
; %bb.57:
	v_mul_u32_u24_e32 v1, 33, v21
	v_add_lshl_u32 v1, v1, v4, 4
	ds_read_b128 v[10:13], v1
	s_waitcnt lgkmcnt(0)
	v_xor_b32_e32 v13, 0x80000000, v13
	ds_write_b128 v17, v[10:13] offset:48
.LBB54_58:
	s_or_b64 exec, exec, s[14:15]
	v_mul_u32_u24_e32 v1, 0x84, v5
	v_lshlrev_b32_e32 v22, 4, v19
	s_waitcnt lgkmcnt(0)
	s_barrier
	v_add_lshl_u32 v16, v1, v4, 4
	ds_read_b128 v[10:13], v22 offset:18176
	ds_read_b128 v[24:27], v22 offset:18192
	ds_read_b128 v[28:31], v16
	ds_read_b128 v[32:35], v22 offset:18208
	ds_read_b128 v[46:49], v22 offset:18224
	v_add_lshl_u32 v45, v0, v4, 4
	ds_read_b128 v[0:3], v45
	s_waitcnt lgkmcnt(3)
	v_mul_f64 v[40:41], v[12:13], v[30:31]
	v_fma_f64 v[40:41], v[10:11], v[28:29], -v[40:41]
	v_mul_f64 v[10:11], v[10:11], v[30:31]
	v_fmac_f64_e32 v[10:11], v[12:13], v[28:29]
	v_add_f64 v[30:31], v[10:11], 0
	s_waitcnt lgkmcnt(0)
	v_mul_f64 v[10:11], v[26:27], v[2:3]
	v_add_f64 v[28:29], v[40:41], 0
	v_fma_f64 v[40:41], v[24:25], v[0:1], -v[10:11]
	v_mul_f64 v[2:3], v[24:25], v[2:3]
	ds_read_b128 v[10:13], v45 offset:528
	v_fmac_f64_e32 v[2:3], v[26:27], v[0:1]
	v_add_f64 v[26:27], v[30:31], v[2:3]
	ds_read_b128 v[0:3], v45 offset:1056
	v_add_f64 v[24:25], v[28:29], v[40:41]
	s_waitcnt lgkmcnt(1)
	v_mul_f64 v[28:29], v[34:35], v[12:13]
	v_fma_f64 v[28:29], v[32:33], v[10:11], -v[28:29]
	v_mul_f64 v[12:13], v[32:33], v[12:13]
	v_fmac_f64_e32 v[12:13], v[34:35], v[10:11]
	v_add_f64 v[10:11], v[24:25], v[28:29]
	s_waitcnt lgkmcnt(0)
	v_mul_f64 v[24:25], v[48:49], v[2:3]
	v_mul_f64 v[2:3], v[46:47], v[2:3]
	v_add_f64 v[12:13], v[26:27], v[12:13]
	v_fma_f64 v[24:25], v[46:47], v[0:1], -v[24:25]
	v_fmac_f64_e32 v[2:3], v[48:49], v[0:1]
	v_add_f64 v[0:1], v[10:11], v[24:25]
	v_add_f64 v[2:3], v[12:13], v[2:3]
	v_add_lshl_u32 v44, v5, v15, 4
	s_barrier
	ds_write_b128 v44, v[0:3]
	v_mov_b64_e32 v[0:1], 0
	v_cmp_gt_u32_e64 s[14:15], 32, v42
	v_lshlrev_b32_e32 v43, 4, v15
	v_mov_b64_e32 v[2:3], v[0:1]
	s_waitcnt lgkmcnt(0)
	s_barrier
	s_and_saveexec_b64 s[16:17], s[14:15]
	s_cbranch_execz .LBB54_60
; %bb.59:
	ds_read_b128 v[0:3], v43
	ds_read_b128 v[10:13], v43 offset:16
	ds_read_b128 v[24:27], v43 offset:32
	;; [unrolled: 1-line block ×3, first 2 shown]
	s_waitcnt lgkmcnt(2)
	v_add_f64 v[0:1], v[10:11], v[0:1]
	v_add_f64 v[10:11], v[12:13], v[2:3]
	s_waitcnt lgkmcnt(1)
	v_add_f64 v[12:13], v[0:1], v[24:25]
	ds_read_b128 v[0:3], v43 offset:64
	v_add_f64 v[10:11], v[10:11], v[26:27]
	s_waitcnt lgkmcnt(1)
	v_add_f64 v[24:25], v[12:13], v[28:29]
	v_add_f64 v[28:29], v[10:11], v[30:31]
	ds_read_b128 v[10:13], v43 offset:80
	s_waitcnt lgkmcnt(1)
	v_add_f64 v[30:31], v[24:25], v[0:1]
	ds_read_b128 v[24:27], v43 offset:96
	v_add_f64 v[28:29], v[28:29], v[2:3]
	ds_read_b128 v[0:3], v43 offset:112
	s_waitcnt lgkmcnt(2)
	v_add_f64 v[10:11], v[30:31], v[10:11]
	v_add_f64 v[12:13], v[28:29], v[12:13]
	s_waitcnt lgkmcnt(1)
	v_add_f64 v[10:11], v[10:11], v[24:25]
	v_add_f64 v[12:13], v[12:13], v[26:27]
	;; [unrolled: 3-line block ×3, first 2 shown]
.LBB54_60:
	s_or_b64 exec, exec, s[16:17]
	s_lshl_b32 s28, s26, 5
	s_ashr_i32 s29, s28, 31
	v_lshl_add_u64 v[12:13], s[28:29], 4, v[8:9]
	s_mov_b64 s[16:17], 0x200
	v_lshl_add_u64 v[10:11], v[12:13], 0, s[16:17]
	s_and_b64 vcc, exec, s[30:31]
	s_barrier
	s_cbranch_vccz .LBB54_78
; %bb.61:
	v_or_b32_e32 v7, 32, v4
	v_lshlrev_b32_e32 v8, 4, v7
	v_sub_co_u32_e32 v8, vcc, v10, v8
	s_ashr_i32 s19, s18, 31
	s_nop 0
	v_subbrev_co_u32_e32 v9, vcc, 0, v11, vcc
	v_lshl_add_u64 v[8:9], s[18:19], 4, v[8:9]
	v_lshl_add_u64 v[8:9], v[8:9], 0, -16
	v_cmp_gt_i32_e32 vcc, s18, v7
	s_sub_i32 s25, s18, 32
	v_cmp_le_i32_e64 s[16:17], s25, v5
	v_cndmask_b32_e32 v9, v9, v11, vcc
	v_cndmask_b32_e32 v8, v8, v10, vcc
	v_add_lshl_u32 v7, v14, v4, 4
	s_and_saveexec_b64 s[36:37], s[16:17]
	s_xor_b64 s[16:17], exec, s[36:37]
	s_cbranch_execz .LBB54_63
; %bb.62:
	v_mov_b32_e32 v24, 0
	v_mov_b32_e32 v25, v24
	;; [unrolled: 1-line block ×4, first 2 shown]
	ds_write_b128 v7, v[24:27]
.LBB54_63:
	s_andn2_saveexec_b64 s[16:17], s[16:17]
	s_cbranch_execz .LBB54_65
; %bb.64:
	flat_load_dwordx4 v[24:27], v[8:9]
	s_waitcnt vmcnt(0) lgkmcnt(0)
	ds_write2_b64 v7, v[24:25], v[26:27] offset1:1
.LBB54_65:
	s_or_b64 exec, exec, s[16:17]
	v_add_u32_e32 v23, 8, v5
	v_cmp_le_i32_e64 s[16:17], s25, v23
	s_and_saveexec_b64 s[36:37], s[16:17]
	s_xor_b64 s[16:17], exec, s[36:37]
	s_cbranch_execz .LBB54_67
; %bb.66:
	v_mul_u32_u24_e32 v23, 33, v23
	v_mov_b32_e32 v24, 0
	v_add_lshl_u32 v23, v23, v4, 4
	v_mov_b32_e32 v25, v24
	v_mov_b32_e32 v26, v24
	;; [unrolled: 1-line block ×3, first 2 shown]
	ds_write_b128 v23, v[24:27]
.LBB54_67:
	s_andn2_saveexec_b64 s[16:17], s[16:17]
	s_cbranch_execz .LBB54_69
; %bb.68:
	s_lshl_b32 s36, s26, 3
	s_ashr_i32 s37, s36, 31
	v_lshl_add_u64 v[24:25], s[36:37], 4, v[8:9]
	flat_load_dwordx4 v[24:27], v[24:25]
	v_add_u32_e32 v23, 0x1080, v7
	s_waitcnt vmcnt(0) lgkmcnt(0)
	ds_write2_b64 v23, v[24:25], v[26:27] offset1:1
.LBB54_69:
	s_or_b64 exec, exec, s[16:17]
	v_add_u32_e32 v23, 16, v5
	v_cmp_le_i32_e64 s[16:17], s25, v23
	s_and_saveexec_b64 s[36:37], s[16:17]
	s_xor_b64 s[16:17], exec, s[36:37]
	s_cbranch_execz .LBB54_71
; %bb.70:
	v_mul_u32_u24_e32 v23, 33, v23
	v_mov_b32_e32 v24, 0
	v_add_lshl_u32 v23, v23, v4, 4
	v_mov_b32_e32 v25, v24
	v_mov_b32_e32 v26, v24
	;; [unrolled: 1-line block ×3, first 2 shown]
	ds_write_b128 v23, v[24:27]
.LBB54_71:
	s_andn2_saveexec_b64 s[16:17], s[16:17]
	s_cbranch_execz .LBB54_73
; %bb.72:
	s_lshl_b32 s36, s26, 4
	s_ashr_i32 s37, s36, 31
	v_lshl_add_u64 v[24:25], s[36:37], 4, v[8:9]
	flat_load_dwordx4 v[24:27], v[24:25]
	v_add_u32_e32 v23, 0x2100, v7
	s_waitcnt vmcnt(0) lgkmcnt(0)
	ds_write2_b64 v23, v[24:25], v[26:27] offset1:1
.LBB54_73:
	s_or_b64 exec, exec, s[16:17]
	v_add_u32_e32 v23, 24, v5
	v_cmp_le_i32_e64 s[16:17], s25, v23
	s_and_saveexec_b64 s[36:37], s[16:17]
	s_xor_b64 s[16:17], exec, s[36:37]
	s_cbranch_execz .LBB54_75
; %bb.74:
	v_mov_b32_e32 v24, 0
	v_mov_b32_e32 v25, v24
	;; [unrolled: 1-line block ×4, first 2 shown]
	ds_write_b128 v7, v[24:27] offset:12672
                                        ; implicit-def: $vgpr7
.LBB54_75:
	s_andn2_saveexec_b64 s[16:17], s[16:17]
	s_cbranch_execz .LBB54_77
; %bb.76:
	s_mul_i32 s36, s26, 24
	s_ashr_i32 s37, s36, 31
	v_lshl_add_u64 v[24:25], s[36:37], 4, v[8:9]
	flat_load_dwordx4 v[24:27], v[24:25]
	v_add_u32_e32 v7, 0x3180, v7
	s_waitcnt vmcnt(0) lgkmcnt(0)
	ds_write2_b64 v7, v[24:25], v[26:27] offset1:1
.LBB54_77:
	s_or_b64 exec, exec, s[16:17]
	v_mov_b32_e32 v7, 0
	v_lshl_add_u64 v[8:9], v[8:9], 0, v[6:7]
	s_lshl_b64 s[16:17], s[18:19], 4
	v_mov_b32_e32 v7, s17
	v_subrev_co_u32_e64 v8, s[16:17], s16, v8
	s_nop 1
	v_subb_co_u32_e64 v9, s[16:17], v9, v7, s[16:17]
	s_mov_b64 s[16:17], 0x210
	s_nop 0
	v_lshl_add_u64 v[8:9], v[8:9], 0, s[16:17]
	v_cndmask_b32_e32 v9, v9, v11, vcc
	v_cndmask_b32_e32 v8, v8, v10, vcc
	s_branch .LBB54_80
.LBB54_78:
                                        ; implicit-def: $vgpr8_vgpr9
	s_cbranch_execz .LBB54_80
; %bb.79:
	flat_load_dwordx4 v[24:27], v[10:11]
	s_lshl_b32 s16, s26, 3
	v_add_lshl_u32 v7, v14, v4, 4
	s_ashr_i32 s17, s16, 31
	v_lshl_add_u64 v[8:9], s[16:17], 4, v[12:13]
	s_ashr_i32 s27, s26, 31
	v_add_u32_e32 v12, 0x1080, v7
	s_lshl_b64 s[16:17], s[26:27], 7
	s_waitcnt vmcnt(0) lgkmcnt(0)
	ds_write2_b64 v7, v[24:25], v[26:27] offset1:1
	flat_load_dwordx4 v[24:27], v[8:9] offset:512
	v_lshl_add_u64 v[8:9], v[8:9], 0, s[16:17]
	s_waitcnt vmcnt(0) lgkmcnt(0)
	ds_write2_b64 v12, v[24:25], v[26:27] offset1:1
	flat_load_dwordx4 v[24:27], v[8:9] offset:512
	v_add_u32_e32 v12, 0x2100, v7
	v_lshl_add_u64 v[8:9], v[8:9], 0, s[16:17]
	v_add_u32_e32 v7, 0x3180, v7
	s_waitcnt vmcnt(0) lgkmcnt(0)
	ds_write2_b64 v12, v[24:25], v[26:27] offset1:1
	flat_load_dwordx4 v[24:27], v[8:9] offset:512
	v_mov_b64_e32 v[8:9], v[10:11]
	s_waitcnt vmcnt(0) lgkmcnt(0)
	ds_write2_b64 v7, v[24:25], v[26:27] offset1:1
.LBB54_80:
	s_waitcnt lgkmcnt(0)
	s_barrier
	s_and_saveexec_b64 s[16:17], s[6:7]
	s_xor_b64 s[6:7], exec, s[16:17]
	s_cbranch_execnz .LBB54_109
; %bb.81:
	s_andn2_saveexec_b64 s[6:7], s[6:7]
	s_cbranch_execnz .LBB54_112
.LBB54_82:
	s_or_b64 exec, exec, s[6:7]
	s_and_saveexec_b64 s[6:7], s[8:9]
	s_xor_b64 s[6:7], exec, s[6:7]
	s_cbranch_execnz .LBB54_113
.LBB54_83:
	s_andn2_saveexec_b64 s[6:7], s[6:7]
	s_cbranch_execnz .LBB54_114
.LBB54_84:
	s_or_b64 exec, exec, s[6:7]
	s_and_saveexec_b64 s[6:7], s[10:11]
	s_xor_b64 s[6:7], exec, s[6:7]
	s_cbranch_execnz .LBB54_117
.LBB54_85:
	s_andn2_saveexec_b64 s[6:7], s[6:7]
	s_cbranch_execnz .LBB54_120
.LBB54_86:
	s_or_b64 exec, exec, s[6:7]
	s_and_saveexec_b64 s[6:7], s[12:13]
	s_xor_b64 s[6:7], exec, s[6:7]
	s_cbranch_execnz .LBB54_121
.LBB54_87:
	s_or_saveexec_b64 s[6:7], s[6:7]
	v_add_u32_e32 v18, 0x4700, v22
	s_xor_b64 exec, exec, s[6:7]
	s_cbranch_execz .LBB54_89
.LBB54_88:
	ds_read_b128 v[10:13], v45 offset:1056
	s_waitcnt lgkmcnt(0)
	v_xor_b32_e32 v13, 0x80000000, v13
	ds_write_b128 v17, v[10:13] offset:48
.LBB54_89:
	s_or_b64 exec, exec, s[6:7]
	s_waitcnt lgkmcnt(0)
	s_barrier
	ds_read_b128 v[10:13], v18 offset:512
	ds_read_b128 v[20:23], v16
	ds_read_b128 v[24:27], v18 offset:528
	ds_read_b128 v[28:31], v18 offset:544
	v_cmp_eq_u32_e64 s[6:7], 1, v5
	s_waitcnt lgkmcnt(2)
	v_mul_f64 v[32:33], v[12:13], v[22:23]
	v_fma_f64 v[40:41], v[10:11], v[20:21], -v[32:33]
	ds_read_b128 v[32:35], v18 offset:560
	ds_read_b128 v[46:49], v45
	v_mul_f64 v[10:11], v[10:11], v[22:23]
	v_fmac_f64_e32 v[10:11], v[12:13], v[20:21]
	v_add_f64 v[22:23], v[10:11], 0
	v_add_f64 v[20:21], v[40:41], 0
	s_waitcnt lgkmcnt(0)
	v_mul_f64 v[10:11], v[26:27], v[48:49]
	v_fma_f64 v[40:41], v[24:25], v[46:47], -v[10:11]
	v_mul_f64 v[24:25], v[24:25], v[48:49]
	ds_read_b128 v[10:13], v45 offset:528
	v_fmac_f64_e32 v[24:25], v[26:27], v[46:47]
	v_add_f64 v[26:27], v[20:21], v[40:41]
	v_add_f64 v[24:25], v[22:23], v[24:25]
	ds_read_b128 v[20:23], v45 offset:1056
	s_waitcnt lgkmcnt(1)
	v_mul_f64 v[40:41], v[30:31], v[12:13]
	v_mul_f64 v[12:13], v[28:29], v[12:13]
	v_fmac_f64_e32 v[12:13], v[30:31], v[10:11]
	v_fma_f64 v[40:41], v[28:29], v[10:11], -v[40:41]
	v_add_f64 v[12:13], v[24:25], v[12:13]
	s_waitcnt lgkmcnt(0)
	v_mul_f64 v[24:25], v[34:35], v[22:23]
	v_mul_f64 v[22:23], v[32:33], v[22:23]
	v_add_f64 v[10:11], v[26:27], v[40:41]
	v_fma_f64 v[24:25], v[32:33], v[20:21], -v[24:25]
	v_fmac_f64_e32 v[22:23], v[34:35], v[20:21]
	v_add_f64 v[10:11], v[10:11], v[24:25]
	v_add_f64 v[12:13], v[12:13], v[22:23]
	s_barrier
	ds_write_b128 v44, v[10:13]
	s_waitcnt lgkmcnt(0)
	s_barrier
	s_and_saveexec_b64 s[8:9], s[6:7]
	s_cbranch_execz .LBB54_91
; %bb.90:
	ds_read_b128 v[0:3], v43
	ds_read_b128 v[10:13], v43 offset:16
	ds_read_b128 v[20:23], v43 offset:32
	;; [unrolled: 1-line block ×3, first 2 shown]
	s_waitcnt lgkmcnt(2)
	v_add_f64 v[0:1], v[10:11], v[0:1]
	v_add_f64 v[10:11], v[12:13], v[2:3]
	s_waitcnt lgkmcnt(1)
	v_add_f64 v[12:13], v[0:1], v[20:21]
	ds_read_b128 v[0:3], v43 offset:64
	v_add_f64 v[10:11], v[10:11], v[22:23]
	s_waitcnt lgkmcnt(1)
	v_add_f64 v[20:21], v[12:13], v[24:25]
	v_add_f64 v[24:25], v[10:11], v[26:27]
	ds_read_b128 v[10:13], v43 offset:80
	s_waitcnt lgkmcnt(1)
	v_add_f64 v[26:27], v[20:21], v[0:1]
	ds_read_b128 v[20:23], v43 offset:96
	v_add_f64 v[24:25], v[24:25], v[2:3]
	ds_read_b128 v[0:3], v43 offset:112
	s_waitcnt lgkmcnt(2)
	v_add_f64 v[10:11], v[26:27], v[10:11]
	v_add_f64 v[12:13], v[24:25], v[12:13]
	s_waitcnt lgkmcnt(1)
	v_add_f64 v[10:11], v[10:11], v[20:21]
	v_add_f64 v[12:13], v[12:13], v[22:23]
	;; [unrolled: 3-line block ×3, first 2 shown]
.LBB54_91:
	s_or_b64 exec, exec, s[8:9]
	s_movk_i32 s8, 0xfe00
	s_mov_b32 s9, -1
	v_lshl_add_u64 v[8:9], v[8:9], 0, s[8:9]
	s_and_b64 vcc, exec, s[30:31]
	s_barrier
	s_cbranch_vccz .LBB54_124
; %bb.92:
	v_sub_co_u32_e32 v10, vcc, v8, v6
	s_ashr_i32 s19, s18, 31
	s_nop 0
	v_subbrev_co_u32_e32 v11, vcc, 0, v9, vcc
	v_lshl_add_u64 v[10:11], s[18:19], 4, v[10:11]
	v_lshl_add_u64 v[10:11], v[10:11], 0, -16
	v_cmp_gt_i32_e32 vcc, s18, v4
	s_sub_i32 s10, s18, 32
	v_cmp_le_i32_e64 s[8:9], s10, v5
	v_cndmask_b32_e32 v11, v11, v9, vcc
	v_cndmask_b32_e32 v10, v10, v8, vcc
	v_add_lshl_u32 v7, v14, v4, 4
	s_and_saveexec_b64 s[12:13], s[8:9]
	s_xor_b64 s[8:9], exec, s[12:13]
	s_cbranch_execz .LBB54_94
; %bb.93:
	v_mov_b32_e32 v20, 0
	v_mov_b32_e32 v21, v20
	;; [unrolled: 1-line block ×4, first 2 shown]
	ds_write_b128 v7, v[20:23]
.LBB54_94:
	s_andn2_saveexec_b64 s[8:9], s[8:9]
	s_cbranch_execz .LBB54_96
; %bb.95:
	flat_load_dwordx4 v[20:23], v[10:11]
	s_waitcnt vmcnt(0) lgkmcnt(0)
	ds_write2_b64 v7, v[20:21], v[22:23] offset1:1
.LBB54_96:
	s_or_b64 exec, exec, s[8:9]
	v_add_u32_e32 v12, 8, v5
	v_cmp_le_i32_e64 s[8:9], s10, v12
	s_and_saveexec_b64 s[12:13], s[8:9]
	s_xor_b64 s[8:9], exec, s[12:13]
	s_cbranch_execz .LBB54_98
; %bb.97:
	v_mul_u32_u24_e32 v13, 33, v12
	v_mov_b32_e32 v20, 0
	v_add_lshl_u32 v13, v13, v4, 4
	v_mov_b32_e32 v21, v20
	v_mov_b32_e32 v22, v20
	;; [unrolled: 1-line block ×3, first 2 shown]
	ds_write_b128 v13, v[20:23]
.LBB54_98:
	s_andn2_saveexec_b64 s[8:9], s[8:9]
	s_cbranch_execz .LBB54_100
; %bb.99:
	s_lshl_b32 s12, s26, 3
	s_ashr_i32 s13, s12, 31
	v_lshl_add_u64 v[20:21], s[12:13], 4, v[10:11]
	flat_load_dwordx4 v[20:23], v[20:21]
	v_add_u32_e32 v13, 0x1080, v7
	s_waitcnt vmcnt(0) lgkmcnt(0)
	ds_write2_b64 v13, v[20:21], v[22:23] offset1:1
.LBB54_100:
	s_or_b64 exec, exec, s[8:9]
	v_add_u32_e32 v13, 16, v5
	v_cmp_le_i32_e64 s[8:9], s10, v13
	s_and_saveexec_b64 s[12:13], s[8:9]
	s_xor_b64 s[8:9], exec, s[12:13]
	s_cbranch_execz .LBB54_102
; %bb.101:
	v_mul_u32_u24_e32 v17, 33, v13
	v_mov_b32_e32 v20, 0
	v_add_lshl_u32 v17, v17, v4, 4
	v_mov_b32_e32 v21, v20
	v_mov_b32_e32 v22, v20
	;; [unrolled: 1-line block ×3, first 2 shown]
	ds_write_b128 v17, v[20:23]
.LBB54_102:
	s_andn2_saveexec_b64 s[8:9], s[8:9]
	s_cbranch_execz .LBB54_104
; %bb.103:
	s_lshl_b32 s12, s26, 4
	s_ashr_i32 s13, s12, 31
	v_lshl_add_u64 v[20:21], s[12:13], 4, v[10:11]
	flat_load_dwordx4 v[20:23], v[20:21]
	v_add_u32_e32 v17, 0x2100, v7
	s_waitcnt vmcnt(0) lgkmcnt(0)
	ds_write2_b64 v17, v[20:21], v[22:23] offset1:1
.LBB54_104:
	s_or_b64 exec, exec, s[8:9]
	v_add_u32_e32 v17, 24, v5
	v_cmp_le_i32_e64 s[8:9], s10, v17
	s_and_saveexec_b64 s[10:11], s[8:9]
	s_xor_b64 s[8:9], exec, s[10:11]
	s_cbranch_execz .LBB54_106
; %bb.105:
	v_mov_b32_e32 v20, 0
	v_mov_b32_e32 v21, v20
	;; [unrolled: 1-line block ×4, first 2 shown]
	ds_write_b128 v7, v[20:23] offset:12672
                                        ; implicit-def: $vgpr7
.LBB54_106:
	s_andn2_saveexec_b64 s[8:9], s[8:9]
	s_cbranch_execz .LBB54_108
; %bb.107:
	s_mul_i32 s10, s26, 24
	s_ashr_i32 s11, s10, 31
	v_lshl_add_u64 v[20:21], s[10:11], 4, v[10:11]
	flat_load_dwordx4 v[20:23], v[20:21]
	v_add_u32_e32 v7, 0x3180, v7
	s_waitcnt vmcnt(0) lgkmcnt(0)
	ds_write2_b64 v7, v[20:21], v[22:23] offset1:1
.LBB54_108:
	s_or_b64 exec, exec, s[8:9]
	v_mov_b32_e32 v7, 0
	v_lshl_add_u64 v[6:7], v[10:11], 0, v[6:7]
	s_lshl_b64 s[8:9], s[18:19], 4
	v_mov_b32_e32 v10, s9
	v_subrev_co_u32_e64 v6, s[8:9], s8, v6
	s_nop 1
	v_subb_co_u32_e64 v7, s[8:9], v7, v10, s[8:9]
	v_lshl_add_u64 v[6:7], v[6:7], 0, 16
	v_cndmask_b32_e32 v41, v7, v9, vcc
	v_cndmask_b32_e32 v40, v6, v8, vcc
	s_branch .LBB54_126
.LBB54_109:
	v_cmp_eq_u32_e32 vcc, v19, v4
	s_and_saveexec_b64 s[16:17], vcc
	s_cbranch_execz .LBB54_111
; %bb.110:
	v_mul_u32_u24_e32 v7, 34, v4
	v_mov_b32_e32 v10, 0
	v_lshlrev_b32_e32 v7, 4, v7
	v_mov_b32_e32 v11, v10
	ds_write_b64 v7, v[10:11] offset:8
.LBB54_111:
	s_or_b64 exec, exec, s[16:17]
	s_andn2_saveexec_b64 s[6:7], s[6:7]
	s_cbranch_execz .LBB54_82
.LBB54_112:
	ds_read_b128 v[10:13], v16
	s_waitcnt lgkmcnt(0)
	v_xor_b32_e32 v13, 0x80000000, v13
	ds_write_b128 v17, v[10:13]
	s_or_b64 exec, exec, s[6:7]
	s_and_saveexec_b64 s[6:7], s[8:9]
	s_xor_b64 s[6:7], exec, s[6:7]
	s_cbranch_execz .LBB54_83
.LBB54_113:
	ds_read_b128 v[10:13], v45
                                        ; implicit-def: $vgpr18
	s_waitcnt lgkmcnt(0)
	v_xor_b32_e32 v13, 0x80000000, v13
	ds_write_b128 v17, v[10:13] offset:16
	s_andn2_saveexec_b64 s[6:7], s[6:7]
	s_cbranch_execz .LBB54_84
.LBB54_114:
	v_cmp_eq_u32_e32 vcc, v18, v4
	s_and_saveexec_b64 s[8:9], vcc
	s_cbranch_execz .LBB54_116
; %bb.115:
	v_mul_u32_u24_e32 v7, 34, v4
	v_mov_b32_e32 v10, 0
	v_lshlrev_b32_e32 v7, 4, v7
	v_mov_b32_e32 v11, v10
	ds_write_b64 v7, v[10:11] offset:8
.LBB54_116:
	s_or_b64 exec, exec, s[8:9]
	s_or_b64 exec, exec, s[6:7]
	s_and_saveexec_b64 s[6:7], s[10:11]
	s_xor_b64 s[6:7], exec, s[6:7]
	s_cbranch_execz .LBB54_85
.LBB54_117:
	v_cmp_eq_u32_e32 vcc, v20, v4
	s_and_saveexec_b64 s[8:9], vcc
	s_cbranch_execz .LBB54_119
; %bb.118:
	v_mul_u32_u24_e32 v7, 34, v4
	v_mov_b32_e32 v10, 0
	v_lshlrev_b32_e32 v7, 4, v7
	v_mov_b32_e32 v11, v10
	ds_write_b64 v7, v[10:11] offset:8
.LBB54_119:
	s_or_b64 exec, exec, s[8:9]
	s_andn2_saveexec_b64 s[6:7], s[6:7]
	s_cbranch_execz .LBB54_86
.LBB54_120:
	ds_read_b128 v[10:13], v45 offset:528
	s_waitcnt lgkmcnt(0)
	v_xor_b32_e32 v13, 0x80000000, v13
	ds_write_b128 v17, v[10:13] offset:32
	s_or_b64 exec, exec, s[6:7]
	s_and_saveexec_b64 s[6:7], s[12:13]
	s_xor_b64 s[6:7], exec, s[6:7]
	s_cbranch_execz .LBB54_87
.LBB54_121:
	v_cmp_eq_u32_e32 vcc, v21, v4
	s_and_saveexec_b64 s[8:9], vcc
	s_cbranch_execz .LBB54_123
; %bb.122:
	v_mul_u32_u24_e32 v7, 34, v4
	v_mov_b32_e32 v10, 0
	v_lshlrev_b32_e32 v7, 4, v7
	v_mov_b32_e32 v11, v10
	ds_write_b64 v7, v[10:11] offset:8
.LBB54_123:
	s_or_b64 exec, exec, s[8:9]
                                        ; implicit-def: $vgpr17
	s_or_saveexec_b64 s[6:7], s[6:7]
	v_add_u32_e32 v18, 0x4700, v22
	s_xor_b64 exec, exec, s[6:7]
	s_cbranch_execnz .LBB54_88
	s_branch .LBB54_89
.LBB54_124:
                                        ; implicit-def: $vgpr40_vgpr41
                                        ; implicit-def: $vgpr12
                                        ; implicit-def: $vgpr13
                                        ; implicit-def: $vgpr17
	s_cbranch_execz .LBB54_126
; %bb.125:
	flat_load_dwordx4 v[10:13], v[8:9]
	s_lshl_b32 s8, s26, 3
	v_add_lshl_u32 v4, v14, v4, 4
	s_ashr_i32 s9, s8, 31
	v_lshl_add_u64 v[6:7], s[8:9], 4, v[8:9]
	s_ashr_i32 s27, s26, 31
	v_add_u32_e32 v14, 0x1080, v4
	s_lshl_b64 s[8:9], s[26:27], 7
	v_add_u32_e32 v17, 24, v5
	v_mov_b64_e32 v[40:41], v[8:9]
	s_waitcnt vmcnt(0) lgkmcnt(0)
	ds_write2_b64 v4, v[10:11], v[12:13] offset1:1
	flat_load_dwordx4 v[10:13], v[6:7]
	v_lshl_add_u64 v[6:7], v[6:7], 0, s[8:9]
	s_waitcnt vmcnt(0) lgkmcnt(0)
	ds_write2_b64 v14, v[10:11], v[12:13] offset1:1
	flat_load_dwordx4 v[10:13], v[6:7]
	v_add_u32_e32 v14, 0x2100, v4
	v_lshl_add_u64 v[6:7], v[6:7], 0, s[8:9]
	v_add_u32_e32 v4, 0x3180, v4
	s_waitcnt vmcnt(0) lgkmcnt(0)
	ds_write2_b64 v14, v[10:11], v[12:13] offset1:1
	flat_load_dwordx4 v[20:23], v[6:7]
	v_add_u32_e32 v12, 8, v5
	v_add_u32_e32 v13, 16, v5
	s_waitcnt vmcnt(0) lgkmcnt(0)
	ds_write2_b64 v4, v[20:21], v[22:23] offset1:1
.LBB54_126:
	v_lshlrev_b32_e32 v4, 4, v5
	s_waitcnt lgkmcnt(0)
	s_barrier
	ds_read_b128 v[46:49], v44
	ds_read_b128 v[50:53], v4 offset:18176
	v_add_lshl_u32 v4, v12, v15, 4
	v_lshlrev_b32_e32 v5, 4, v12
	ds_read_b128 v[54:57], v4
	ds_read_b128 v[58:61], v5 offset:18176
	s_waitcnt lgkmcnt(2)
	v_mul_f64 v[4:5], v[48:49], v[52:53]
	v_fmac_f64_e32 v[4:5], v[46:47], v[50:51]
	v_add_f64 v[4:5], v[4:5], 0
	s_waitcnt lgkmcnt(0)
	v_mul_f64 v[6:7], v[56:57], v[60:61]
	v_fmac_f64_e32 v[6:7], v[54:55], v[58:59]
	v_add_f64 v[4:5], v[4:5], v[6:7]
	v_add_lshl_u32 v6, v13, v15, 4
	v_mul_f64 v[70:71], v[48:49], v[50:51]
	v_mul_f64 v[72:73], v[56:57], v[58:59]
	v_lshlrev_b32_e32 v7, 4, v13
	ds_read_b128 v[48:51], v6
	ds_read_b128 v[56:59], v7 offset:18176
	v_add_lshl_u32 v6, v17, v15, 4
	v_lshlrev_b32_e32 v7, 4, v17
	ds_read_b128 v[62:65], v6
	ds_read_b128 v[66:69], v7 offset:18176
	v_fma_f64 v[46:47], v[46:47], v[52:53], -v[70:71]
	s_waitcnt lgkmcnt(2)
	v_mul_f64 v[6:7], v[50:51], v[58:59]
	v_fmac_f64_e32 v[6:7], v[48:49], v[56:57]
	v_add_f64 v[4:5], v[4:5], v[6:7]
	s_waitcnt lgkmcnt(0)
	v_mul_f64 v[6:7], v[64:65], v[68:69]
	v_fmac_f64_e32 v[6:7], v[62:63], v[66:67]
	v_mul_f64 v[56:57], v[50:51], v[56:57]
	v_add_f64 v[50:51], v[4:5], v[6:7]
	ds_read_b128 v[20:23], v18 offset:528
	ds_read_b128 v[12:15], v18 offset:544
	;; [unrolled: 1-line block ×3, first 2 shown]
	ds_read_b128 v[32:35], v16
	ds_read_b128 v[4:7], v18 offset:560
	ds_read_b128 v[24:27], v45
	ds_read_b128 v[16:19], v45 offset:528
	ds_read_b128 v[8:11], v45 offset:1056
	v_add_f64 v[46:47], v[46:47], 0
	v_fma_f64 v[52:53], v[54:55], v[60:61], -v[72:73]
	v_mul_f64 v[64:65], v[64:65], v[66:67]
	v_add_f64 v[46:47], v[46:47], v[52:53]
	v_fma_f64 v[48:49], v[48:49], v[58:59], -v[56:57]
	v_add_f64 v[46:47], v[46:47], v[48:49]
	v_fma_f64 v[48:49], v[62:63], v[68:69], -v[64:65]
	v_add_f64 v[52:53], v[46:47], v[48:49]
	s_waitcnt lgkmcnt(0)
	s_barrier
	ds_write_b128 v44, v[50:53]
	s_waitcnt lgkmcnt(0)
	s_barrier
	s_and_saveexec_b64 s[8:9], s[6:7]
	s_cbranch_execz .LBB54_128
; %bb.127:
	ds_read_b128 v[46:49], v43
	ds_read_b128 v[50:53], v43 offset:16
	ds_read_b128 v[54:57], v43 offset:32
	;; [unrolled: 1-line block ×3, first 2 shown]
	s_waitcnt lgkmcnt(3)
	v_add_f64 v[0:1], v[0:1], v[46:47]
	v_add_f64 v[2:3], v[2:3], v[48:49]
	s_waitcnt lgkmcnt(2)
	v_add_f64 v[0:1], v[0:1], v[50:51]
	v_add_f64 v[46:47], v[2:3], v[52:53]
	s_waitcnt lgkmcnt(1)
	v_add_f64 v[48:49], v[0:1], v[54:55]
	ds_read_b128 v[0:3], v43 offset:64
	v_add_f64 v[46:47], v[46:47], v[56:57]
	s_waitcnt lgkmcnt(1)
	v_add_f64 v[50:51], v[48:49], v[58:59]
	v_add_f64 v[54:55], v[46:47], v[60:61]
	ds_read_b128 v[46:49], v43 offset:80
	s_waitcnt lgkmcnt(1)
	v_add_f64 v[56:57], v[50:51], v[0:1]
	ds_read_b128 v[50:53], v43 offset:96
	v_add_f64 v[54:55], v[54:55], v[2:3]
	ds_read_b128 v[0:3], v43 offset:112
	s_waitcnt lgkmcnt(2)
	v_add_f64 v[46:47], v[56:57], v[46:47]
	v_add_f64 v[48:49], v[54:55], v[48:49]
	s_waitcnt lgkmcnt(1)
	v_add_f64 v[46:47], v[46:47], v[50:51]
	v_add_f64 v[48:49], v[48:49], v[52:53]
	;; [unrolled: 3-line block ×3, first 2 shown]
.LBB54_128:
	s_or_b64 exec, exec, s[8:9]
	v_mul_f64 v[46:47], v[30:31], v[34:35]
	v_fma_f64 v[46:47], v[28:29], v[32:33], -v[46:47]
	v_mul_f64 v[28:29], v[28:29], v[34:35]
	v_fmac_f64_e32 v[28:29], v[30:31], v[32:33]
	v_mul_f64 v[32:33], v[22:23], v[26:27]
	v_fma_f64 v[32:33], v[20:21], v[24:25], -v[32:33]
	v_mul_f64 v[20:21], v[20:21], v[26:27]
	v_fmac_f64_e32 v[20:21], v[22:23], v[24:25]
	v_mul_f64 v[24:25], v[14:15], v[18:19]
	v_add_f64 v[30:31], v[46:47], 0
	v_add_f64 v[28:29], v[28:29], 0
	v_fma_f64 v[24:25], v[12:13], v[16:17], -v[24:25]
	v_mul_f64 v[12:13], v[12:13], v[18:19]
	v_add_f64 v[22:23], v[30:31], v[32:33]
	v_add_f64 v[20:21], v[28:29], v[20:21]
	v_fmac_f64_e32 v[12:13], v[14:15], v[16:17]
	v_mul_f64 v[16:17], v[6:7], v[10:11]
	v_mul_f64 v[10:11], v[4:5], v[10:11]
	v_add_f64 v[14:15], v[22:23], v[24:25]
	v_add_f64 v[12:13], v[20:21], v[12:13]
	v_fma_f64 v[16:17], v[4:5], v[8:9], -v[16:17]
	v_fmac_f64_e32 v[10:11], v[6:7], v[8:9]
	v_add_f64 v[4:5], v[14:15], v[16:17]
	v_add_f64 v[6:7], v[12:13], v[10:11]
	s_barrier
	ds_write_b128 v44, v[4:7]
	s_waitcnt lgkmcnt(0)
	s_barrier
	s_and_saveexec_b64 s[6:7], s[14:15]
	s_cbranch_execz .LBB54_130
; %bb.129:
	ds_read_b128 v[4:7], v43
	ds_read_b128 v[8:11], v43 offset:16
	ds_read_b128 v[12:15], v43 offset:32
	;; [unrolled: 1-line block ×3, first 2 shown]
	s_waitcnt lgkmcnt(3)
	v_add_f64 v[0:1], v[0:1], v[4:5]
	v_add_f64 v[2:3], v[2:3], v[6:7]
	s_waitcnt lgkmcnt(2)
	v_add_f64 v[0:1], v[0:1], v[8:9]
	v_add_f64 v[4:5], v[2:3], v[10:11]
	s_waitcnt lgkmcnt(1)
	v_add_f64 v[6:7], v[0:1], v[12:13]
	ds_read_b128 v[0:3], v43 offset:64
	v_add_f64 v[4:5], v[4:5], v[14:15]
	s_waitcnt lgkmcnt(1)
	v_add_f64 v[8:9], v[6:7], v[16:17]
	v_add_f64 v[12:13], v[4:5], v[18:19]
	ds_read_b128 v[4:7], v43 offset:80
	s_waitcnt lgkmcnt(1)
	v_add_f64 v[14:15], v[8:9], v[0:1]
	ds_read_b128 v[8:11], v43 offset:96
	v_add_f64 v[12:13], v[12:13], v[2:3]
	ds_read_b128 v[0:3], v43 offset:112
	s_waitcnt lgkmcnt(2)
	v_add_f64 v[4:5], v[14:15], v[4:5]
	v_add_f64 v[6:7], v[12:13], v[6:7]
	s_waitcnt lgkmcnt(1)
	v_add_f64 v[4:5], v[4:5], v[8:9]
	v_add_f64 v[6:7], v[6:7], v[10:11]
	;; [unrolled: 3-line block ×3, first 2 shown]
.LBB54_130:
	s_or_b64 exec, exec, s[6:7]
	s_load_dwordx2 s[0:1], s[0:1], 0x78
	s_mul_hi_u32 s6, s34, s22
	s_mul_i32 s35, s35, s22
	s_add_i32 s6, s6, s35
	s_mul_i32 s8, s34, s22
	s_mul_i32 s6, s6, s3
	s_mul_hi_u32 s7, s8, s3
	s_add_i32 s7, s7, s6
	s_mul_i32 s6, s8, s3
	s_lshl_b64 s[6:7], s[6:7], 4
	s_waitcnt lgkmcnt(0)
	s_add_u32 s6, s0, s6
	s_addc_u32 s7, s1, s7
	s_mul_hi_i32 s1, s34, s2
	s_mul_i32 s0, s34, s2
	s_lshl_b64 s[0:1], s[0:1], 4
	s_add_u32 s8, s6, s0
	s_addc_u32 s9, s7, s1
	s_add_i32 s10, s2, 1
	s_cmp_ge_u32 s10, s3
	v_lshlrev_b32_e32 v169, 4, v168
	s_barrier
	s_cbranch_scc1 .LBB54_188
; %bb.131:
	s_mul_i32 s0, s24, s23
	s_ashr_i32 s1, s0, 31
	s_lshl_b64 s[0:1], s[0:1], 4
	v_and_b32_e32 v8, 48, v168
	v_lshlrev_b32_e32 v216, 2, v167
	v_mov_b32_e32 v4, s1
	v_subrev_co_u32_e32 v170, vcc, s0, v38
	v_and_b32_e32 v6, 15, v168
	v_lshlrev_b32_e32 v9, 4, v8
	s_movk_i32 s11, 0x430
	v_subb_co_u32_e32 v171, vcc, v39, v4, vcc
	v_lshrrev_b32_e32 v7, 4, v42
	v_mad_u64_u32 v[4:5], s[0:1], v216, s26, v[168:169]
	v_mad_u32_u24 v219, v6, s11, v9
	v_or_b32_e32 v9, 0xf0, v169
	s_lshl_b32 s30, s23, 6
	s_lshl_b32 s0, s26, 4
	v_mad_u32_u24 v220, v6, s11, v9
	v_lshlrev_b32_e32 v9, 6, v7
	s_ashr_i32 s27, s26, 31
	s_lshl_b32 s34, s26, 1
	v_mul_i32_i24_e32 v12, 0xffffffd0, v7
	s_mul_i32 s36, s26, 3
	s_mul_i32 s23, s23, s10
	v_add_u32_e32 v7, s24, v8
	s_add_i32 s19, s3, -2
	s_ashr_i32 s1, s0, 31
	v_mad_u32_u24 v221, v6, s11, v9
	s_ashr_i32 s35, s34, 31
	s_ashr_i32 s37, s36, 31
	s_lshl_b64 s[14:15], s[26:27], 4
	s_lshl_b32 s10, s23, 6
	v_add3_u32 v172, v7, v6, 64
	v_lshlrev_b64 v[6:7], 4, v[36:37]
	s_lshl_b64 s[22:23], s[26:27], 5
	s_lshl_b64 s[24:25], s[28:29], 4
	v_ashrrev_i32_e32 v5, 31, v4
	v_sub_co_u32_e32 v174, vcc, 0, v6
	s_add_u32 s16, s22, s24
	v_mov_b32_e32 v9, 0x4300
	v_subb_co_u32_e32 v175, vcc, 0, v7, vcc
	s_addc_u32 s17, s23, s25
	v_lshlrev_b64 v[6:7], 4, v[4:5]
	v_lshl_add_u64 v[4:5], s[28:29], 0, v[4:5]
	v_lshl_add_u32 v225, v167, 6, v9
	s_movk_i32 s11, 0x10c0
	v_lshl_add_u64 v[8:9], s[16:17], 0, v[6:7]
	v_lshlrev_b64 v[4:5], 4, v[4:5]
	v_mad_u32_u24 v226, v167, s11, v169
	v_lshl_add_u64 v[176:177], v[40:41], 0, v[8:9]
	s_mul_i32 s11, s26, 0x300
	v_mad_i64_i32 v[8:9], s[26:27], s0, 48, v[4:5]
	s_lshl_b64 s[12:13], s[0:1], 6
	s_lshl_b64 s[26:27], s[36:37], 4
	s_add_u32 s28, s14, s24
	v_lshl_add_u64 v[10:11], v[8:9], 0, s[26:27]
	s_addc_u32 s29, s15, s25
	v_lshl_add_u64 v[178:179], v[40:41], 0, v[10:11]
	v_lshl_add_u64 v[10:11], s[28:29], 0, v[6:7]
	s_lshl_b64 s[34:35], s[34:35], 4
	v_lshl_add_u64 v[180:181], v[40:41], 0, v[10:11]
	v_lshl_add_u64 v[10:11], v[8:9], 0, s[34:35]
	s_add_u32 s36, s24, s34
	v_lshl_add_u64 v[182:183], v[40:41], 0, v[10:11]
	v_lshl_add_u64 v[10:11], s[24:25], 0, v[6:7]
	s_addc_u32 s37, s25, s35
	v_lshl_add_u64 v[184:185], v[40:41], 0, v[10:11]
	v_lshl_add_u64 v[10:11], s[36:37], 0, v[6:7]
	s_add_u32 s36, s24, s26
	v_lshl_add_u64 v[186:187], v[40:41], 0, v[8:9]
	v_lshl_add_u64 v[8:9], v[8:9], 0, s[14:15]
	s_addc_u32 s37, s25, s27
	v_lshl_add_u64 v[190:191], v[40:41], 0, v[8:9]
	v_lshl_add_u64 v[8:9], s[36:37], 0, v[6:7]
	s_lshl_b64 s[36:37], s[0:1], 4
	s_add_u32 s38, s16, s36
	s_addc_u32 s39, s17, s37
	s_mul_hi_i32 s31, s0, 48
	s_add_u32 s22, s11, s22
	s_addc_u32 s23, s31, s23
	s_lshl_b64 s[0:1], s[0:1], 5
	v_lshl_add_u64 v[4:5], s[22:23], 0, v[4:5]
	s_add_u32 s22, s0, s24
	s_addc_u32 s23, s1, s25
	v_lshl_add_u64 v[192:193], v[40:41], 0, v[8:9]
	v_lshl_add_u64 v[8:9], s[38:39], 0, v[6:7]
	s_add_u32 s38, s22, s26
	s_addc_u32 s39, s23, s27
	s_add_u32 s28, s28, s36
	v_lshl_add_u64 v[196:197], v[40:41], 0, v[4:5]
	v_lshl_add_u64 v[4:5], s[38:39], 0, v[6:7]
	s_addc_u32 s29, s29, s37
	v_lshl_add_u64 v[198:199], v[40:41], 0, v[4:5]
	v_lshl_add_u64 v[4:5], s[28:29], 0, v[6:7]
	s_add_u32 s28, s22, s34
	s_addc_u32 s29, s23, s35
	s_add_u32 s24, s24, s36
	s_addc_u32 s25, s25, s37
	v_lshl_add_u64 v[200:201], v[40:41], 0, v[4:5]
	v_lshl_add_u64 v[4:5], s[28:29], 0, v[6:7]
	s_add_u32 s28, s24, s34
	v_lshl_add_u64 v[202:203], v[40:41], 0, v[4:5]
	v_lshl_add_u64 v[4:5], s[24:25], 0, v[6:7]
	s_addc_u32 s29, s25, s35
	v_lshl_add_u64 v[204:205], v[40:41], 0, v[4:5]
	v_lshl_add_u64 v[4:5], s[22:23], 0, v[6:7]
	s_add_u32 s14, s22, s14
	v_lshl_add_u64 v[206:207], v[40:41], 0, v[4:5]
	v_lshl_add_u64 v[4:5], s[28:29], 0, v[6:7]
	s_addc_u32 s15, s23, s15
	v_lshl_add_u64 v[208:209], v[40:41], 0, v[4:5]
	v_lshl_add_u64 v[4:5], s[14:15], 0, v[6:7]
	s_add_u32 s14, s24, s26
	s_addc_u32 s15, s25, s27
	s_add_u32 s0, s16, s0
	v_lshl_add_u64 v[210:211], v[40:41], 0, v[4:5]
	v_lshl_add_u64 v[4:5], s[14:15], 0, v[6:7]
	s_addc_u32 s1, s17, s1
	v_lshl_add_u64 v[212:213], v[40:41], 0, v[4:5]
	v_lshl_add_u64 v[4:5], s[0:1], 0, v[6:7]
	v_add_u32_e32 v217, 0x4300, v169
	v_add_u32_e32 v218, 0x4700, v169
	v_cmp_gt_u32_e64 s[6:7], 64, v42
	v_or_b32_e32 v222, 1, v216
	v_or_b32_e32 v223, 2, v216
	;; [unrolled: 1-line block ×3, first 2 shown]
	v_add_u32_e32 v227, 16, v216
	v_add_u32_e32 v228, 17, v216
	;; [unrolled: 1-line block ×12, first 2 shown]
	v_lshl_add_u64 v[188:189], v[40:41], 0, v[10:11]
	v_lshl_add_u64 v[194:195], v[40:41], 0, v[8:9]
	;; [unrolled: 1-line block ×3, first 2 shown]
	v_add_u32_e32 v239, v221, v12
	v_mov_b32_e32 v4, 0
	s_cmp_eq_u32 s19, s2
	s_cselect_b32 s26, s33, 0
	s_and_saveexec_b64 s[0:1], s[4:5]
	s_cbranch_execz .LBB54_136
.LBB54_132:
	s_cmp_lg_u32 s26, 0
	s_cselect_b64 s[14:15], -1, 0
	v_cmp_le_i32_e32 vcc, s26, v168
	s_and_b64 s[14:15], s[14:15], vcc
	s_and_saveexec_b64 s[16:17], s[14:15]
	s_xor_b64 s[14:15], exec, s[16:17]
	s_cbranch_execz .LBB54_134
; %bb.133:
	v_mov_b32_e32 v5, v4
	v_mov_b32_e32 v6, v4
	v_mov_b32_e32 v7, v4
	ds_write_b128 v217, v[4:7]
.LBB54_134:
	s_andn2_saveexec_b64 s[14:15], s[14:15]
	s_cbranch_execz .LBB54_136
; %bb.135:
	s_ashr_i32 s11, s10, 31
	v_lshl_add_u64 v[6:7], s[10:11], 4, v[170:171]
	flat_load_dwordx4 v[6:9], v[6:7]
	s_waitcnt vmcnt(0) lgkmcnt(0)
	ds_write2_b64 v217, v[6:7], v[8:9] offset1:1
.LBB54_136:                             ; =>This Inner Loop Header: Depth=1
	s_or_b64 exec, exec, s[0:1]
	s_cmp_eq_u32 s26, 0
	s_cselect_b64 s[14:15], -1, 0
	s_cmp_lg_u32 s26, 0
	s_cselect_b64 s[16:17], -1, 0
	v_lshl_add_u64 v[18:19], v[184:185], 0, v[174:175]
	s_and_b64 vcc, exec, s[16:17]
	s_waitcnt lgkmcnt(0)
	s_barrier
	s_cbranch_vccz .LBB54_144
; %bb.137:                              ;   in Loop: Header=BB54_136 Depth=1
	v_mov_b64_e32 v[10:11], 0
	v_cmp_gt_i32_e32 vcc, s26, v216
	v_mov_b64_e32 v[6:7], v[10:11]
	v_mov_b64_e32 v[8:9], v[10:11]
	s_and_saveexec_b64 s[0:1], vcc
	s_cbranch_execz .LBB54_139
; %bb.138:                              ;   in Loop: Header=BB54_136 Depth=1
	flat_load_dwordx4 v[6:9], v[18:19]
.LBB54_139:                             ;   in Loop: Header=BB54_136 Depth=1
	s_or_b64 exec, exec, s[0:1]
	v_cmp_gt_i32_e32 vcc, s26, v222
	v_mov_b64_e32 v[12:13], v[10:11]
	s_and_saveexec_b64 s[0:1], vcc
	s_cbranch_execz .LBB54_141
; %bb.140:                              ;   in Loop: Header=BB54_136 Depth=1
	v_lshl_add_u64 v[10:11], v[180:181], 0, v[174:175]
	flat_load_dwordx4 v[10:13], v[10:11]
.LBB54_141:                             ;   in Loop: Header=BB54_136 Depth=1
	s_or_b64 exec, exec, s[0:1]
	v_mov_b64_e32 v[14:15], 0
	v_cmp_gt_i32_e32 vcc, s26, v223
	s_mov_b64 s[24:25], 0
	v_mov_b64_e32 v[16:17], v[14:15]
	s_and_saveexec_b64 s[0:1], vcc
	s_cbranch_execz .LBB54_143
; %bb.142:                              ;   in Loop: Header=BB54_136 Depth=1
	v_lshl_add_u64 v[14:15], v[188:189], 0, v[174:175]
	flat_load_dwordx4 v[14:17], v[14:15]
.LBB54_143:                             ;   in Loop: Header=BB54_136 Depth=1
	s_or_b64 exec, exec, s[0:1]
	v_cmp_gt_i32_e64 s[0:1], s26, v224
	s_mov_b64 s[22:23], 0
	s_and_b64 vcc, exec, s[24:25]
	s_cbranch_vccnz .LBB54_145
	s_branch .LBB54_146
.LBB54_144:                             ;   in Loop: Header=BB54_136 Depth=1
	s_mov_b64 s[0:1], 0
                                        ; implicit-def: $sgpr22_sgpr23
                                        ; implicit-def: $vgpr16_vgpr17
                                        ; implicit-def: $vgpr12_vgpr13
                                        ; implicit-def: $vgpr8_vgpr9
	s_cbranch_execz .LBB54_146
.LBB54_145:                             ;   in Loop: Header=BB54_136 Depth=1
	s_waitcnt vmcnt(0) lgkmcnt(0)
	v_lshl_add_u64 v[10:11], v[180:181], 0, v[174:175]
	v_lshl_add_u64 v[14:15], v[176:177], 0, v[174:175]
	flat_load_dwordx4 v[6:9], v[18:19]
	s_or_b64 s[0:1], s[0:1], exec
	flat_load_dwordx4 v[10:13], v[10:11]
                                        ; implicit-def: $sgpr22_sgpr23
	s_nop 0
	flat_load_dwordx4 v[14:17], v[14:15]
.LBB54_146:                             ;   in Loop: Header=BB54_136 Depth=1
	v_mov_b64_e32 v[18:19], s[22:23]
	v_mov_b64_e32 v[20:21], s[22:23]
	s_and_saveexec_b64 s[22:23], s[0:1]
	s_cbranch_execz .LBB54_148
; %bb.147:                              ;   in Loop: Header=BB54_136 Depth=1
	v_lshl_add_u64 v[18:19], v[192:193], 0, v[174:175]
	flat_load_dwordx4 v[18:21], v[18:19]
.LBB54_148:                             ;   in Loop: Header=BB54_136 Depth=1
	s_or_b64 exec, exec, s[22:23]
	ds_read_b128 v[34:37], v218
	ds_read_b128 v[22:25], v225
	v_cndmask_b32_e64 v5, 0, 1, s[16:17]
	v_cmp_ne_u32_e64 s[0:1], 1, v5
	s_andn2_b64 vcc, exec, s[16:17]
	s_waitcnt vmcnt(0) lgkmcnt(0)
	v_mul_f64 v[26:27], v[8:9], v[36:37]
	v_mul_f64 v[28:29], v[8:9], v[34:35]
	;; [unrolled: 1-line block ×3, first 2 shown]
	v_fmac_f64_e32 v[26:27], v[6:7], v[34:35]
	v_fma_f64 v[28:29], v[6:7], v[36:37], -v[28:29]
	v_mul_f64 v[32:33], v[12:13], v[34:35]
	ds_write_b128 v226, v[26:29]
	v_fmac_f64_e32 v[30:31], v[10:11], v[34:35]
	v_fma_f64 v[32:33], v[10:11], v[36:37], -v[32:33]
	v_mul_f64 v[38:39], v[16:17], v[36:37]
	v_mul_f64 v[40:41], v[16:17], v[34:35]
	;; [unrolled: 1-line block ×3, first 2 shown]
	ds_read_b128 v[26:29], v225 offset:16
	ds_write_b128 v226, v[30:33] offset:1072
	v_fmac_f64_e32 v[38:39], v[14:15], v[34:35]
	v_fma_f64 v[40:41], v[14:15], v[36:37], -v[40:41]
	v_fmac_f64_e32 v[42:43], v[18:19], v[34:35]
	v_mul_f64 v[34:35], v[20:21], v[34:35]
	ds_read_b128 v[30:33], v225 offset:32
	ds_write_b128 v226, v[38:41] offset:2144
	v_fma_f64 v[44:45], v[18:19], v[36:37], -v[34:35]
	ds_read_b128 v[38:41], v225 offset:48
	ds_write_b128 v226, v[42:45] offset:3216
	s_waitcnt lgkmcnt(0)
	s_barrier
	ds_read_b128 v[98:101], v221
	ds_read_b128 v[94:97], v221 offset:16
	ds_read_b128 v[86:89], v221 offset:32
	;; [unrolled: 1-line block ×3, first 2 shown]
	v_lshl_add_u64 v[50:51], v[204:205], 0, v[174:175]
	s_waitcnt lgkmcnt(0)
	s_barrier
	s_cbranch_vccnz .LBB54_156
; %bb.149:                              ;   in Loop: Header=BB54_136 Depth=1
	v_mov_b64_e32 v[42:43], 0
	v_cmp_gt_i32_e32 vcc, s26, v227
	v_mov_b64_e32 v[34:35], v[42:43]
	v_mov_b64_e32 v[36:37], v[42:43]
	s_and_saveexec_b64 s[16:17], vcc
	s_cbranch_execz .LBB54_151
; %bb.150:                              ;   in Loop: Header=BB54_136 Depth=1
	flat_load_dwordx4 v[34:37], v[50:51]
.LBB54_151:                             ;   in Loop: Header=BB54_136 Depth=1
	s_or_b64 exec, exec, s[16:17]
	v_cmp_gt_i32_e32 vcc, s26, v228
	v_mov_b64_e32 v[44:45], v[42:43]
	s_and_saveexec_b64 s[16:17], vcc
	s_cbranch_execz .LBB54_153
; %bb.152:                              ;   in Loop: Header=BB54_136 Depth=1
	v_lshl_add_u64 v[42:43], v[200:201], 0, v[174:175]
	flat_load_dwordx4 v[42:45], v[42:43]
.LBB54_153:                             ;   in Loop: Header=BB54_136 Depth=1
	s_or_b64 exec, exec, s[16:17]
	v_mov_b64_e32 v[46:47], 0
	v_cmp_gt_i32_e32 vcc, s26, v229
	s_mov_b64 s[24:25], 0
	v_mov_b64_e32 v[48:49], v[46:47]
	s_and_saveexec_b64 s[16:17], vcc
	s_cbranch_execz .LBB54_155
; %bb.154:                              ;   in Loop: Header=BB54_136 Depth=1
	v_lshl_add_u64 v[46:47], v[208:209], 0, v[174:175]
	flat_load_dwordx4 v[46:49], v[46:47]
.LBB54_155:                             ;   in Loop: Header=BB54_136 Depth=1
	s_or_b64 exec, exec, s[16:17]
	v_cmp_gt_i32_e64 s[16:17], s26, v230
	s_mov_b64 s[22:23], 0
	s_and_b64 vcc, exec, s[24:25]
	s_cbranch_vccnz .LBB54_157
	s_branch .LBB54_158
.LBB54_156:                             ;   in Loop: Header=BB54_136 Depth=1
	s_mov_b64 s[16:17], 0
                                        ; implicit-def: $sgpr22_sgpr23
                                        ; implicit-def: $vgpr48_vgpr49
                                        ; implicit-def: $vgpr44_vgpr45
                                        ; implicit-def: $vgpr36_vgpr37
	s_cbranch_execz .LBB54_158
.LBB54_157:                             ;   in Loop: Header=BB54_136 Depth=1
	s_waitcnt vmcnt(0) lgkmcnt(0)
	v_lshl_add_u64 v[42:43], v[200:201], 0, v[174:175]
	v_lshl_add_u64 v[46:47], v[194:195], 0, v[174:175]
	flat_load_dwordx4 v[34:37], v[50:51]
	s_or_b64 s[16:17], s[16:17], exec
	flat_load_dwordx4 v[42:45], v[42:43]
                                        ; implicit-def: $sgpr22_sgpr23
	s_nop 0
	flat_load_dwordx4 v[46:49], v[46:47]
.LBB54_158:                             ;   in Loop: Header=BB54_136 Depth=1
	v_mov_b64_e32 v[50:51], s[22:23]
	v_mov_b64_e32 v[52:53], s[22:23]
	s_and_saveexec_b64 s[22:23], s[16:17]
	s_cbranch_execz .LBB54_160
; %bb.159:                              ;   in Loop: Header=BB54_136 Depth=1
	v_lshl_add_u64 v[50:51], v[212:213], 0, v[174:175]
	flat_load_dwordx4 v[50:53], v[50:51]
.LBB54_160:                             ;   in Loop: Header=BB54_136 Depth=1
	s_or_b64 exec, exec, s[22:23]
	ds_read_b128 v[66:69], v218
	ds_read_b128 v[54:57], v225 offset:256
	s_and_b64 vcc, exec, s[0:1]
	v_lshl_add_u64 v[90:91], v[206:207], 0, v[174:175]
	s_waitcnt vmcnt(0) lgkmcnt(0)
	v_mul_f64 v[58:59], v[36:37], v[68:69]
	v_mul_f64 v[60:61], v[36:37], v[66:67]
	;; [unrolled: 1-line block ×3, first 2 shown]
	v_fmac_f64_e32 v[58:59], v[34:35], v[66:67]
	v_fma_f64 v[60:61], v[34:35], v[68:69], -v[60:61]
	v_mul_f64 v[64:65], v[44:45], v[66:67]
	ds_write_b128 v226, v[58:61]
	v_fmac_f64_e32 v[62:63], v[42:43], v[66:67]
	v_fma_f64 v[64:65], v[42:43], v[68:69], -v[64:65]
	v_mul_f64 v[70:71], v[48:49], v[68:69]
	v_mul_f64 v[72:73], v[48:49], v[66:67]
	ds_read_b128 v[58:61], v225 offset:272
	ds_write_b128 v226, v[62:65] offset:1072
	v_fmac_f64_e32 v[70:71], v[46:47], v[66:67]
	v_fma_f64 v[72:73], v[46:47], v[68:69], -v[72:73]
	ds_read_b128 v[62:65], v225 offset:288
	ds_write_b128 v226, v[70:73] offset:2144
	v_mul_f64 v[70:71], v[52:53], v[68:69]
	v_fmac_f64_e32 v[70:71], v[50:51], v[66:67]
	v_mul_f64 v[66:67], v[52:53], v[66:67]
	v_fma_f64 v[72:73], v[50:51], v[68:69], -v[66:67]
	ds_read_b128 v[74:77], v225 offset:304
	ds_write_b128 v226, v[70:73] offset:3216
	s_waitcnt lgkmcnt(0)
	s_barrier
	ds_read_b128 v[146:149], v221
	ds_read_b128 v[142:145], v221 offset:16
	ds_read_b128 v[138:141], v221 offset:32
	;; [unrolled: 1-line block ×3, first 2 shown]
	s_waitcnt lgkmcnt(0)
	s_barrier
	s_cbranch_vccnz .LBB54_168
; %bb.161:                              ;   in Loop: Header=BB54_136 Depth=1
	v_mov_b64_e32 v[70:71], 0
	v_cmp_gt_i32_e32 vcc, s26, v231
	v_mov_b64_e32 v[66:67], v[70:71]
	v_mov_b64_e32 v[68:69], v[70:71]
	s_and_saveexec_b64 s[16:17], vcc
	s_cbranch_execz .LBB54_163
; %bb.162:                              ;   in Loop: Header=BB54_136 Depth=1
	flat_load_dwordx4 v[66:69], v[90:91]
.LBB54_163:                             ;   in Loop: Header=BB54_136 Depth=1
	s_or_b64 exec, exec, s[16:17]
	v_cmp_gt_i32_e32 vcc, s26, v232
	v_mov_b64_e32 v[72:73], v[70:71]
	s_and_saveexec_b64 s[16:17], vcc
	s_cbranch_execz .LBB54_165
; %bb.164:                              ;   in Loop: Header=BB54_136 Depth=1
	v_lshl_add_u64 v[70:71], v[210:211], 0, v[174:175]
	flat_load_dwordx4 v[70:73], v[70:71]
.LBB54_165:                             ;   in Loop: Header=BB54_136 Depth=1
	s_or_b64 exec, exec, s[16:17]
	v_mov_b64_e32 v[78:79], 0
	v_cmp_gt_i32_e32 vcc, s26, v233
	s_mov_b64 s[24:25], 0
	v_mov_b64_e32 v[80:81], v[78:79]
	s_and_saveexec_b64 s[16:17], vcc
	s_cbranch_execz .LBB54_167
; %bb.166:                              ;   in Loop: Header=BB54_136 Depth=1
	v_lshl_add_u64 v[78:79], v[202:203], 0, v[174:175]
	flat_load_dwordx4 v[78:81], v[78:79]
.LBB54_167:                             ;   in Loop: Header=BB54_136 Depth=1
	s_or_b64 exec, exec, s[16:17]
	v_cmp_gt_i32_e64 s[16:17], s26, v234
	s_mov_b64 s[22:23], 0
	s_and_b64 vcc, exec, s[24:25]
	s_cbranch_vccnz .LBB54_169
	s_branch .LBB54_170
.LBB54_168:                             ;   in Loop: Header=BB54_136 Depth=1
	s_mov_b64 s[16:17], 0
                                        ; implicit-def: $sgpr22_sgpr23
                                        ; implicit-def: $vgpr80_vgpr81
                                        ; implicit-def: $vgpr72_vgpr73
                                        ; implicit-def: $vgpr68_vgpr69
	s_cbranch_execz .LBB54_170
.LBB54_169:                             ;   in Loop: Header=BB54_136 Depth=1
	s_waitcnt vmcnt(0) lgkmcnt(0)
	v_lshl_add_u64 v[70:71], v[210:211], 0, v[174:175]
	v_lshl_add_u64 v[78:79], v[214:215], 0, v[174:175]
	flat_load_dwordx4 v[66:69], v[90:91]
	s_or_b64 s[16:17], s[16:17], exec
	flat_load_dwordx4 v[70:73], v[70:71]
                                        ; implicit-def: $sgpr22_sgpr23
	s_nop 0
	flat_load_dwordx4 v[78:81], v[78:79]
.LBB54_170:                             ;   in Loop: Header=BB54_136 Depth=1
	v_mov_b64_e32 v[90:91], s[22:23]
	v_mov_b64_e32 v[92:93], s[22:23]
	s_and_saveexec_b64 s[22:23], s[16:17]
	s_cbranch_execz .LBB54_172
; %bb.171:                              ;   in Loop: Header=BB54_136 Depth=1
	v_lshl_add_u64 v[90:91], v[198:199], 0, v[174:175]
	flat_load_dwordx4 v[90:93], v[90:91]
.LBB54_172:                             ;   in Loop: Header=BB54_136 Depth=1
	s_or_b64 exec, exec, s[22:23]
	ds_read_b128 v[114:117], v218
	ds_read_b128 v[102:105], v225 offset:512
	s_and_b64 vcc, exec, s[0:1]
	v_lshl_add_u64 v[130:131], v[186:187], 0, v[174:175]
	s_waitcnt vmcnt(0) lgkmcnt(0)
	v_mul_f64 v[106:107], v[68:69], v[116:117]
	v_mul_f64 v[108:109], v[68:69], v[114:115]
	;; [unrolled: 1-line block ×3, first 2 shown]
	v_fmac_f64_e32 v[106:107], v[66:67], v[114:115]
	v_fma_f64 v[108:109], v[66:67], v[116:117], -v[108:109]
	v_mul_f64 v[112:113], v[72:73], v[114:115]
	ds_write_b128 v226, v[106:109]
	v_fmac_f64_e32 v[110:111], v[70:71], v[114:115]
	v_fma_f64 v[112:113], v[70:71], v[116:117], -v[112:113]
	v_mul_f64 v[118:119], v[80:81], v[116:117]
	v_mul_f64 v[120:121], v[80:81], v[114:115]
	;; [unrolled: 1-line block ×3, first 2 shown]
	ds_read_b128 v[106:109], v225 offset:528
	ds_write_b128 v226, v[110:113] offset:1072
	v_fmac_f64_e32 v[118:119], v[78:79], v[114:115]
	v_fma_f64 v[120:121], v[78:79], v[116:117], -v[120:121]
	v_fmac_f64_e32 v[122:123], v[90:91], v[114:115]
	v_mul_f64 v[114:115], v[92:93], v[114:115]
	ds_read_b128 v[110:113], v225 offset:544
	ds_write_b128 v226, v[118:121] offset:2144
	v_fma_f64 v[124:125], v[90:91], v[116:117], -v[114:115]
	ds_read_b128 v[118:121], v225 offset:560
	ds_write_b128 v226, v[122:125] offset:3216
	s_waitcnt lgkmcnt(0)
	s_barrier
	ds_read_b128 v[162:165], v221
	ds_read_b128 v[158:161], v221 offset:16
	ds_read_b128 v[154:157], v221 offset:32
	;; [unrolled: 1-line block ×3, first 2 shown]
	s_waitcnt lgkmcnt(0)
	s_barrier
	s_cbranch_vccnz .LBB54_180
; %bb.173:                              ;   in Loop: Header=BB54_136 Depth=1
	v_mov_b64_e32 v[122:123], 0
	v_cmp_gt_i32_e32 vcc, s26, v235
	v_mov_b64_e32 v[114:115], v[122:123]
	v_mov_b64_e32 v[116:117], v[122:123]
	s_and_saveexec_b64 s[0:1], vcc
	s_cbranch_execz .LBB54_175
; %bb.174:                              ;   in Loop: Header=BB54_136 Depth=1
	flat_load_dwordx4 v[114:117], v[130:131]
.LBB54_175:                             ;   in Loop: Header=BB54_136 Depth=1
	s_or_b64 exec, exec, s[0:1]
	v_cmp_gt_i32_e32 vcc, s26, v236
	v_mov_b64_e32 v[124:125], v[122:123]
	s_and_saveexec_b64 s[0:1], vcc
	s_cbranch_execz .LBB54_177
; %bb.176:                              ;   in Loop: Header=BB54_136 Depth=1
	v_lshl_add_u64 v[122:123], v[190:191], 0, v[174:175]
	flat_load_dwordx4 v[122:125], v[122:123]
.LBB54_177:                             ;   in Loop: Header=BB54_136 Depth=1
	s_or_b64 exec, exec, s[0:1]
	v_mov_b64_e32 v[126:127], 0
	v_cmp_gt_i32_e32 vcc, s26, v237
	s_mov_b64 s[22:23], 0
	v_mov_b64_e32 v[128:129], v[126:127]
	s_and_saveexec_b64 s[0:1], vcc
	s_cbranch_execz .LBB54_179
; %bb.178:                              ;   in Loop: Header=BB54_136 Depth=1
	v_lshl_add_u64 v[126:127], v[182:183], 0, v[174:175]
	flat_load_dwordx4 v[126:129], v[126:127]
.LBB54_179:                             ;   in Loop: Header=BB54_136 Depth=1
	s_or_b64 exec, exec, s[0:1]
	v_cmp_gt_i32_e64 s[0:1], s26, v238
	s_mov_b64 s[16:17], 0
	s_and_b64 vcc, exec, s[22:23]
	s_cbranch_vccnz .LBB54_181
	s_branch .LBB54_182
.LBB54_180:                             ;   in Loop: Header=BB54_136 Depth=1
	s_mov_b64 s[0:1], 0
                                        ; implicit-def: $sgpr16_sgpr17
                                        ; implicit-def: $vgpr128_vgpr129
                                        ; implicit-def: $vgpr124_vgpr125
                                        ; implicit-def: $vgpr116_vgpr117
	s_cbranch_execz .LBB54_182
.LBB54_181:                             ;   in Loop: Header=BB54_136 Depth=1
	s_waitcnt vmcnt(0) lgkmcnt(0)
	v_lshl_add_u64 v[122:123], v[190:191], 0, v[174:175]
	v_lshl_add_u64 v[126:127], v[196:197], 0, v[174:175]
	flat_load_dwordx4 v[114:117], v[130:131]
	s_or_b64 s[0:1], s[0:1], exec
	flat_load_dwordx4 v[122:125], v[122:123]
                                        ; implicit-def: $sgpr16_sgpr17
	s_nop 0
	flat_load_dwordx4 v[126:129], v[126:127]
.LBB54_182:                             ;   in Loop: Header=BB54_136 Depth=1
	v_mov_b64_e32 v[130:131], s[16:17]
	v_mov_b64_e32 v[132:133], s[16:17]
	s_and_saveexec_b64 s[16:17], s[0:1]
	s_cbranch_execz .LBB54_184
; %bb.183:                              ;   in Loop: Header=BB54_136 Depth=1
	v_lshl_add_u64 v[130:131], v[178:179], 0, v[174:175]
	flat_load_dwordx4 v[130:133], v[130:131]
.LBB54_184:                             ;   in Loop: Header=BB54_136 Depth=1
	s_or_b64 exec, exec, s[16:17]
	v_add_f64 v[146:147], v[146:147], 0
	v_add_f64 v[148:149], v[148:149], 0
	;; [unrolled: 1-line block ×6, first 2 shown]
	ds_read_b128 v[142:145], v218
	v_add_f64 v[162:163], v[162:163], 0
	v_add_f64 v[98:99], v[98:99], 0
	;; [unrolled: 1-line block ×11, first 2 shown]
	ds_read_b128 v[86:89], v225 offset:768
	s_waitcnt vmcnt(0) lgkmcnt(0)
	v_mul_f64 v[94:95], v[116:117], v[144:145]
	v_mul_f64 v[96:97], v[116:117], v[142:143]
	v_fmac_f64_e32 v[94:95], v[114:115], v[142:143]
	v_fma_f64 v[96:97], v[114:115], v[144:145], -v[96:97]
	v_mul_f64 v[98:99], v[124:125], v[144:145]
	v_mul_f64 v[100:101], v[124:125], v[142:143]
	v_add_f64 v[138:139], v[138:139], v[134:135]
	v_add_f64 v[140:141], v[140:141], v[136:137]
	ds_write_b128 v226, v[94:97]
	v_fmac_f64_e32 v[98:99], v[122:123], v[142:143]
	v_fma_f64 v[100:101], v[122:123], v[144:145], -v[100:101]
	v_mul_f64 v[134:135], v[128:129], v[144:145]
	v_mul_f64 v[136:137], v[128:129], v[142:143]
	;; [unrolled: 1-line block ×3, first 2 shown]
	ds_read_b128 v[94:97], v225 offset:784
	ds_write_b128 v226, v[98:101] offset:1072
	v_fmac_f64_e32 v[134:135], v[126:127], v[142:143]
	v_fma_f64 v[136:137], v[126:127], v[144:145], -v[136:137]
	v_fmac_f64_e32 v[146:147], v[130:131], v[142:143]
	v_mul_f64 v[142:143], v[132:133], v[142:143]
	ds_read_b128 v[98:101], v225 offset:800
	ds_write_b128 v226, v[134:137] offset:2144
	v_fma_f64 v[148:149], v[130:131], v[144:145], -v[142:143]
	v_add_f64 v[164:165], v[164:165], 0
	ds_read_b128 v[134:137], v225 offset:816
	ds_write_b128 v226, v[146:149] offset:3216
	s_waitcnt lgkmcnt(0)
	s_barrier
	ds_read_b128 v[142:145], v221
	v_add_f64 v[160:161], v[164:165], v[160:161]
	v_add_f64 v[156:157], v[160:161], v[156:157]
	;; [unrolled: 1-line block ×4, first 2 shown]
	ds_read_b128 v[146:149], v221 offset:16
	ds_read_b128 v[154:157], v221 offset:32
	;; [unrolled: 1-line block ×3, first 2 shown]
	s_waitcnt lgkmcnt(3)
	v_add_f64 v[142:143], v[142:143], 0
	v_add_f64 v[144:145], v[144:145], 0
	v_cmp_gt_i32_e32 vcc, s26, v168
	s_waitcnt lgkmcnt(2)
	v_add_f64 v[142:143], v[142:143], v[146:147]
	v_add_f64 v[144:145], v[144:145], v[148:149]
	s_or_b64 s[0:1], s[14:15], vcc
	s_waitcnt lgkmcnt(1)
	v_add_f64 v[142:143], v[142:143], v[154:155]
	v_add_f64 v[144:145], v[144:145], v[156:157]
	s_and_b64 s[14:15], s[6:7], s[0:1]
	s_waitcnt lgkmcnt(0)
	v_add_f64 v[142:143], v[142:143], v[158:159]
	v_add_f64 v[144:145], v[144:145], v[160:161]
	s_barrier
	ds_write_b128 v239, v[82:85]
	ds_write_b128 v239, v[138:141] offset:256
	ds_write_b128 v239, v[150:153] offset:512
	;; [unrolled: 1-line block ×3, first 2 shown]
	s_waitcnt lgkmcnt(0)
	s_barrier
	s_and_saveexec_b64 s[0:1], s[14:15]
	s_cbranch_execz .LBB54_186
; %bb.185:                              ;   in Loop: Header=BB54_136 Depth=1
	ds_read_b128 v[82:85], v219
	ds_read_b128 v[138:141], v219 offset:16
	ds_read_b128 v[142:145], v219 offset:32
	;; [unrolled: 1-line block ×3, first 2 shown]
	v_ashrrev_i32_e32 v173, 31, v172
	s_waitcnt lgkmcnt(2)
	v_add_f64 v[82:83], v[138:139], v[82:83]
	v_add_f64 v[138:139], v[140:141], v[84:85]
	s_waitcnt lgkmcnt(1)
	v_add_f64 v[140:141], v[82:83], v[142:143]
	ds_read_b128 v[82:85], v219 offset:64
	v_add_f64 v[142:143], v[138:139], v[144:145]
	s_waitcnt lgkmcnt(1)
	v_add_f64 v[144:145], v[140:141], v[146:147]
	ds_read_b128 v[138:141], v219 offset:80
	;; [unrolled: 4-line block ×9, first 2 shown]
	v_add_f64 v[84:85], v[146:147], v[84:85]
	s_waitcnt lgkmcnt(1)
	v_add_f64 v[138:139], v[82:83], v[138:139]
	v_add_f64 v[146:147], v[84:85], v[140:141]
	ds_read_b128 v[82:85], v219 offset:208
	s_waitcnt lgkmcnt(1)
	v_add_f64 v[148:149], v[138:139], v[142:143]
	ds_read_b128 v[138:141], v219 offset:224
	v_add_f64 v[146:147], v[146:147], v[144:145]
	ds_read_b128 v[142:145], v220
	s_waitcnt lgkmcnt(2)
	v_add_f64 v[82:83], v[148:149], v[82:83]
	v_add_f64 v[84:85], v[146:147], v[84:85]
	s_waitcnt lgkmcnt(1)
	v_add_f64 v[82:83], v[82:83], v[138:139]
	v_add_f64 v[84:85], v[84:85], v[140:141]
	;; [unrolled: 3-line block ×3, first 2 shown]
	v_lshl_add_u64 v[138:139], v[172:173], 4, s[8:9]
	global_store_dwordx4 v[138:139], v[82:85], off
.LBB54_186:                             ;   in Loop: Header=BB54_136 Depth=1
	s_or_b64 exec, exec, s[0:1]
	s_nop 0
	v_mul_f64 v[82:83], v[8:9], v[24:25]
	v_fma_f64 v[82:83], v[6:7], v[22:23], -v[82:83]
	v_mul_f64 v[6:7], v[6:7], v[24:25]
	v_mul_f64 v[24:25], v[12:13], v[28:29]
	v_add_f64 v[0:1], v[0:1], v[82:83]
	v_fma_f64 v[24:25], v[10:11], v[26:27], -v[24:25]
	v_add_f64 v[0:1], v[0:1], v[24:25]
	v_mul_f64 v[24:25], v[16:17], v[32:33]
	v_fma_f64 v[24:25], v[14:15], v[30:31], -v[24:25]
	v_add_f64 v[0:1], v[0:1], v[24:25]
	v_mul_f64 v[24:25], v[20:21], v[40:41]
	v_fmac_f64_e32 v[6:7], v[8:9], v[22:23]
	v_fma_f64 v[24:25], v[18:19], v[38:39], -v[24:25]
	v_add_f64 v[2:3], v[2:3], v[6:7]
	v_mul_f64 v[6:7], v[36:37], v[56:57]
	v_add_f64 v[0:1], v[0:1], v[24:25]
	v_fma_f64 v[6:7], v[34:35], v[54:55], -v[6:7]
	v_add_f64 v[0:1], v[0:1], v[6:7]
	v_mul_f64 v[6:7], v[44:45], v[60:61]
	v_fma_f64 v[6:7], v[42:43], v[58:59], -v[6:7]
	v_add_f64 v[0:1], v[0:1], v[6:7]
	v_mul_f64 v[6:7], v[48:49], v[64:65]
	;; [unrolled: 3-line block ×3, first 2 shown]
	v_fma_f64 v[6:7], v[50:51], v[74:75], -v[6:7]
	v_mul_f64 v[10:11], v[10:11], v[28:29]
	v_add_f64 v[0:1], v[0:1], v[6:7]
	v_mul_f64 v[6:7], v[68:69], v[104:105]
	v_mul_f64 v[14:15], v[14:15], v[32:33]
	v_fmac_f64_e32 v[10:11], v[12:13], v[26:27]
	v_fma_f64 v[6:7], v[66:67], v[102:103], -v[6:7]
	v_mul_f64 v[18:19], v[18:19], v[40:41]
	v_add_f64 v[2:3], v[2:3], v[10:11]
	v_fmac_f64_e32 v[14:15], v[16:17], v[30:31]
	v_add_f64 v[0:1], v[0:1], v[6:7]
	v_mul_f64 v[6:7], v[72:73], v[108:109]
	v_add_f64 v[2:3], v[2:3], v[14:15]
	v_fmac_f64_e32 v[18:19], v[20:21], v[38:39]
	v_mul_f64 v[8:9], v[34:35], v[56:57]
	v_fma_f64 v[6:7], v[70:71], v[106:107], -v[6:7]
	v_add_f64 v[2:3], v[2:3], v[18:19]
	v_mul_f64 v[10:11], v[42:43], v[60:61]
	v_fmac_f64_e32 v[8:9], v[36:37], v[54:55]
	v_add_f64 v[0:1], v[0:1], v[6:7]
	v_mul_f64 v[6:7], v[80:81], v[112:113]
	v_mul_f64 v[12:13], v[46:47], v[64:65]
	v_add_f64 v[2:3], v[2:3], v[8:9]
	v_fmac_f64_e32 v[10:11], v[44:45], v[58:59]
	v_fma_f64 v[6:7], v[78:79], v[110:111], -v[6:7]
	v_mul_f64 v[14:15], v[50:51], v[76:77]
	v_add_f64 v[2:3], v[2:3], v[10:11]
	v_fmac_f64_e32 v[12:13], v[48:49], v[62:63]
	v_add_f64 v[0:1], v[0:1], v[6:7]
	v_mul_f64 v[6:7], v[92:93], v[120:121]
	v_add_f64 v[2:3], v[2:3], v[12:13]
	v_fmac_f64_e32 v[14:15], v[52:53], v[74:75]
	v_mul_f64 v[8:9], v[66:67], v[104:105]
	v_fma_f64 v[6:7], v[90:91], v[118:119], -v[6:7]
	v_add_f64 v[2:3], v[2:3], v[14:15]
	v_mul_f64 v[10:11], v[70:71], v[108:109]
	v_add_f64 v[0:1], v[0:1], v[6:7]
	v_fmac_f64_e32 v[8:9], v[68:69], v[102:103]
	v_mul_f64 v[6:7], v[116:117], v[88:89]
	v_mul_f64 v[12:13], v[78:79], v[112:113]
	v_add_f64 v[2:3], v[2:3], v[8:9]
	v_fmac_f64_e32 v[10:11], v[72:73], v[106:107]
	v_fma_f64 v[6:7], v[114:115], v[86:87], -v[6:7]
	v_mul_f64 v[14:15], v[90:91], v[120:121]
	v_add_f64 v[2:3], v[2:3], v[10:11]
	v_fmac_f64_e32 v[12:13], v[80:81], v[110:111]
	v_add_f64 v[0:1], v[0:1], v[6:7]
	v_mul_f64 v[6:7], v[124:125], v[96:97]
	v_add_f64 v[2:3], v[2:3], v[12:13]
	v_fmac_f64_e32 v[14:15], v[92:93], v[118:119]
	v_mul_f64 v[8:9], v[114:115], v[88:89]
	v_fma_f64 v[6:7], v[122:123], v[94:95], -v[6:7]
	v_add_f64 v[2:3], v[2:3], v[14:15]
	v_mul_f64 v[10:11], v[122:123], v[96:97]
	v_add_f64 v[0:1], v[0:1], v[6:7]
	v_mul_f64 v[6:7], v[128:129], v[100:101]
	v_fmac_f64_e32 v[8:9], v[116:117], v[86:87]
	v_fma_f64 v[6:7], v[126:127], v[98:99], -v[6:7]
	v_mul_f64 v[12:13], v[126:127], v[100:101]
	v_fmac_f64_e32 v[10:11], v[124:125], v[94:95]
	v_add_f64 v[2:3], v[2:3], v[8:9]
	v_add_f64 v[0:1], v[0:1], v[6:7]
	v_mul_f64 v[6:7], v[132:133], v[136:137]
	v_mul_f64 v[14:15], v[130:131], v[136:137]
	v_fmac_f64_e32 v[12:13], v[128:129], v[98:99]
	v_add_f64 v[2:3], v[2:3], v[10:11]
	v_fma_f64 v[6:7], v[130:131], v[134:135], -v[6:7]
	v_fmac_f64_e32 v[14:15], v[132:133], v[134:135]
	v_add_f64 v[2:3], v[2:3], v[12:13]
	s_add_i32 s0, s2, 1
	s_add_i32 s10, s10, s30
	;; [unrolled: 1-line block ×3, first 2 shown]
	v_add_f64 v[0:1], v[0:1], v[6:7]
	v_add_f64 v[2:3], v[2:3], v[14:15]
	v_add_u32_e32 v172, 64, v172
	v_lshl_add_u64 v[176:177], v[176:177], 0, s[12:13]
	v_lshl_add_u64 v[178:179], v[178:179], 0, s[12:13]
	;; [unrolled: 1-line block ×19, first 2 shown]
	s_cmp_ge_u32 s1, s3
	v_lshl_add_u64 v[214:215], v[214:215], 0, s[12:13]
	s_barrier
	s_cbranch_scc1 .LBB54_188
; %bb.187:                              ;   in Loop: Header=BB54_136 Depth=1
	s_mov_b32 s2, s0
	s_cmp_eq_u32 s19, s2
	s_cselect_b32 s26, s33, 0
	s_and_saveexec_b64 s[0:1], s[4:5]
	s_cbranch_execnz .LBB54_132
	s_branch .LBB54_136
.LBB54_188:
	s_movk_i32 s0, 0x430
	v_cmp_gt_i32_e32 vcc, s18, v168
	v_mad_u32_u24 v4, v167, s0, v169
	s_or_b64 s[0:1], s[20:21], vcc
	s_and_b64 s[0:1], s[4:5], s[0:1]
	ds_write_b128 v4, v[0:3]
	s_waitcnt lgkmcnt(0)
	s_barrier
	s_and_saveexec_b64 s[2:3], s[0:1]
	s_cbranch_execz .LBB54_190
; %bb.189:
	ds_read_b128 v[0:3], v169 offset:1072
	ds_read_b128 v[4:7], v169
	ds_read_b128 v[8:11], v169 offset:2144
	ds_read_b128 v[12:15], v169 offset:3216
	v_ashrrev_i32_e32 v167, 31, v166
	s_waitcnt lgkmcnt(2)
	v_add_f64 v[0:1], v[0:1], v[4:5]
	v_add_f64 v[2:3], v[2:3], v[6:7]
	s_waitcnt lgkmcnt(1)
	v_add_f64 v[0:1], v[0:1], v[8:9]
	v_add_f64 v[2:3], v[2:3], v[10:11]
	;; [unrolled: 3-line block ×3, first 2 shown]
	v_lshl_add_u64 v[4:5], v[166:167], 4, s[8:9]
	global_store_dwordx4 v[4:5], v[0:3], off
.LBB54_190:
	s_endpgm
	.section	.rodata,"a",@progbits
	.p2align	6, 0x0
	.amdhsa_kernel _ZL26rocblas_hemvn_kernel_upperILb1ELi64ELi4ELi33ELi32ELi16Ei19rocblas_complex_numIdEPKPKS1_PS1_EviT6_lT7_lT5_lS8_lS9_lS7_lT8_i
		.amdhsa_group_segment_fixed_size 19200
		.amdhsa_private_segment_fixed_size 0
		.amdhsa_kernarg_size 392
		.amdhsa_user_sgpr_count 2
		.amdhsa_user_sgpr_dispatch_ptr 0
		.amdhsa_user_sgpr_queue_ptr 0
		.amdhsa_user_sgpr_kernarg_segment_ptr 1
		.amdhsa_user_sgpr_dispatch_id 0
		.amdhsa_user_sgpr_kernarg_preload_length 0
		.amdhsa_user_sgpr_kernarg_preload_offset 0
		.amdhsa_user_sgpr_private_segment_size 0
		.amdhsa_uses_dynamic_stack 0
		.amdhsa_enable_private_segment 0
		.amdhsa_system_sgpr_workgroup_id_x 1
		.amdhsa_system_sgpr_workgroup_id_y 0
		.amdhsa_system_sgpr_workgroup_id_z 1
		.amdhsa_system_sgpr_workgroup_info 0
		.amdhsa_system_vgpr_workitem_id 1
		.amdhsa_next_free_vgpr 240
		.amdhsa_next_free_sgpr 40
		.amdhsa_accum_offset 240
		.amdhsa_reserve_vcc 1
		.amdhsa_float_round_mode_32 0
		.amdhsa_float_round_mode_16_64 0
		.amdhsa_float_denorm_mode_32 3
		.amdhsa_float_denorm_mode_16_64 3
		.amdhsa_dx10_clamp 1
		.amdhsa_ieee_mode 1
		.amdhsa_fp16_overflow 0
		.amdhsa_tg_split 0
		.amdhsa_exception_fp_ieee_invalid_op 0
		.amdhsa_exception_fp_denorm_src 0
		.amdhsa_exception_fp_ieee_div_zero 0
		.amdhsa_exception_fp_ieee_overflow 0
		.amdhsa_exception_fp_ieee_underflow 0
		.amdhsa_exception_fp_ieee_inexact 0
		.amdhsa_exception_int_div_zero 0
	.end_amdhsa_kernel
	.section	.text._ZL26rocblas_hemvn_kernel_upperILb1ELi64ELi4ELi33ELi32ELi16Ei19rocblas_complex_numIdEPKPKS1_PS1_EviT6_lT7_lT5_lS8_lS9_lS7_lT8_i,"axG",@progbits,_ZL26rocblas_hemvn_kernel_upperILb1ELi64ELi4ELi33ELi32ELi16Ei19rocblas_complex_numIdEPKPKS1_PS1_EviT6_lT7_lT5_lS8_lS9_lS7_lT8_i,comdat
.Lfunc_end54:
	.size	_ZL26rocblas_hemvn_kernel_upperILb1ELi64ELi4ELi33ELi32ELi16Ei19rocblas_complex_numIdEPKPKS1_PS1_EviT6_lT7_lT5_lS8_lS9_lS7_lT8_i, .Lfunc_end54-_ZL26rocblas_hemvn_kernel_upperILb1ELi64ELi4ELi33ELi32ELi16Ei19rocblas_complex_numIdEPKPKS1_PS1_EviT6_lT7_lT5_lS8_lS9_lS7_lT8_i
                                        ; -- End function
	.section	.AMDGPU.csdata,"",@progbits
; Kernel info:
; codeLenInByte = 10768
; NumSgprs: 46
; NumVgprs: 240
; NumAgprs: 0
; TotalNumVgprs: 240
; ScratchSize: 0
; MemoryBound: 1
; FloatMode: 240
; IeeeMode: 1
; LDSByteSize: 19200 bytes/workgroup (compile time only)
; SGPRBlocks: 5
; VGPRBlocks: 29
; NumSGPRsForWavesPerEU: 46
; NumVGPRsForWavesPerEU: 240
; AccumOffset: 240
; Occupancy: 2
; WaveLimiterHint : 1
; COMPUTE_PGM_RSRC2:SCRATCH_EN: 0
; COMPUTE_PGM_RSRC2:USER_SGPR: 2
; COMPUTE_PGM_RSRC2:TRAP_HANDLER: 0
; COMPUTE_PGM_RSRC2:TGID_X_EN: 1
; COMPUTE_PGM_RSRC2:TGID_Y_EN: 0
; COMPUTE_PGM_RSRC2:TGID_Z_EN: 1
; COMPUTE_PGM_RSRC2:TIDIG_COMP_CNT: 1
; COMPUTE_PGM_RSRC3_GFX90A:ACCUM_OFFSET: 59
; COMPUTE_PGM_RSRC3_GFX90A:TG_SPLIT: 0
	.section	.text._ZL36rocblas_hemvn_kernel_upper_block_sumILi64Ei19rocblas_complex_numIdEPKPS1_S1_EviT1_lS5_lT2_lT0_lPT3_i,"axG",@progbits,_ZL36rocblas_hemvn_kernel_upper_block_sumILi64Ei19rocblas_complex_numIdEPKPS1_S1_EviT1_lS5_lT2_lT0_lPT3_i,comdat
	.globl	_ZL36rocblas_hemvn_kernel_upper_block_sumILi64Ei19rocblas_complex_numIdEPKPS1_S1_EviT1_lS5_lT2_lT0_lPT3_i ; -- Begin function _ZL36rocblas_hemvn_kernel_upper_block_sumILi64Ei19rocblas_complex_numIdEPKPS1_S1_EviT1_lS5_lT2_lT0_lPT3_i
	.p2align	8
	.type	_ZL36rocblas_hemvn_kernel_upper_block_sumILi64Ei19rocblas_complex_numIdEPKPS1_S1_EviT1_lS5_lT2_lT0_lPT3_i,@function
_ZL36rocblas_hemvn_kernel_upper_block_sumILi64Ei19rocblas_complex_numIdEPKPS1_S1_EviT1_lS5_lT2_lT0_lPT3_i: ; @_ZL36rocblas_hemvn_kernel_upper_block_sumILi64Ei19rocblas_complex_numIdEPKPS1_S1_EviT1_lS5_lT2_lT0_lPT3_i
; %bb.0:
	s_load_dwordx4 s[12:15], s[0:1], 0x8
	s_load_dwordx4 s[8:11], s[0:1], 0x20
	s_mov_b32 s18, s3
	s_waitcnt lgkmcnt(0)
	v_cmp_neq_f64_e64 s[4:5], s[12:13], 0
	v_cmp_neq_f64_e64 s[6:7], s[14:15], 0
	s_or_b64 s[4:5], s[4:5], s[6:7]
	s_mov_b64 s[6:7], -1
	s_and_b64 vcc, exec, s[4:5]
	s_cbranch_vccnz .LBB55_2
; %bb.1:
	v_cmp_neq_f64_e64 s[6:7], s[8:9], 1.0
	v_cmp_neq_f64_e64 s[16:17], s[10:11], 0
	s_or_b64 s[6:7], s[6:7], s[16:17]
.LBB55_2:
	s_andn2_b64 vcc, exec, s[6:7]
	s_cbranch_vccnz .LBB55_22
; %bb.3:
	s_load_dword s3, s[0:1], 0x48
	s_load_dwordx4 s[24:27], s[0:1], 0x38
	s_load_dword s20, s[0:1], 0x0
	s_mov_b32 s19, 0
	s_lshl_b64 s[6:7], s[18:19], 3
	s_xor_b64 s[4:5], s[4:5], -1
	s_waitcnt lgkmcnt(0)
	s_add_u32 s6, s24, s6
	s_addc_u32 s7, s25, s7
	s_load_dwordx2 s[6:7], s[6:7], 0x0
	s_lshl_b64 s[16:17], s[26:27], 4
	v_lshl_or_b32 v4, s2, 6, v0
	s_waitcnt lgkmcnt(0)
	s_add_u32 s6, s6, s16
	s_addc_u32 s7, s7, s17
	s_andn2_b64 vcc, exec, s[4:5]
	v_cmp_gt_i32_e64 s[4:5], s20, v4
	s_cbranch_vccnz .LBB55_8
; %bb.4:
	s_mov_b64 s[22:23], 0
	s_mov_b64 s[16:17], 0
                                        ; implicit-def: $vgpr2_vgpr3
                                        ; implicit-def: $vgpr6_vgpr7
	s_and_saveexec_b64 s[24:25], s[4:5]
	s_cbranch_execz .LBB55_9
; %bb.5:
	v_cmp_neq_f64_e64 s[4:5], s[8:9], 0
	v_cmp_neq_f64_e64 s[16:17], s[10:11], 0
	v_mov_b64_e32 v[2:3], 0
	v_mul_lo_u32 v6, v4, s3
	s_or_b64 s[4:5], s[4:5], s[16:17]
	v_ashrrev_i32_e32 v7, 31, v6
	s_andn2_b64 vcc, exec, s[4:5]
	v_mov_b64_e32 v[0:1], v[2:3]
	s_cbranch_vccnz .LBB55_7
; %bb.6:
	v_lshl_add_u64 v[0:1], v[6:7], 4, s[6:7]
	global_load_dwordx4 v[8:11], v[0:1], off
	s_waitcnt vmcnt(0)
	v_mul_f64 v[0:1], s[10:11], v[10:11]
	v_mul_f64 v[2:3], s[8:9], v[10:11]
	v_fma_f64 v[0:1], s[8:9], v[8:9], -v[0:1]
	v_fmac_f64_e32 v[2:3], s[10:11], v[8:9]
.LBB55_7:
	s_mov_b64 s[16:17], exec
	s_or_b64 exec, exec, s[24:25]
	s_and_b64 vcc, exec, s[22:23]
	s_cbranch_vccnz .LBB55_10
	s_branch .LBB55_20
.LBB55_8:
	s_mov_b64 s[16:17], 0
                                        ; implicit-def: $vgpr2_vgpr3
                                        ; implicit-def: $vgpr6_vgpr7
	s_cbranch_execnz .LBB55_10
	s_branch .LBB55_20
.LBB55_9:
	s_or_b64 exec, exec, s[24:25]
	s_and_b64 vcc, exec, s[22:23]
	s_cbranch_vccz .LBB55_20
.LBB55_10:
	v_cmp_gt_i32_e32 vcc, s20, v4
                                        ; implicit-def: $vgpr2_vgpr3
                                        ; implicit-def: $vgpr6_vgpr7
	s_and_saveexec_b64 s[4:5], vcc
	s_cbranch_execz .LBB55_19
; %bb.11:
	v_mov_b64_e32 v[0:1], 0
	s_cmp_lt_i32 s2, 0
	v_mov_b64_e32 v[8:9], v[0:1]
	s_cbranch_scc1 .LBB55_14
; %bb.12:
	s_load_dwordx2 s[22:23], s[0:1], 0x58
	s_load_dword s19, s[0:1], 0x68
	s_ashr_i32 s21, s20, 31
	s_mul_hi_u32 s0, s20, s18
	s_mul_i32 s1, s21, s18
	s_add_i32 s0, s0, s1
	s_mul_i32 s18, s20, s18
	s_waitcnt lgkmcnt(0)
	s_mul_i32 s0, s0, s19
	s_mul_hi_u32 s1, s18, s19
	s_add_i32 s1, s1, s0
	s_mul_i32 s0, s18, s19
	s_add_i32 s2, s2, 1
	s_lshl_b64 s[0:1], s[0:1], 4
	s_add_u32 s0, s22, s0
	v_mov_b32_e32 v5, 0
	s_addc_u32 s1, s23, s1
	v_lshl_add_u64 v[0:1], v[4:5], 4, s[0:1]
	v_lshl_add_u64 v[2:3], v[0:1], 0, 8
	v_mov_b64_e32 v[0:1], 0
	s_lshl_b64 s[0:1], s[20:21], 4
	v_mov_b64_e32 v[8:9], v[0:1]
.LBB55_13:                              ; =>This Inner Loop Header: Depth=1
	global_load_dwordx4 v[10:13], v[2:3], off offset:-8
	s_add_i32 s2, s2, -1
	v_lshl_add_u64 v[2:3], v[2:3], 0, s[0:1]
	s_cmp_eq_u32 s2, 0
	s_waitcnt vmcnt(0)
	v_add_f64 v[8:9], v[8:9], v[10:11]
	v_add_f64 v[0:1], v[0:1], v[12:13]
	s_cbranch_scc0 .LBB55_13
.LBB55_14:
	v_cmp_neq_f64_e64 s[18:19], s[8:9], 0
	v_cmp_neq_f64_e64 s[20:21], s[10:11], 0
	s_or_b64 s[18:19], s[18:19], s[20:21]
	v_mul_f64 v[10:11], s[14:15], v[0:1]
	v_mul_f64 v[2:3], s[12:13], v[0:1]
	v_mul_lo_u32 v6, v4, s3
	s_mov_b64 s[0:1], 0
	s_andn2_b64 vcc, exec, s[18:19]
	v_fma_f64 v[0:1], s[12:13], v[8:9], -v[10:11]
	v_fmac_f64_e32 v[2:3], s[14:15], v[8:9]
	v_ashrrev_i32_e32 v7, 31, v6
	s_cbranch_vccnz .LBB55_16
; %bb.15:
	s_mov_b64 s[0:1], -1
.LBB55_16:
	s_andn2_b64 vcc, exec, s[0:1]
	s_cbranch_vccnz .LBB55_18
; %bb.17:
	v_lshl_add_u64 v[4:5], v[6:7], 4, s[6:7]
	global_load_dwordx4 v[8:11], v[4:5], off
	s_waitcnt vmcnt(0)
	v_mul_f64 v[4:5], s[10:11], v[10:11]
	v_mul_f64 v[10:11], s[8:9], v[10:11]
	v_fma_f64 v[4:5], s[8:9], v[8:9], -v[4:5]
	v_fmac_f64_e32 v[10:11], s[10:11], v[8:9]
	v_add_f64 v[0:1], v[0:1], v[4:5]
	v_add_f64 v[2:3], v[2:3], v[10:11]
.LBB55_18:
	s_or_b64 s[16:17], s[16:17], exec
.LBB55_19:
	s_or_b64 exec, exec, s[4:5]
.LBB55_20:
	s_and_saveexec_b64 s[0:1], s[16:17]
	s_cbranch_execz .LBB55_22
; %bb.21:
	v_lshl_add_u64 v[4:5], v[6:7], 4, s[6:7]
	global_store_dwordx4 v[4:5], v[0:3], off
.LBB55_22:
	s_endpgm
	.section	.rodata,"a",@progbits
	.p2align	6, 0x0
	.amdhsa_kernel _ZL36rocblas_hemvn_kernel_upper_block_sumILi64Ei19rocblas_complex_numIdEPKPS1_S1_EviT1_lS5_lT2_lT0_lPT3_i
		.amdhsa_group_segment_fixed_size 0
		.amdhsa_private_segment_fixed_size 0
		.amdhsa_kernarg_size 360
		.amdhsa_user_sgpr_count 2
		.amdhsa_user_sgpr_dispatch_ptr 0
		.amdhsa_user_sgpr_queue_ptr 0
		.amdhsa_user_sgpr_kernarg_segment_ptr 1
		.amdhsa_user_sgpr_dispatch_id 0
		.amdhsa_user_sgpr_kernarg_preload_length 0
		.amdhsa_user_sgpr_kernarg_preload_offset 0
		.amdhsa_user_sgpr_private_segment_size 0
		.amdhsa_uses_dynamic_stack 0
		.amdhsa_enable_private_segment 0
		.amdhsa_system_sgpr_workgroup_id_x 1
		.amdhsa_system_sgpr_workgroup_id_y 0
		.amdhsa_system_sgpr_workgroup_id_z 1
		.amdhsa_system_sgpr_workgroup_info 0
		.amdhsa_system_vgpr_workitem_id 0
		.amdhsa_next_free_vgpr 14
		.amdhsa_next_free_sgpr 28
		.amdhsa_accum_offset 16
		.amdhsa_reserve_vcc 1
		.amdhsa_float_round_mode_32 0
		.amdhsa_float_round_mode_16_64 0
		.amdhsa_float_denorm_mode_32 3
		.amdhsa_float_denorm_mode_16_64 3
		.amdhsa_dx10_clamp 1
		.amdhsa_ieee_mode 1
		.amdhsa_fp16_overflow 0
		.amdhsa_tg_split 0
		.amdhsa_exception_fp_ieee_invalid_op 0
		.amdhsa_exception_fp_denorm_src 0
		.amdhsa_exception_fp_ieee_div_zero 0
		.amdhsa_exception_fp_ieee_overflow 0
		.amdhsa_exception_fp_ieee_underflow 0
		.amdhsa_exception_fp_ieee_inexact 0
		.amdhsa_exception_int_div_zero 0
	.end_amdhsa_kernel
	.section	.text._ZL36rocblas_hemvn_kernel_upper_block_sumILi64Ei19rocblas_complex_numIdEPKPS1_S1_EviT1_lS5_lT2_lT0_lPT3_i,"axG",@progbits,_ZL36rocblas_hemvn_kernel_upper_block_sumILi64Ei19rocblas_complex_numIdEPKPS1_S1_EviT1_lS5_lT2_lT0_lPT3_i,comdat
.Lfunc_end55:
	.size	_ZL36rocblas_hemvn_kernel_upper_block_sumILi64Ei19rocblas_complex_numIdEPKPS1_S1_EviT1_lS5_lT2_lT0_lPT3_i, .Lfunc_end55-_ZL36rocblas_hemvn_kernel_upper_block_sumILi64Ei19rocblas_complex_numIdEPKPS1_S1_EviT1_lS5_lT2_lT0_lPT3_i
                                        ; -- End function
	.section	.AMDGPU.csdata,"",@progbits
; Kernel info:
; codeLenInByte = 700
; NumSgprs: 34
; NumVgprs: 14
; NumAgprs: 0
; TotalNumVgprs: 14
; ScratchSize: 0
; MemoryBound: 0
; FloatMode: 240
; IeeeMode: 1
; LDSByteSize: 0 bytes/workgroup (compile time only)
; SGPRBlocks: 4
; VGPRBlocks: 1
; NumSGPRsForWavesPerEU: 34
; NumVGPRsForWavesPerEU: 14
; AccumOffset: 16
; Occupancy: 8
; WaveLimiterHint : 1
; COMPUTE_PGM_RSRC2:SCRATCH_EN: 0
; COMPUTE_PGM_RSRC2:USER_SGPR: 2
; COMPUTE_PGM_RSRC2:TRAP_HANDLER: 0
; COMPUTE_PGM_RSRC2:TGID_X_EN: 1
; COMPUTE_PGM_RSRC2:TGID_Y_EN: 0
; COMPUTE_PGM_RSRC2:TGID_Z_EN: 1
; COMPUTE_PGM_RSRC2:TIDIG_COMP_CNT: 0
; COMPUTE_PGM_RSRC3_GFX90A:ACCUM_OFFSET: 3
; COMPUTE_PGM_RSRC3_GFX90A:TG_SPLIT: 0
	.section	.text._ZL26rocblas_hemvn_kernel_lowerILb1ELi64ELi4ELi33ELi32ELi16ElPK19rocblas_complex_numIdEPKS3_PS1_EviT6_lT7_lT5_lS8_lS9_lS7_lT8_i,"axG",@progbits,_ZL26rocblas_hemvn_kernel_lowerILb1ELi64ELi4ELi33ELi32ELi16ElPK19rocblas_complex_numIdEPKS3_PS1_EviT6_lT7_lT5_lS8_lS9_lS7_lT8_i,comdat
	.globl	_ZL26rocblas_hemvn_kernel_lowerILb1ELi64ELi4ELi33ELi32ELi16ElPK19rocblas_complex_numIdEPKS3_PS1_EviT6_lT7_lT5_lS8_lS9_lS7_lT8_i ; -- Begin function _ZL26rocblas_hemvn_kernel_lowerILb1ELi64ELi4ELi33ELi32ELi16ElPK19rocblas_complex_numIdEPKS3_PS1_EviT6_lT7_lT5_lS8_lS9_lS7_lT8_i
	.p2align	8
	.type	_ZL26rocblas_hemvn_kernel_lowerILb1ELi64ELi4ELi33ELi32ELi16ElPK19rocblas_complex_numIdEPKS3_PS1_EviT6_lT7_lT5_lS8_lS9_lS7_lT8_i,@function
_ZL26rocblas_hemvn_kernel_lowerILb1ELi64ELi4ELi33ELi32ELi16ElPK19rocblas_complex_numIdEPKS3_PS1_EviT6_lT7_lT5_lS8_lS9_lS7_lT8_i: ; @_ZL26rocblas_hemvn_kernel_lowerILb1ELi64ELi4ELi33ELi32ELi16ElPK19rocblas_complex_numIdEPKS3_PS1_EviT6_lT7_lT5_lS8_lS9_lS7_lT8_i
; %bb.0:
	s_load_dwordx2 s[4:5], s[0:1], 0x84
	s_add_u32 s12, s0, 0x78
	s_mov_b32 s24, s3
	s_addc_u32 s13, s1, 0
	s_waitcnt lgkmcnt(0)
	s_and_b32 s3, s5, 0xffff
	s_lshr_b32 s5, s4, 16
	s_and_b32 s4, s4, 0xffff
	s_mul_i32 s4, s5, s4
	s_mul_i32 s4, s4, s3
	s_cmpk_lg_i32 s4, 0x100
	s_cbranch_scc1 .LBB56_139
; %bb.1:
	s_load_dwordx8 s[4:11], s[0:1], 0x8
	s_load_dwordx2 s[26:27], s[0:1], 0x68
	s_mov_b32 s25, 0
	s_mov_b64 s[16:17], 0
	s_waitcnt lgkmcnt(0)
	s_mul_i32 s3, s24, s7
	s_mul_hi_u32 s7, s24, s6
	s_mul_i32 s6, s24, s6
	s_add_i32 s7, s7, s3
	s_lshl_b64 s[6:7], s[6:7], 4
	s_add_u32 s14, s4, s6
	s_addc_u32 s15, s5, s7
	s_load_dwordx4 s[28:31], s[14:15], 0x0
	s_load_dwordx2 s[22:23], s[0:1], 0x28
	s_load_dwordx4 s[4:7], s[0:1], 0x58
	s_waitcnt lgkmcnt(0)
	v_cmp_neq_f64_e64 s[14:15], s[28:29], 0
	v_cmp_neq_f64_e64 s[18:19], s[30:31], 0
	s_or_b64 s[14:15], s[14:15], s[18:19]
	s_and_b64 vcc, exec, s[14:15]
	s_cbranch_vccnz .LBB56_3
; %bb.2:
	s_mul_i32 s3, s24, s7
	s_mul_hi_u32 s7, s24, s6
	s_add_i32 s7, s7, s3
	s_mul_i32 s6, s24, s6
	s_lshl_b64 s[6:7], s[6:7], 4
	s_add_u32 s4, s4, s6
	s_addc_u32 s5, s5, s7
	s_load_dwordx4 s[16:19], s[4:5], 0x0
	s_mov_b64 s[6:7], 0
	s_waitcnt lgkmcnt(0)
	v_cmp_neq_f64_e64 s[4:5], s[16:17], 1.0
	v_cmp_neq_f64_e64 s[16:17], s[18:19], 0
	s_or_b64 s[16:17], s[4:5], s[16:17]
	s_cbranch_execz .LBB56_4
	s_branch .LBB56_5
.LBB56_3:
	s_mov_b64 s[6:7], -1
.LBB56_4:
	s_lshl_b64 s[4:5], s[24:25], 3
	s_add_u32 s4, s8, s4
	s_addc_u32 s5, s9, s5
	s_load_dwordx2 s[4:5], s[4:5], 0x0
	s_lshl_b64 s[6:7], s[10:11], 4
	s_mov_b64 s[16:17], -1
	s_waitcnt lgkmcnt(0)
	s_add_u32 s6, s4, s6
	s_addc_u32 s7, s5, s7
.LBB56_5:
	s_andn2_b64 vcc, exec, s[16:17]
	s_cbranch_vccnz .LBB56_139
; %bb.6:
	s_load_dwordx4 s[8:11], s[0:1], 0x38
	s_load_dwordx2 s[20:21], s[0:1], 0x48
	v_cndmask_b32_e64 v1, 0, 1, s[14:15]
	v_cmp_ne_u32_e64 s[4:5], 1, v1
	s_andn2_b64 vcc, exec, s[14:15]
	s_mov_b64 s[14:15], 0
	s_cbranch_vccnz .LBB56_8
; %bb.7:
	s_lshl_b64 s[14:15], s[24:25], 3
	s_waitcnt lgkmcnt(0)
	s_add_u32 s8, s8, s14
	s_addc_u32 s9, s9, s15
	s_load_dwordx2 s[8:9], s[8:9], 0x0
	s_lshl_b64 s[10:11], s[10:11], 4
	s_waitcnt lgkmcnt(0)
	s_add_u32 s14, s8, s10
	s_addc_u32 s15, s9, s11
.LBB56_8:
	s_and_b64 vcc, exec, s[4:5]
	s_cbranch_vccnz .LBB56_139
; %bb.9:
	s_load_dword s25, s[12:13], 0x0
	s_load_dword s3, s[0:1], 0x0
	v_and_b32_e32 v42, 0x3ff, v0
	s_lshl_b32 s30, s2, 6
	v_add_u32_e32 v132, s30, v42
	s_waitcnt lgkmcnt(0)
	s_add_i32 s0, s25, -1
	s_ashr_i32 s33, s3, 31
	s_lshr_b32 s1, s33, 26
	s_add_i32 s1, s3, s1
	s_andn2_b32 s1, s1, 63
	s_sub_i32 s1, s3, s1
	s_cmp_eq_u32 s2, s0
	v_ashrrev_i32_e32 v133, 31, v132
	v_bfe_u32 v142, v0, 10, 10
	s_cselect_b32 s28, s1, 0
	v_mul_lo_u32 v2, v133, s20
	v_mul_lo_u32 v3, v132, s21
	v_mad_u64_u32 v[0:1], s[0:1], v132, s20, 0
	v_add3_u32 v1, v1, v3, v2
	v_lshl_add_u64 v[36:37], v[0:1], 4, s[14:15]
	v_cmp_ne_u32_e64 s[0:1], 0, v142
	v_cmp_eq_u32_e64 s[16:17], 0, v142
	s_and_saveexec_b64 s[4:5], s[16:17]
	s_cbranch_execz .LBB56_14
; %bb.10:
	s_cmp_lg_u32 s28, 0
	s_cselect_b64 s[8:9], -1, 0
	v_cmp_le_i32_e32 vcc, s28, v42
	v_mov_b32_e32 v0, 0x4700
	s_and_b64 s[8:9], s[8:9], vcc
	v_lshl_add_u32 v0, v42, 4, v0
	s_and_saveexec_b64 s[10:11], s[8:9]
	s_xor_b64 s[8:9], exec, s[10:11]
	s_cbranch_execz .LBB56_12
; %bb.11:
	v_mov_b32_e32 v2, 0
	v_mov_b32_e32 v3, v2
	;; [unrolled: 1-line block ×4, first 2 shown]
	ds_write_b128 v0, v[2:5]
                                        ; implicit-def: $vgpr0
.LBB56_12:
	s_andn2_saveexec_b64 s[8:9], s[8:9]
	s_cbranch_execz .LBB56_14
; %bb.13:
	flat_load_dwordx4 v[2:5], v[36:37]
	s_waitcnt vmcnt(0) lgkmcnt(0)
	ds_write2_b64 v0, v[2:3], v[4:5] offset1:1
.LBB56_14:
	s_or_b64 exec, exec, s[4:5]
	s_ashr_i32 s31, s30, 31
	v_lshl_add_u32 v43, v142, 6, v42
	s_lshl_b64 s[4:5], s[30:31], 4
	v_and_b32_e32 v4, 31, v42
	v_lshrrev_b32_e32 v10, 5, v43
	s_add_u32 s6, s6, s4
	v_mov_b32_e32 v5, 0
	s_addc_u32 s7, s7, s5
	v_mad_u64_u32 v[38:39], s[4:5], v10, s22, v[4:5]
	v_mov_b32_e32 v0, v39
	v_mad_u64_u32 v[0:1], s[4:5], v10, s23, v[0:1]
	s_mul_i32 s4, s30, s23
	s_mul_hi_u32 s5, s30, s22
	s_add_i32 s4, s5, s4
	s_mul_i32 s5, s31, s22
	s_add_i32 s5, s4, s5
	s_mul_i32 s4, s30, s22
	s_lshl_b64 s[34:35], s[4:5], 4
	s_add_u32 s4, s34, s6
	s_addc_u32 s5, s35, s7
	s_cmp_lg_u32 s28, 0
	v_mov_b32_e32 v39, v0
	s_cselect_b64 s[36:37], -1, 0
	s_cmp_eq_u32 s28, 0
	v_lshl_add_u64 v[6:7], v[38:39], 4, s[4:5]
	s_cselect_b64 s[18:19], -1, 0
	s_and_b64 vcc, exec, s[36:37]
	s_cbranch_vccnz .LBB56_16
; %bb.15:
	flat_load_dwordx4 v[0:3], v[6:7]
	v_mul_u32_u24_e32 v5, 33, v10
	s_lshl_b64 s[4:5], s[22:23], 7
	v_add_lshl_u32 v5, v5, v4, 4
	v_lshl_add_u64 v[8:9], v[6:7], 0, s[4:5]
	v_add_u32_e32 v11, 0x1080, v5
	s_mul_i32 s6, s23, 0x180
	s_waitcnt vmcnt(0) lgkmcnt(0)
	ds_write2_b64 v5, v[0:1], v[2:3] offset1:1
	flat_load_dwordx4 v[0:3], v[8:9]
	v_lshl_add_u64 v[8:9], v[8:9], 0, s[4:5]
	s_waitcnt vmcnt(0) lgkmcnt(0)
	ds_write2_b64 v11, v[0:1], v[2:3] offset1:1
	flat_load_dwordx4 v[0:3], v[8:9]
	v_mov_b32_e32 v8, 0x180
	v_mad_u64_u32 v[8:9], s[4:5], s22, v8, v[6:7]
	v_add_u32_e32 v11, 0x2100, v5
	v_add_u32_e32 v9, s6, v9
	v_add_u32_e32 v5, 0x3180, v5
	s_waitcnt vmcnt(0) lgkmcnt(0)
	ds_write2_b64 v11, v[0:1], v[2:3] offset1:1
	flat_load_dwordx4 v[0:3], v[8:9]
	s_waitcnt vmcnt(0) lgkmcnt(0)
	ds_write2_b64 v5, v[0:1], v[2:3] offset1:1
	s_cbranch_execz .LBB56_17
	s_branch .LBB56_34
.LBB56_16:
.LBB56_17:
	v_lshlrev_b32_e32 v0, 4, v4
	v_sub_co_u32_e32 v2, vcc, v6, v0
	s_ashr_i32 s29, s28, 31
	s_nop 0
	v_subbrev_co_u32_e32 v3, vcc, 0, v7, vcc
	v_lshl_add_u64 v[2:3], s[28:29], 4, v[2:3]
	v_lshl_add_u64 v[2:3], v[2:3], 0, -16
	v_cmp_gt_i32_e32 vcc, s28, v4
	v_mul_u32_u24_e32 v1, 33, v10
	v_cmp_le_i32_e64 s[4:5], s28, v10
	v_cndmask_b32_e32 v3, v3, v7, vcc
	v_cndmask_b32_e32 v2, v2, v6, vcc
	v_add_lshl_u32 v1, v1, v4, 4
	s_and_saveexec_b64 s[6:7], s[4:5]
	s_xor_b64 s[4:5], exec, s[6:7]
	s_cbranch_execz .LBB56_19
; %bb.18:
	v_mov_b32_e32 v12, 0
	v_mov_b32_e32 v13, v12
	;; [unrolled: 1-line block ×4, first 2 shown]
	ds_write_b128 v1, v[12:15]
.LBB56_19:
	s_andn2_saveexec_b64 s[4:5], s[4:5]
	s_cbranch_execz .LBB56_21
; %bb.20:
	flat_load_dwordx4 v[12:15], v[2:3]
	s_waitcnt vmcnt(0) lgkmcnt(0)
	ds_write2_b64 v1, v[12:13], v[14:15] offset1:1
.LBB56_21:
	s_or_b64 exec, exec, s[4:5]
	v_add_u32_e32 v5, 8, v10
	v_cmp_le_i32_e64 s[4:5], s28, v5
	s_and_saveexec_b64 s[6:7], s[4:5]
	s_xor_b64 s[4:5], exec, s[6:7]
	s_cbranch_execz .LBB56_23
; %bb.22:
	v_mul_u32_u24_e32 v5, 33, v5
	v_mov_b32_e32 v12, 0
	v_add_lshl_u32 v5, v5, v4, 4
	v_mov_b32_e32 v13, v12
	v_mov_b32_e32 v14, v12
	;; [unrolled: 1-line block ×3, first 2 shown]
	ds_write_b128 v5, v[12:15]
.LBB56_23:
	s_andn2_saveexec_b64 s[4:5], s[4:5]
	s_cbranch_execz .LBB56_25
; %bb.24:
	s_lshl_b64 s[6:7], s[22:23], 7
	v_lshl_add_u64 v[8:9], v[2:3], 0, s[6:7]
	flat_load_dwordx4 v[12:15], v[8:9]
	v_add_u32_e32 v5, 0x1080, v1
	s_waitcnt vmcnt(0) lgkmcnt(0)
	ds_write2_b64 v5, v[12:13], v[14:15] offset1:1
.LBB56_25:
	s_or_b64 exec, exec, s[4:5]
	v_add_u32_e32 v5, 16, v10
	v_cmp_le_i32_e64 s[4:5], s28, v5
	s_and_saveexec_b64 s[6:7], s[4:5]
	s_xor_b64 s[4:5], exec, s[6:7]
	s_cbranch_execz .LBB56_27
; %bb.26:
	v_mov_b32_e32 v12, 0
	v_mov_b32_e32 v13, v12
	;; [unrolled: 1-line block ×4, first 2 shown]
	ds_write_b128 v1, v[12:15] offset:8448
.LBB56_27:
	s_andn2_saveexec_b64 s[4:5], s[4:5]
	s_cbranch_execz .LBB56_29
; %bb.28:
	s_lshl_b64 s[6:7], s[22:23], 8
	v_lshl_add_u64 v[8:9], v[2:3], 0, s[6:7]
	flat_load_dwordx4 v[12:15], v[8:9]
	v_add_u32_e32 v5, 0x2100, v1
	s_waitcnt vmcnt(0) lgkmcnt(0)
	ds_write2_b64 v5, v[12:13], v[14:15] offset1:1
.LBB56_29:
	s_or_b64 exec, exec, s[4:5]
	v_add_u32_e32 v5, 24, v10
	v_cmp_le_i32_e64 s[4:5], s28, v5
	s_and_saveexec_b64 s[6:7], s[4:5]
	s_xor_b64 s[4:5], exec, s[6:7]
	s_cbranch_execz .LBB56_31
; %bb.30:
	v_mov_b32_e32 v12, 0
	v_mov_b32_e32 v13, v12
	;; [unrolled: 1-line block ×4, first 2 shown]
	ds_write_b128 v1, v[12:15] offset:12672
                                        ; implicit-def: $vgpr1
.LBB56_31:
	s_andn2_saveexec_b64 s[4:5], s[4:5]
	s_cbranch_execz .LBB56_33
; %bb.32:
	v_mov_b32_e32 v5, 0x180
	v_mad_u64_u32 v[8:9], s[6:7], s22, v5, v[2:3]
	s_mul_i32 s6, s23, 0x180
	s_nop 0
	v_add_u32_e32 v9, s6, v9
	flat_load_dwordx4 v[12:15], v[8:9]
	v_add_u32_e32 v1, 0x3180, v1
	s_waitcnt vmcnt(0) lgkmcnt(0)
	ds_write2_b64 v1, v[12:13], v[14:15] offset1:1
.LBB56_33:
	s_or_b64 exec, exec, s[4:5]
	v_mov_b32_e32 v1, 0
	v_lshl_add_u64 v[0:1], v[2:3], 0, v[0:1]
	s_lshl_b64 s[4:5], s[28:29], 4
	v_mov_b32_e32 v2, s5
	v_subrev_co_u32_e64 v0, s[4:5], s4, v0
	s_nop 1
	v_subb_co_u32_e64 v1, s[4:5], v1, v2, s[4:5]
	v_lshl_add_u64 v[0:1], v[0:1], 0, 16
	v_cndmask_b32_e32 v7, v1, v7, vcc
	v_cndmask_b32_e32 v6, v0, v6, vcc
.LBB56_34:
	v_lshlrev_b32_e32 v12, 2, v10
	v_cmp_ge_u32_e64 s[6:7], v12, v4
	s_waitcnt lgkmcnt(0)
	s_barrier
	s_and_saveexec_b64 s[4:5], s[6:7]
	s_xor_b64 s[4:5], exec, s[4:5]
	s_cbranch_execz .LBB56_38
; %bb.35:
	v_cmp_eq_u32_e32 vcc, v12, v4
	s_and_saveexec_b64 s[8:9], vcc
	s_cbranch_execz .LBB56_37
; %bb.36:
	v_mul_u32_u24_e32 v0, 34, v4
	v_lshlrev_b32_e32 v2, 4, v0
	v_mov_b32_e32 v0, 0
	v_mov_b32_e32 v1, v0
	ds_write_b64 v2, v[0:1] offset:8
.LBB56_37:
	s_or_b64 exec, exec, s[8:9]
.LBB56_38:
	s_or_saveexec_b64 s[4:5], s[4:5]
	v_mul_u32_u24_e32 v44, 33, v4
	v_add_lshl_u32 v5, v12, v44, 4
	s_xor_b64 exec, exec, s[4:5]
	s_cbranch_execz .LBB56_40
; %bb.39:
	v_mul_u32_u24_e32 v0, 0x84, v10
	v_add_lshl_u32 v0, v0, v4, 4
	ds_read_b128 v[0:3], v0
	s_waitcnt lgkmcnt(0)
	v_xor_b32_e32 v3, 0x80000000, v3
	ds_write_b128 v5, v[0:3]
.LBB56_40:
	s_or_b64 exec, exec, s[4:5]
	v_or_b32_e32 v13, 1, v12
	v_cmp_ge_u32_e64 s[8:9], v13, v4
	s_and_saveexec_b64 s[4:5], s[8:9]
	s_xor_b64 s[4:5], exec, s[4:5]
	s_cbranch_execz .LBB56_44
; %bb.41:
	v_cmp_eq_u32_e32 vcc, v13, v4
	s_and_saveexec_b64 s[10:11], vcc
	s_cbranch_execz .LBB56_43
; %bb.42:
	v_mul_u32_u24_e32 v0, 34, v4
	v_lshlrev_b32_e32 v2, 4, v0
	v_mov_b32_e32 v0, 0
	v_mov_b32_e32 v1, v0
	ds_write_b64 v2, v[0:1] offset:8
.LBB56_43:
	s_or_b64 exec, exec, s[10:11]
.LBB56_44:
	s_or_saveexec_b64 s[4:5], s[4:5]
	v_mul_u32_u24_e32 v0, 33, v13
	s_xor_b64 exec, exec, s[4:5]
	s_cbranch_execz .LBB56_46
; %bb.45:
	v_add_lshl_u32 v1, v0, v4, 4
	ds_read_b128 v[14:17], v1
	s_waitcnt lgkmcnt(0)
	v_xor_b32_e32 v17, 0x80000000, v17
	ds_write_b128 v5, v[14:17] offset:16
.LBB56_46:
	s_or_b64 exec, exec, s[4:5]
	v_or_b32_e32 v14, 2, v12
	v_cmp_ge_u32_e64 s[10:11], v14, v4
	s_and_saveexec_b64 s[4:5], s[10:11]
	s_xor_b64 s[4:5], exec, s[4:5]
	s_cbranch_execz .LBB56_50
; %bb.47:
	v_cmp_eq_u32_e32 vcc, v14, v4
	s_and_saveexec_b64 s[12:13], vcc
	s_cbranch_execz .LBB56_49
; %bb.48:
	v_mul_u32_u24_e32 v1, 34, v4
	v_mov_b32_e32 v2, 0
	v_lshlrev_b32_e32 v1, 4, v1
	v_mov_b32_e32 v3, v2
	ds_write_b64 v1, v[2:3] offset:8
.LBB56_49:
	s_or_b64 exec, exec, s[12:13]
.LBB56_50:
	s_andn2_saveexec_b64 s[4:5], s[4:5]
	s_cbranch_execz .LBB56_52
; %bb.51:
	v_mul_u32_u24_e32 v1, 33, v14
	v_add_lshl_u32 v1, v1, v4, 4
	ds_read_b128 v[16:19], v1
	s_waitcnt lgkmcnt(0)
	v_xor_b32_e32 v19, 0x80000000, v19
	ds_write_b128 v5, v[16:19] offset:32
.LBB56_52:
	s_or_b64 exec, exec, s[4:5]
	v_or_b32_e32 v15, 3, v12
	v_cmp_ge_u32_e64 s[12:13], v15, v4
	s_and_saveexec_b64 s[4:5], s[12:13]
	s_xor_b64 s[4:5], exec, s[4:5]
	s_cbranch_execz .LBB56_56
; %bb.53:
	v_cmp_eq_u32_e32 vcc, v15, v4
	s_and_saveexec_b64 s[14:15], vcc
	s_cbranch_execz .LBB56_55
; %bb.54:
	v_mul_u32_u24_e32 v1, 34, v4
	v_mov_b32_e32 v2, 0
	v_lshlrev_b32_e32 v1, 4, v1
	v_mov_b32_e32 v3, v2
	ds_write_b64 v1, v[2:3] offset:8
.LBB56_55:
	s_or_b64 exec, exec, s[14:15]
.LBB56_56:
	s_andn2_saveexec_b64 s[4:5], s[4:5]
	s_cbranch_execz .LBB56_58
; %bb.57:
	v_mul_u32_u24_e32 v1, 33, v15
	v_add_lshl_u32 v1, v1, v4, 4
	ds_read_b128 v[16:19], v1
	s_waitcnt lgkmcnt(0)
	v_xor_b32_e32 v19, 0x80000000, v19
	ds_write_b128 v5, v[16:19] offset:48
.LBB56_58:
	s_or_b64 exec, exec, s[4:5]
	v_mul_u32_u24_e32 v1, 0x84, v10
	v_lshlrev_b32_e32 v17, 4, v12
	s_waitcnt lgkmcnt(0)
	s_barrier
	v_add_lshl_u32 v16, v1, v4, 4
	ds_read_b128 v[18:21], v17 offset:18176
	ds_read_b128 v[22:25], v17 offset:18192
	ds_read_b128 v[26:29], v16
	ds_read_b128 v[30:33], v17 offset:18208
	ds_read_b128 v[46:49], v17 offset:18224
	v_add_lshl_u32 v11, v0, v4, 4
	ds_read_b128 v[0:3], v11
	s_waitcnt lgkmcnt(3)
	v_mul_f64 v[8:9], v[20:21], v[28:29]
	v_fma_f64 v[8:9], v[18:19], v[26:27], -v[8:9]
	v_mul_f64 v[18:19], v[18:19], v[28:29]
	v_fmac_f64_e32 v[18:19], v[20:21], v[26:27]
	v_add_f64 v[26:27], v[18:19], 0
	s_waitcnt lgkmcnt(0)
	v_mul_f64 v[18:19], v[24:25], v[2:3]
	v_fma_f64 v[28:29], v[22:23], v[0:1], -v[18:19]
	v_mul_f64 v[2:3], v[22:23], v[2:3]
	ds_read_b128 v[18:21], v11 offset:528
	v_fmac_f64_e32 v[2:3], v[24:25], v[0:1]
	v_add_f64 v[22:23], v[26:27], v[2:3]
	ds_read_b128 v[0:3], v11 offset:1056
	v_add_f64 v[8:9], v[8:9], 0
	s_waitcnt lgkmcnt(1)
	v_mul_f64 v[24:25], v[32:33], v[20:21]
	v_mul_f64 v[20:21], v[30:31], v[20:21]
	v_fmac_f64_e32 v[20:21], v[32:33], v[18:19]
	v_add_f64 v[8:9], v[8:9], v[28:29]
	v_fma_f64 v[24:25], v[30:31], v[18:19], -v[24:25]
	v_add_f64 v[18:19], v[22:23], v[20:21]
	s_waitcnt lgkmcnt(0)
	v_mul_f64 v[20:21], v[48:49], v[2:3]
	v_mul_f64 v[2:3], v[46:47], v[2:3]
	v_add_f64 v[8:9], v[8:9], v[24:25]
	v_fma_f64 v[20:21], v[46:47], v[0:1], -v[20:21]
	v_fmac_f64_e32 v[2:3], v[48:49], v[0:1]
	v_add_f64 v[0:1], v[8:9], v[20:21]
	v_add_f64 v[2:3], v[18:19], v[2:3]
	v_add_lshl_u32 v45, v10, v44, 4
	s_barrier
	ds_write_b128 v45, v[0:3]
	v_mov_b64_e32 v[0:1], 0
	v_cmp_gt_u32_e64 s[4:5], 32, v43
	v_mov_b64_e32 v[2:3], v[0:1]
	s_waitcnt lgkmcnt(0)
	s_barrier
	s_and_saveexec_b64 s[14:15], s[4:5]
	s_cbranch_execz .LBB56_60
; %bb.59:
	v_lshlrev_b32_e32 v30, 4, v44
	ds_read_b128 v[0:3], v30
	ds_read_b128 v[18:21], v30 offset:16
	ds_read_b128 v[22:25], v30 offset:32
	;; [unrolled: 1-line block ×3, first 2 shown]
	s_waitcnt lgkmcnt(2)
	v_add_f64 v[0:1], v[18:19], v[0:1]
	v_add_f64 v[8:9], v[20:21], v[2:3]
	s_waitcnt lgkmcnt(1)
	v_add_f64 v[18:19], v[0:1], v[22:23]
	ds_read_b128 v[0:3], v30 offset:64
	v_add_f64 v[8:9], v[8:9], v[24:25]
	s_waitcnt lgkmcnt(1)
	v_add_f64 v[22:23], v[18:19], v[26:27]
	ds_read_b128 v[18:21], v30 offset:80
	;; [unrolled: 4-line block ×3, first 2 shown]
	v_add_f64 v[8:9], v[8:9], v[2:3]
	ds_read_b128 v[0:3], v30 offset:112
	s_waitcnt lgkmcnt(2)
	v_add_f64 v[18:19], v[26:27], v[18:19]
	v_add_f64 v[8:9], v[8:9], v[20:21]
	s_waitcnt lgkmcnt(1)
	v_add_f64 v[18:19], v[18:19], v[22:23]
	v_add_f64 v[8:9], v[8:9], v[24:25]
	;; [unrolled: 3-line block ×3, first 2 shown]
.LBB56_60:
	s_or_b64 exec, exec, s[14:15]
	s_lshl_b64 s[14:15], s[22:23], 9
	v_lshl_add_u64 v[8:9], v[6:7], 0, s[14:15]
	s_mov_b64 s[38:39], 0x200
	v_cndmask_b32_e64 v6, 0, 1, s[18:19]
	v_cmp_ne_u32_e64 s[14:15], 1, v6
	s_andn2_b64 vcc, exec, s[18:19]
	v_lshl_add_u64 v[6:7], v[8:9], 0, s[38:39]
	s_barrier
	s_cbranch_vccnz .LBB56_62
; %bb.61:
	flat_load_dwordx4 v[18:21], v[6:7]
	v_mul_u32_u24_e32 v22, 33, v10
	s_lshl_b64 s[18:19], s[22:23], 7
	v_add_lshl_u32 v24, v22, v4, 4
	v_lshl_add_u64 v[22:23], v[8:9], 0, s[18:19]
	v_add_u32_e32 v25, 0x1080, v24
	s_mul_i32 s29, s23, 0x180
	s_waitcnt vmcnt(0) lgkmcnt(0)
	ds_write2_b64 v24, v[18:19], v[20:21] offset1:1
	flat_load_dwordx4 v[18:21], v[22:23] offset:512
	v_lshl_add_u64 v[22:23], v[22:23], 0, s[18:19]
	s_waitcnt vmcnt(0) lgkmcnt(0)
	ds_write2_b64 v25, v[18:19], v[20:21] offset1:1
	flat_load_dwordx4 v[18:21], v[22:23] offset:512
	v_mov_b32_e32 v22, 0x180
	v_mad_u64_u32 v[8:9], s[18:19], s22, v22, v[8:9]
	v_add_u32_e32 v22, 0x2100, v24
	v_add_u32_e32 v9, s29, v9
	s_waitcnt vmcnt(0) lgkmcnt(0)
	ds_write2_b64 v22, v[18:19], v[20:21] offset1:1
	flat_load_dwordx4 v[18:21], v[8:9] offset:512
	v_add_u32_e32 v8, 0x3180, v24
	s_waitcnt vmcnt(0) lgkmcnt(0)
	ds_write2_b64 v8, v[18:19], v[20:21] offset1:1
	s_cbranch_execz .LBB56_63
	s_branch .LBB56_80
.LBB56_62:
.LBB56_63:
	v_or_b32_e32 v18, 32, v4
	v_lshlrev_b32_e32 v8, 4, v18
	v_sub_co_u32_e32 v8, vcc, v6, v8
	s_ashr_i32 s29, s28, 31
	s_nop 0
	v_subbrev_co_u32_e32 v9, vcc, 0, v7, vcc
	v_lshl_add_u64 v[8:9], s[28:29], 4, v[8:9]
	v_lshl_add_u64 v[8:9], v[8:9], 0, -16
	v_cmp_gt_i32_e32 vcc, s28, v18
	s_sub_i32 s38, s28, 32
	v_mul_u32_u24_e32 v18, 33, v10
	v_cndmask_b32_e32 v9, v9, v7, vcc
	v_cndmask_b32_e32 v8, v8, v6, vcc
	v_cmp_le_i32_e64 s[18:19], s38, v10
	v_add_lshl_u32 v18, v18, v4, 4
	s_and_saveexec_b64 s[40:41], s[18:19]
	s_xor_b64 s[18:19], exec, s[40:41]
	s_cbranch_execz .LBB56_65
; %bb.64:
	v_mov_b32_e32 v20, 0
	v_mov_b32_e32 v21, v20
	;; [unrolled: 1-line block ×4, first 2 shown]
	ds_write_b128 v18, v[20:23]
.LBB56_65:
	s_andn2_saveexec_b64 s[18:19], s[18:19]
	s_cbranch_execz .LBB56_67
; %bb.66:
	flat_load_dwordx4 v[20:23], v[8:9]
	s_waitcnt vmcnt(0) lgkmcnt(0)
	ds_write2_b64 v18, v[20:21], v[22:23] offset1:1
.LBB56_67:
	s_or_b64 exec, exec, s[18:19]
	v_add_u32_e32 v19, 8, v10
	v_cmp_le_i32_e64 s[18:19], s38, v19
	s_and_saveexec_b64 s[40:41], s[18:19]
	s_xor_b64 s[18:19], exec, s[40:41]
	s_cbranch_execz .LBB56_69
; %bb.68:
	v_mul_u32_u24_e32 v19, 33, v19
	v_mov_b32_e32 v20, 0
	v_add_lshl_u32 v19, v19, v4, 4
	v_mov_b32_e32 v21, v20
	v_mov_b32_e32 v22, v20
	;; [unrolled: 1-line block ×3, first 2 shown]
	ds_write_b128 v19, v[20:23]
.LBB56_69:
	s_andn2_saveexec_b64 s[18:19], s[18:19]
	s_cbranch_execz .LBB56_71
; %bb.70:
	s_lshl_b64 s[40:41], s[22:23], 7
	v_lshl_add_u64 v[20:21], v[8:9], 0, s[40:41]
	flat_load_dwordx4 v[20:23], v[20:21]
	v_add_u32_e32 v19, 0x1080, v18
	s_waitcnt vmcnt(0) lgkmcnt(0)
	ds_write2_b64 v19, v[20:21], v[22:23] offset1:1
.LBB56_71:
	s_or_b64 exec, exec, s[18:19]
	v_add_u32_e32 v19, 16, v10
	v_cmp_le_i32_e64 s[18:19], s38, v19
	s_and_saveexec_b64 s[40:41], s[18:19]
	s_xor_b64 s[18:19], exec, s[40:41]
	s_cbranch_execz .LBB56_73
; %bb.72:
	v_mov_b32_e32 v20, 0
	v_mov_b32_e32 v21, v20
	;; [unrolled: 1-line block ×4, first 2 shown]
	ds_write_b128 v18, v[20:23] offset:8448
.LBB56_73:
	s_andn2_saveexec_b64 s[18:19], s[18:19]
	s_cbranch_execz .LBB56_75
; %bb.74:
	s_lshl_b64 s[40:41], s[22:23], 8
	v_lshl_add_u64 v[20:21], v[8:9], 0, s[40:41]
	flat_load_dwordx4 v[20:23], v[20:21]
	v_add_u32_e32 v19, 0x2100, v18
	s_waitcnt vmcnt(0) lgkmcnt(0)
	ds_write2_b64 v19, v[20:21], v[22:23] offset1:1
.LBB56_75:
	s_or_b64 exec, exec, s[18:19]
	v_add_u32_e32 v19, 24, v10
	v_cmp_le_i32_e64 s[18:19], s38, v19
	s_and_saveexec_b64 s[38:39], s[18:19]
	s_xor_b64 s[18:19], exec, s[38:39]
	s_cbranch_execz .LBB56_77
; %bb.76:
	v_mov_b32_e32 v20, 0
	v_mov_b32_e32 v21, v20
	;; [unrolled: 1-line block ×4, first 2 shown]
	ds_write_b128 v18, v[20:23] offset:12672
                                        ; implicit-def: $vgpr18
.LBB56_77:
	s_andn2_saveexec_b64 s[18:19], s[18:19]
	s_cbranch_execz .LBB56_79
; %bb.78:
	v_mov_b32_e32 v19, 0x180
	v_mad_u64_u32 v[20:21], s[38:39], s22, v19, v[8:9]
	s_mul_i32 s38, s23, 0x180
	s_nop 0
	v_add_u32_e32 v21, s38, v21
	flat_load_dwordx4 v[20:23], v[20:21]
	v_add_u32_e32 v18, 0x3180, v18
	s_waitcnt vmcnt(0) lgkmcnt(0)
	ds_write2_b64 v18, v[20:21], v[22:23] offset1:1
.LBB56_79:
	s_or_b64 exec, exec, s[18:19]
	v_lshlrev_b32_e32 v18, 4, v4
	v_mov_b32_e32 v19, 0
	v_lshl_add_u64 v[8:9], v[8:9], 0, v[18:19]
	s_lshl_b64 s[18:19], s[28:29], 4
	v_mov_b32_e32 v18, s19
	v_subrev_co_u32_e64 v8, s[18:19], s18, v8
	s_nop 1
	v_subb_co_u32_e64 v9, s[18:19], v9, v18, s[18:19]
	s_mov_b64 s[18:19], 0x210
	s_nop 0
	v_lshl_add_u64 v[8:9], v[8:9], 0, s[18:19]
	v_cndmask_b32_e32 v7, v9, v7, vcc
	v_cndmask_b32_e32 v6, v8, v6, vcc
.LBB56_80:
	v_add_u32_e32 v8, 0x4700, v17
	s_lshl_b64 s[18:19], s[22:23], 5
	s_waitcnt lgkmcnt(0)
	s_barrier
	s_and_saveexec_b64 s[38:39], s[6:7]
	s_xor_b64 s[6:7], exec, s[38:39]
	s_cbranch_execnz .LBB56_93
; %bb.81:
	s_andn2_saveexec_b64 s[6:7], s[6:7]
	s_cbranch_execnz .LBB56_96
.LBB56_82:
	s_or_b64 exec, exec, s[6:7]
	s_and_saveexec_b64 s[6:7], s[8:9]
	s_xor_b64 s[6:7], exec, s[6:7]
	s_cbranch_execnz .LBB56_97
.LBB56_83:
	s_andn2_saveexec_b64 s[6:7], s[6:7]
	s_cbranch_execnz .LBB56_100
.LBB56_84:
	s_or_b64 exec, exec, s[6:7]
	s_and_saveexec_b64 s[6:7], s[10:11]
	s_xor_b64 s[6:7], exec, s[6:7]
	s_cbranch_execnz .LBB56_101
.LBB56_85:
	s_andn2_saveexec_b64 s[6:7], s[6:7]
	s_cbranch_execnz .LBB56_104
.LBB56_86:
	s_or_b64 exec, exec, s[6:7]
	s_and_saveexec_b64 s[6:7], s[12:13]
	s_xor_b64 s[6:7], exec, s[6:7]
	s_cbranch_execnz .LBB56_105
.LBB56_87:
	s_andn2_saveexec_b64 s[6:7], s[6:7]
	s_cbranch_execz .LBB56_89
.LBB56_88:
	ds_read_b128 v[12:15], v11 offset:1056
	s_waitcnt lgkmcnt(0)
	v_xor_b32_e32 v15, 0x80000000, v15
	ds_write_b128 v5, v[12:15] offset:48
.LBB56_89:
	s_or_b64 exec, exec, s[6:7]
	s_waitcnt lgkmcnt(0)
	s_barrier
	ds_read_b128 v[12:15], v8 offset:512
	ds_read_b128 v[16:19], v16
	ds_read_b128 v[20:23], v8 offset:528
	ds_read_b128 v[24:27], v8 offset:544
	v_cmp_eq_u32_e64 s[6:7], 1, v10
	s_waitcnt lgkmcnt(2)
	v_mul_f64 v[28:29], v[14:15], v[18:19]
	v_fma_f64 v[40:41], v[12:13], v[16:17], -v[28:29]
	ds_read_b128 v[28:31], v8 offset:560
	ds_read_b128 v[32:35], v11
	v_mul_f64 v[12:13], v[12:13], v[18:19]
	v_fmac_f64_e32 v[12:13], v[14:15], v[16:17]
	v_add_f64 v[18:19], v[12:13], 0
	v_add_f64 v[16:17], v[40:41], 0
	s_waitcnt lgkmcnt(0)
	v_mul_f64 v[12:13], v[22:23], v[34:35]
	v_fma_f64 v[40:41], v[20:21], v[32:33], -v[12:13]
	v_mul_f64 v[20:21], v[20:21], v[34:35]
	ds_read_b128 v[12:15], v11 offset:528
	v_fmac_f64_e32 v[20:21], v[22:23], v[32:33]
	v_add_f64 v[22:23], v[16:17], v[40:41]
	v_add_f64 v[20:21], v[18:19], v[20:21]
	ds_read_b128 v[16:19], v11 offset:1056
	s_waitcnt lgkmcnt(1)
	v_mul_f64 v[32:33], v[26:27], v[14:15]
	v_mul_f64 v[14:15], v[24:25], v[14:15]
	v_fmac_f64_e32 v[14:15], v[26:27], v[12:13]
	v_fma_f64 v[32:33], v[24:25], v[12:13], -v[32:33]
	v_add_f64 v[14:15], v[20:21], v[14:15]
	s_waitcnt lgkmcnt(0)
	v_mul_f64 v[20:21], v[30:31], v[18:19]
	v_mul_f64 v[18:19], v[28:29], v[18:19]
	v_add_f64 v[12:13], v[22:23], v[32:33]
	v_fma_f64 v[20:21], v[28:29], v[16:17], -v[20:21]
	v_fmac_f64_e32 v[18:19], v[30:31], v[16:17]
	v_add_f64 v[12:13], v[12:13], v[20:21]
	v_add_f64 v[14:15], v[14:15], v[18:19]
	s_barrier
	ds_write_b128 v45, v[12:15]
	s_waitcnt lgkmcnt(0)
	s_barrier
	s_and_saveexec_b64 s[8:9], s[6:7]
	s_cbranch_execz .LBB56_91
; %bb.90:
	v_lshlrev_b32_e32 v9, 4, v44
	ds_read_b128 v[0:3], v9
	ds_read_b128 v[12:15], v9 offset:16
	ds_read_b128 v[16:19], v9 offset:32
	;; [unrolled: 1-line block ×3, first 2 shown]
	s_waitcnt lgkmcnt(2)
	v_add_f64 v[0:1], v[12:13], v[0:1]
	v_add_f64 v[12:13], v[14:15], v[2:3]
	s_waitcnt lgkmcnt(1)
	v_add_f64 v[14:15], v[0:1], v[16:17]
	ds_read_b128 v[0:3], v9 offset:64
	v_add_f64 v[12:13], v[12:13], v[18:19]
	s_waitcnt lgkmcnt(1)
	v_add_f64 v[16:17], v[14:15], v[20:21]
	v_add_f64 v[20:21], v[12:13], v[22:23]
	ds_read_b128 v[12:15], v9 offset:80
	s_waitcnt lgkmcnt(1)
	v_add_f64 v[22:23], v[16:17], v[0:1]
	ds_read_b128 v[16:19], v9 offset:96
	v_add_f64 v[20:21], v[20:21], v[2:3]
	ds_read_b128 v[0:3], v9 offset:112
	s_waitcnt lgkmcnt(2)
	v_add_f64 v[12:13], v[22:23], v[12:13]
	v_add_f64 v[14:15], v[20:21], v[14:15]
	s_waitcnt lgkmcnt(1)
	v_add_f64 v[12:13], v[12:13], v[16:17]
	v_add_f64 v[14:15], v[14:15], v[18:19]
	;; [unrolled: 3-line block ×3, first 2 shown]
.LBB56_91:
	s_or_b64 exec, exec, s[8:9]
	s_lshl_b64 s[8:9], s[18:19], 4
	v_mov_b32_e32 v9, s9
	v_subrev_co_u32_e64 v40, s[8:9], s8, v6
	s_and_b64 vcc, exec, s[14:15]
	s_nop 0
	v_subb_co_u32_e64 v41, s[8:9], v7, v9, s[8:9]
	s_barrier
	s_cbranch_vccnz .LBB56_108
; %bb.92:
	flat_load_dwordx4 v[12:15], v[40:41]
	v_mad_u32_u24 v9, v10, 33, v4
	s_lshl_b64 s[8:9], s[22:23], 7
	v_lshlrev_b32_e32 v20, 4, v9
	v_lshl_add_u64 v[6:7], v[40:41], 0, s[8:9]
	v_add_u32_e32 v11, 0x1080, v20
	s_mul_i32 s10, s23, 0x180
	s_waitcnt vmcnt(0) lgkmcnt(0)
	ds_write2_b64 v20, v[12:13], v[14:15] offset1:1
	flat_load_dwordx4 v[12:15], v[6:7]
	v_lshl_add_u64 v[6:7], v[6:7], 0, s[8:9]
	s_waitcnt vmcnt(0) lgkmcnt(0)
	ds_write2_b64 v11, v[12:13], v[14:15] offset1:1
	flat_load_dwordx4 v[12:15], v[6:7]
	v_mov_b32_e32 v6, 0x180
	v_mad_u64_u32 v[6:7], s[8:9], s22, v6, v[40:41]
	v_add_u32_e32 v11, 0x2100, v20
	v_add_u32_e32 v7, s10, v7
	s_waitcnt vmcnt(0) lgkmcnt(0)
	ds_write2_b64 v11, v[12:13], v[14:15] offset1:1
	flat_load_dwordx4 v[16:19], v[6:7]
	v_add_u32_e32 v11, 8, v10
	v_add_u32_e32 v12, 16, v10
	;; [unrolled: 1-line block ×7, first 2 shown]
	s_waitcnt vmcnt(0) lgkmcnt(0)
	ds_write2_b64 v15, v[16:17], v[18:19] offset1:1
	s_cbranch_execz .LBB56_109
	s_branch .LBB56_126
.LBB56_93:
	v_cmp_eq_u32_e32 vcc, v12, v4
	s_and_saveexec_b64 s[38:39], vcc
	s_cbranch_execz .LBB56_95
; %bb.94:
	v_mul_u32_u24_e32 v9, 34, v4
	v_mov_b32_e32 v18, 0
	v_lshlrev_b32_e32 v9, 4, v9
	v_mov_b32_e32 v19, v18
	ds_write_b64 v9, v[18:19] offset:8
.LBB56_95:
	s_or_b64 exec, exec, s[38:39]
	s_andn2_saveexec_b64 s[6:7], s[6:7]
	s_cbranch_execz .LBB56_82
.LBB56_96:
	ds_read_b128 v[18:21], v16
	s_waitcnt lgkmcnt(0)
	v_xor_b32_e32 v21, 0x80000000, v21
	ds_write_b128 v5, v[18:21]
	s_or_b64 exec, exec, s[6:7]
	s_and_saveexec_b64 s[6:7], s[8:9]
	s_xor_b64 s[6:7], exec, s[6:7]
	s_cbranch_execz .LBB56_83
.LBB56_97:
	v_cmp_eq_u32_e32 vcc, v13, v4
	s_and_saveexec_b64 s[8:9], vcc
	s_cbranch_execz .LBB56_99
; %bb.98:
	v_mul_u32_u24_e32 v9, 34, v4
	v_mov_b32_e32 v12, 0
	v_lshlrev_b32_e32 v9, 4, v9
	v_mov_b32_e32 v13, v12
	ds_write_b64 v9, v[12:13] offset:8
.LBB56_99:
	s_or_b64 exec, exec, s[8:9]
	s_andn2_saveexec_b64 s[6:7], s[6:7]
	s_cbranch_execz .LBB56_84
.LBB56_100:
	ds_read_b128 v[18:21], v11
	s_waitcnt lgkmcnt(0)
	v_xor_b32_e32 v21, 0x80000000, v21
	ds_write_b128 v5, v[18:21] offset:16
	s_or_b64 exec, exec, s[6:7]
	s_and_saveexec_b64 s[6:7], s[10:11]
	s_xor_b64 s[6:7], exec, s[6:7]
	s_cbranch_execz .LBB56_85
.LBB56_101:
	v_cmp_eq_u32_e32 vcc, v14, v4
	s_and_saveexec_b64 s[8:9], vcc
	s_cbranch_execz .LBB56_103
; %bb.102:
	v_mul_u32_u24_e32 v9, 34, v4
	v_mov_b32_e32 v12, 0
	v_lshlrev_b32_e32 v9, 4, v9
	v_mov_b32_e32 v13, v12
	ds_write_b64 v9, v[12:13] offset:8
.LBB56_103:
	s_or_b64 exec, exec, s[8:9]
	s_andn2_saveexec_b64 s[6:7], s[6:7]
	s_cbranch_execz .LBB56_86
.LBB56_104:
	ds_read_b128 v[18:21], v11 offset:528
	s_waitcnt lgkmcnt(0)
	v_xor_b32_e32 v21, 0x80000000, v21
	ds_write_b128 v5, v[18:21] offset:32
	s_or_b64 exec, exec, s[6:7]
	s_and_saveexec_b64 s[6:7], s[12:13]
	s_xor_b64 s[6:7], exec, s[6:7]
	s_cbranch_execz .LBB56_87
.LBB56_105:
	v_cmp_eq_u32_e32 vcc, v15, v4
	s_and_saveexec_b64 s[8:9], vcc
	s_cbranch_execz .LBB56_107
; %bb.106:
	v_mul_u32_u24_e32 v9, 34, v4
	v_mov_b32_e32 v12, 0
	v_lshlrev_b32_e32 v9, 4, v9
	v_mov_b32_e32 v13, v12
	ds_write_b64 v9, v[12:13] offset:8
.LBB56_107:
	s_or_b64 exec, exec, s[8:9]
	s_andn2_saveexec_b64 s[6:7], s[6:7]
	s_cbranch_execnz .LBB56_88
	s_branch .LBB56_89
.LBB56_108:
                                        ; implicit-def: $vgpr9
                                        ; implicit-def: $vgpr11
                                        ; implicit-def: $vgpr7
                                        ; implicit-def: $vgpr12
                                        ; implicit-def: $vgpr6
                                        ; implicit-def: $vgpr13
                                        ; implicit-def: $vgpr14
.LBB56_109:
	v_or_b32_e32 v9, 32, v4
	v_lshlrev_b32_e32 v6, 4, v9
	v_sub_co_u32_e32 v6, vcc, v40, v6
	s_ashr_i32 s29, s28, 31
	s_nop 0
	v_subbrev_co_u32_e32 v7, vcc, 0, v41, vcc
	v_lshl_add_u64 v[6:7], s[28:29], 4, v[6:7]
	v_lshl_add_u64 v[6:7], v[6:7], 0, -16
	v_cmp_gt_i32_e32 vcc, s28, v9
	v_mad_u32_u24 v9, v10, 33, v4
	v_cmp_le_i32_e64 s[8:9], s28, v10
	v_cndmask_b32_e32 v7, v7, v41, vcc
	v_cndmask_b32_e32 v6, v6, v40, vcc
	v_lshlrev_b32_e32 v15, 4, v9
	s_and_saveexec_b64 s[10:11], s[8:9]
	s_xor_b64 s[8:9], exec, s[10:11]
	s_cbranch_execz .LBB56_111
; %bb.110:
	v_mov_b32_e32 v16, 0
	v_mov_b32_e32 v17, v16
	;; [unrolled: 1-line block ×4, first 2 shown]
	ds_write_b128 v15, v[16:19]
.LBB56_111:
	s_andn2_saveexec_b64 s[8:9], s[8:9]
	s_cbranch_execz .LBB56_113
; %bb.112:
	flat_load_dwordx4 v[16:19], v[6:7]
	s_waitcnt vmcnt(0) lgkmcnt(0)
	ds_write2_b64 v15, v[16:17], v[18:19] offset1:1
.LBB56_113:
	s_or_b64 exec, exec, s[8:9]
	v_add_u32_e32 v11, 8, v10
	v_cmp_le_i32_e64 s[8:9], s28, v11
	s_and_saveexec_b64 s[10:11], s[8:9]
	s_xor_b64 s[8:9], exec, s[10:11]
	s_cbranch_execz .LBB56_115
; %bb.114:
	v_mul_u32_u24_e32 v12, 33, v11
	v_mov_b32_e32 v16, 0
	v_add_lshl_u32 v12, v12, v4, 4
	v_mov_b32_e32 v17, v16
	v_mov_b32_e32 v18, v16
	;; [unrolled: 1-line block ×3, first 2 shown]
	ds_write_b128 v12, v[16:19]
.LBB56_115:
	s_andn2_saveexec_b64 s[8:9], s[8:9]
	s_cbranch_execz .LBB56_117
; %bb.116:
	s_lshl_b64 s[10:11], s[22:23], 7
	v_lshl_add_u64 v[12:13], v[6:7], 0, s[10:11]
	flat_load_dwordx4 v[16:19], v[12:13]
	v_add_u32_e32 v12, 0x1080, v15
	s_waitcnt vmcnt(0) lgkmcnt(0)
	ds_write2_b64 v12, v[16:17], v[18:19] offset1:1
.LBB56_117:
	s_or_b64 exec, exec, s[8:9]
	v_add_u32_e32 v12, 16, v10
	v_cmp_le_i32_e64 s[8:9], s28, v12
	s_and_saveexec_b64 s[10:11], s[8:9]
	s_xor_b64 s[8:9], exec, s[10:11]
	s_cbranch_execz .LBB56_119
; %bb.118:
	v_mul_u32_u24_e32 v13, 33, v12
	v_mov_b32_e32 v16, 0
	v_add_lshl_u32 v13, v13, v4, 4
	v_mov_b32_e32 v17, v16
	v_mov_b32_e32 v18, v16
	;; [unrolled: 1-line block ×3, first 2 shown]
	ds_write_b128 v13, v[16:19]
.LBB56_119:
	s_andn2_saveexec_b64 s[8:9], s[8:9]
	s_cbranch_execz .LBB56_121
; %bb.120:
	s_lshl_b64 s[10:11], s[22:23], 8
	v_lshl_add_u64 v[16:17], v[6:7], 0, s[10:11]
	flat_load_dwordx4 v[16:19], v[16:17]
	v_add_u32_e32 v13, 0x2100, v15
	s_waitcnt vmcnt(0) lgkmcnt(0)
	ds_write2_b64 v13, v[16:17], v[18:19] offset1:1
.LBB56_121:
	s_or_b64 exec, exec, s[8:9]
	v_add_u32_e32 v13, 24, v10
	v_cmp_le_i32_e64 s[8:9], s28, v13
                                        ; implicit-def: $vgpr14
	s_and_saveexec_b64 s[10:11], s[8:9]
	s_xor_b64 s[8:9], exec, s[10:11]
	s_cbranch_execz .LBB56_123
; %bb.122:
	v_mov_b32_e32 v16, 0
	v_add_u32_e32 v14, 0x318, v9
	v_mov_b32_e32 v17, v16
	v_mov_b32_e32 v18, v16
	v_mov_b32_e32 v19, v16
	ds_write_b128 v15, v[16:19] offset:12672
                                        ; implicit-def: $vgpr15
.LBB56_123:
	s_andn2_saveexec_b64 s[8:9], s[8:9]
	s_cbranch_execz .LBB56_125
; %bb.124:
	v_mov_b32_e32 v14, 0x180
	v_mad_u64_u32 v[16:17], s[10:11], s22, v14, v[6:7]
	s_mul_i32 s10, s23, 0x180
	s_nop 0
	v_add_u32_e32 v17, s10, v17
	flat_load_dwordx4 v[16:19], v[16:17]
	v_add_u32_e32 v14, 0x318, v9
	v_add_u32_e32 v15, 0x3180, v15
	s_waitcnt vmcnt(0) lgkmcnt(0)
	ds_write2_b64 v15, v[16:17], v[18:19] offset1:1
.LBB56_125:
	s_or_b64 exec, exec, s[8:9]
	v_lshlrev_b32_e32 v16, 4, v4
	v_mov_b32_e32 v17, 0
	v_lshl_add_u64 v[6:7], v[6:7], 0, v[16:17]
	s_lshl_b64 s[8:9], s[28:29], 4
	v_mov_b32_e32 v4, s9
	v_subrev_co_u32_e64 v6, s[8:9], s8, v6
	s_nop 1
	v_subb_co_u32_e64 v7, s[8:9], v7, v4, s[8:9]
	s_mov_b64 s[8:9], 0x210
	s_nop 0
	v_lshl_add_u64 v[6:7], v[6:7], 0, s[8:9]
	v_cndmask_b32_e32 v41, v7, v41, vcc
	v_cndmask_b32_e32 v40, v6, v40, vcc
	v_add_u32_e32 v7, 0x108, v9
	v_add_u32_e32 v6, 0x210, v9
.LBB56_126:
	v_lshlrev_b32_e32 v4, 4, v9
	v_lshlrev_b32_e32 v9, 4, v10
	s_waitcnt lgkmcnt(0)
	s_barrier
	ds_read_b128 v[46:49], v9 offset:18176
	ds_read_b128 v[50:53], v4
	v_lshlrev_b32_e32 v4, 4, v7
	v_lshlrev_b32_e32 v7, 4, v11
	ds_read_b128 v[54:57], v7 offset:18176
	ds_read_b128 v[58:61], v4
	v_lshlrev_b32_e32 v4, 4, v6
	v_lshlrev_b32_e32 v6, 4, v12
	ds_read_b128 v[62:65], v6 offset:18176
	ds_read_b128 v[66:69], v4
	v_lshlrev_b32_e32 v6, 4, v13
	s_waitcnt lgkmcnt(4)
	v_mul_f64 v[10:11], v[48:49], v[52:53]
	v_lshlrev_b32_e32 v4, 4, v14
	ds_read_b128 v[70:73], v6 offset:18176
	ds_read_b128 v[74:77], v4
	v_fma_f64 v[10:11], v[46:47], v[50:51], -v[10:11]
	s_waitcnt lgkmcnt(4)
	v_mul_f64 v[16:17], v[56:57], v[60:61]
	v_add_f64 v[10:11], v[10:11], 0
	v_fma_f64 v[16:17], v[54:55], v[58:59], -v[16:17]
	v_add_f64 v[6:7], v[10:11], v[16:17]
	s_waitcnt lgkmcnt(2)
	v_mul_f64 v[10:11], v[64:65], v[68:69]
	v_fma_f64 v[10:11], v[62:63], v[66:67], -v[10:11]
	v_add_f64 v[6:7], v[6:7], v[10:11]
	s_waitcnt lgkmcnt(0)
	v_mul_f64 v[10:11], v[72:73], v[76:77]
	v_fma_f64 v[10:11], v[70:71], v[74:75], -v[10:11]
	v_add_f64 v[78:79], v[6:7], v[10:11]
	ds_read_b128 v[28:31], v5
	ds_read_b128 v[20:23], v5 offset:16
	ds_read_b128 v[12:15], v5 offset:32
	;; [unrolled: 1-line block ×7, first 2 shown]
	v_mul_f64 v[46:47], v[46:47], v[52:53]
	v_fmac_f64_e32 v[46:47], v[48:49], v[50:51]
	v_mul_f64 v[48:49], v[54:55], v[60:61]
	v_add_f64 v[46:47], v[46:47], 0
	v_fmac_f64_e32 v[48:49], v[56:57], v[58:59]
	v_add_f64 v[46:47], v[46:47], v[48:49]
	v_mul_f64 v[48:49], v[62:63], v[68:69]
	v_fmac_f64_e32 v[48:49], v[64:65], v[66:67]
	v_add_f64 v[46:47], v[46:47], v[48:49]
	v_mul_f64 v[48:49], v[70:71], v[76:77]
	v_fmac_f64_e32 v[48:49], v[72:73], v[74:75]
	v_add_f64 v[80:81], v[46:47], v[48:49]
	s_waitcnt lgkmcnt(0)
	s_barrier
	ds_write_b128 v45, v[78:81]
	s_waitcnt lgkmcnt(0)
	s_barrier
	s_and_saveexec_b64 s[8:9], s[6:7]
	s_cbranch_execz .LBB56_128
; %bb.127:
	v_lshlrev_b32_e32 v62, 4, v44
	ds_read_b128 v[46:49], v62
	ds_read_b128 v[50:53], v62 offset:16
	ds_read_b128 v[54:57], v62 offset:32
	;; [unrolled: 1-line block ×3, first 2 shown]
	s_waitcnt lgkmcnt(3)
	v_add_f64 v[0:1], v[0:1], v[46:47]
	v_add_f64 v[2:3], v[2:3], v[48:49]
	s_waitcnt lgkmcnt(2)
	v_add_f64 v[0:1], v[0:1], v[50:51]
	v_add_f64 v[46:47], v[2:3], v[52:53]
	s_waitcnt lgkmcnt(1)
	v_add_f64 v[48:49], v[0:1], v[54:55]
	ds_read_b128 v[0:3], v62 offset:64
	v_add_f64 v[46:47], v[46:47], v[56:57]
	s_waitcnt lgkmcnt(1)
	v_add_f64 v[50:51], v[48:49], v[58:59]
	v_add_f64 v[54:55], v[46:47], v[60:61]
	ds_read_b128 v[46:49], v62 offset:80
	s_waitcnt lgkmcnt(1)
	v_add_f64 v[56:57], v[50:51], v[0:1]
	ds_read_b128 v[50:53], v62 offset:96
	v_add_f64 v[54:55], v[54:55], v[2:3]
	ds_read_b128 v[0:3], v62 offset:112
	s_waitcnt lgkmcnt(2)
	v_add_f64 v[46:47], v[56:57], v[46:47]
	v_add_f64 v[48:49], v[54:55], v[48:49]
	s_waitcnt lgkmcnt(1)
	v_add_f64 v[46:47], v[46:47], v[50:51]
	v_add_f64 v[48:49], v[48:49], v[52:53]
	;; [unrolled: 3-line block ×3, first 2 shown]
.LBB56_128:
	s_or_b64 exec, exec, s[8:9]
	v_mul_f64 v[46:47], v[30:31], v[34:35]
	v_mul_f64 v[30:31], v[30:31], v[32:33]
	v_fmac_f64_e32 v[46:47], v[28:29], v[32:33]
	v_fma_f64 v[28:29], v[28:29], v[34:35], -v[30:31]
	v_mul_f64 v[32:33], v[22:23], v[26:27]
	v_mul_f64 v[22:23], v[22:23], v[24:25]
	v_add_f64 v[30:31], v[46:47], 0
	v_add_f64 v[28:29], v[28:29], 0
	v_fmac_f64_e32 v[32:33], v[20:21], v[24:25]
	v_fma_f64 v[20:21], v[20:21], v[26:27], -v[22:23]
	v_mul_f64 v[24:25], v[14:15], v[18:19]
	v_mul_f64 v[14:15], v[14:15], v[16:17]
	v_add_f64 v[22:23], v[30:31], v[32:33]
	v_add_f64 v[20:21], v[28:29], v[20:21]
	;; [unrolled: 6-line block ×3, first 2 shown]
	v_fmac_f64_e32 v[16:17], v[4:5], v[8:9]
	v_fma_f64 v[6:7], v[4:5], v[10:11], -v[6:7]
	v_add_f64 v[4:5], v[14:15], v[16:17]
	v_add_f64 v[6:7], v[12:13], v[6:7]
	s_barrier
	ds_write_b128 v45, v[4:7]
	s_waitcnt lgkmcnt(0)
	s_barrier
	s_and_saveexec_b64 s[6:7], s[4:5]
	s_cbranch_execz .LBB56_130
; %bb.129:
	v_lshlrev_b32_e32 v20, 4, v44
	ds_read_b128 v[4:7], v20
	ds_read_b128 v[8:11], v20 offset:16
	ds_read_b128 v[12:15], v20 offset:32
	;; [unrolled: 1-line block ×3, first 2 shown]
	s_waitcnt lgkmcnt(3)
	v_add_f64 v[0:1], v[0:1], v[4:5]
	v_add_f64 v[2:3], v[2:3], v[6:7]
	s_waitcnt lgkmcnt(2)
	v_add_f64 v[0:1], v[0:1], v[8:9]
	v_add_f64 v[4:5], v[2:3], v[10:11]
	s_waitcnt lgkmcnt(1)
	v_add_f64 v[6:7], v[0:1], v[12:13]
	ds_read_b128 v[0:3], v20 offset:64
	v_add_f64 v[4:5], v[4:5], v[14:15]
	s_waitcnt lgkmcnt(1)
	v_add_f64 v[8:9], v[6:7], v[16:17]
	v_add_f64 v[12:13], v[4:5], v[18:19]
	ds_read_b128 v[4:7], v20 offset:80
	s_waitcnt lgkmcnt(1)
	v_add_f64 v[14:15], v[8:9], v[0:1]
	ds_read_b128 v[8:11], v20 offset:96
	v_add_f64 v[12:13], v[12:13], v[2:3]
	ds_read_b128 v[0:3], v20 offset:112
	s_waitcnt lgkmcnt(2)
	v_add_f64 v[4:5], v[14:15], v[4:5]
	v_add_f64 v[6:7], v[12:13], v[6:7]
	s_waitcnt lgkmcnt(1)
	v_add_f64 v[4:5], v[4:5], v[8:9]
	v_add_f64 v[6:7], v[6:7], v[10:11]
	s_waitcnt lgkmcnt(0)
	v_add_f64 v[0:1], v[4:5], v[0:1]
	v_add_f64 v[2:3], v[6:7], v[2:3]
.LBB56_130:
	s_or_b64 exec, exec, s[6:7]
	s_mul_hi_u32 s4, s3, s24
	s_mul_i32 s33, s33, s24
	s_add_i32 s4, s4, s33
	s_mul_i32 s6, s3, s24
	s_mul_i32 s4, s4, s25
	s_mul_hi_u32 s5, s6, s25
	s_add_i32 s5, s5, s4
	s_mul_i32 s4, s6, s25
	s_lshl_b64 s[4:5], s[4:5], 4
	s_add_u32 s6, s26, s4
	s_mul_i32 s4, s2, s3
	s_addc_u32 s7, s27, s5
	s_ashr_i32 s5, s4, 31
	s_lshl_b64 s[4:5], s[4:5], 4
	s_add_u32 s6, s6, s4
	v_cmp_le_i32_e32 vcc, s28, v42
	s_addc_u32 s7, s7, s5
	s_and_b64 vcc, s[36:37], vcc
	s_cmp_lt_i32 s2, 1
	v_lshlrev_b32_e32 v134, 4, v42
	s_barrier
	s_cbranch_scc1 .LBB56_137
; %bb.131:
	s_mul_i32 s3, s30, s21
	s_mul_hi_u32 s4, s30, s20
	s_add_i32 s3, s4, s3
	s_mul_i32 s4, s31, s20
	s_add_i32 s5, s3, s4
	s_mul_i32 s4, s30, s20
	s_lshl_b64 s[4:5], s[4:5], 4
	v_mov_b32_e32 v4, s5
	v_subrev_co_u32_e64 v136, s[4:5], s4, v36
	v_lshlrev_b32_e32 v9, 2, v142
	s_nop 0
	v_subb_co_u32_e64 v137, s[4:5], v37, v4, s[4:5]
	v_mov_b32_e32 v4, s35
	v_subrev_co_u32_e64 v6, s[4:5], s34, v40
	s_ashr_i32 s29, s28, 31
	s_nop 0
	v_subb_co_u32_e64 v7, s[4:5], v41, v4, s[4:5]
	v_lshlrev_b64 v[4:5], 4, v[38:39]
	v_sub_co_u32_e64 v4, s[4:5], v6, v4
	v_mov_b32_e32 v139, 0
	s_nop 0
	v_subb_co_u32_e64 v5, s[4:5], v7, v5, s[4:5]
	v_mad_u64_u32 v[6:7], s[4:5], v9, s22, 0
	v_mov_b32_e32 v8, v7
	v_mad_u64_u32 v[8:9], s[4:5], v9, s23, v[8:9]
	v_mov_b32_e32 v7, v8
	s_movk_i32 s4, 0xfe00
	v_lshl_add_u64 v[4:5], v[6:7], 4, v[4:5]
	s_mov_b32 s5, -1
	v_lshl_add_u64 v[4:5], v[4:5], 0, s[4:5]
	v_lshl_add_u64 v[6:7], s[28:29], 4, v[4:5]
	v_mov_b32_e32 v135, v139
	v_lshl_add_u64 v[6:7], v[6:7], 0, -16
	v_lshl_add_u64 v[4:5], v[4:5], 0, v[134:135]
	v_cndmask_b32_e32 v8, v4, v6, vcc
	v_and_b32_e32 v4, 48, v42
	v_and_b32_e32 v10, 15, v42
	v_cndmask_b32_e32 v9, v5, v7, vcc
	v_lshlrev_b32_e32 v5, 4, v4
	s_movk_i32 s3, 0x430
	v_mad_u32_u24 v144, v10, s3, v5
	v_or_b32_e32 v5, 0xf0, v134
	v_mad_u32_u24 v145, v10, s3, v5
	v_lshlrev_b32_e32 v5, 2, v43
	v_and_b32_e32 v5, 0x7ffc0, v5
	v_mad_u32_u24 v146, v10, s3, v5
	v_mov_b32_e32 v5, 0x4300
	v_lshl_add_u32 v147, v142, 6, v5
	v_and_b32_e32 v5, 0x1fff0, v43
	s_movk_i32 s8, 0x10c0
	v_mad_u32_u24 v149, v10, s3, v5
	s_mul_i32 s3, s23, 0xd0
	s_mul_hi_u32 s10, s22, 0xd0
	v_add_u32_e32 v135, 0x4300, v134
	v_add_u32_e32 v143, 0x4700, v134
	v_cmp_gt_u32_e64 s[4:5], 64, v43
	v_mad_u32_u24 v148, v142, s8, v134
	s_lshl_b64 s[8:9], s[22:23], 4
	s_add_i32 s11, s10, s3
	s_mul_i32 s10, s22, 0xd0
	v_or_b32_e32 v150, v4, v10
	s_mov_b32 s3, 0
	s_branch .LBB56_133
.LBB56_132:                             ;   in Loop: Header=BB56_133 Depth=1
	s_or_b64 exec, exec, s[12:13]
	v_mul_f64 v[152:153], v[6:7], v[22:23]
	v_fma_f64 v[152:153], v[4:5], v[20:21], -v[152:153]
	v_mul_f64 v[4:5], v[4:5], v[22:23]
	v_mul_f64 v[22:23], v[10:11], v[42:43]
	v_add_f64 v[0:1], v[0:1], v[152:153]
	v_fma_f64 v[22:23], v[8:9], v[40:41], -v[22:23]
	v_add_f64 v[0:1], v[0:1], v[22:23]
	v_mul_f64 v[22:23], v[14:15], v[46:47]
	v_fma_f64 v[22:23], v[12:13], v[44:45], -v[22:23]
	v_add_f64 v[0:1], v[0:1], v[22:23]
	v_mul_f64 v[22:23], v[18:19], v[50:51]
	v_fmac_f64_e32 v[4:5], v[6:7], v[20:21]
	v_fma_f64 v[22:23], v[16:17], v[48:49], -v[22:23]
	v_add_f64 v[2:3], v[2:3], v[4:5]
	v_mul_f64 v[4:5], v[26:27], v[70:71]
	v_add_f64 v[0:1], v[0:1], v[22:23]
	v_fma_f64 v[4:5], v[24:25], v[68:69], -v[4:5]
	v_add_f64 v[0:1], v[0:1], v[4:5]
	v_mul_f64 v[4:5], v[30:31], v[82:83]
	v_fma_f64 v[4:5], v[28:29], v[80:81], -v[4:5]
	v_add_f64 v[0:1], v[0:1], v[4:5]
	v_mul_f64 v[4:5], v[38:39], v[78:79]
	;; [unrolled: 3-line block ×3, first 2 shown]
	v_fma_f64 v[4:5], v[32:33], v[72:73], -v[4:5]
	v_mul_f64 v[8:9], v[8:9], v[42:43]
	v_add_f64 v[0:1], v[0:1], v[4:5]
	v_mul_f64 v[4:5], v[66:67], v[102:103]
	v_mul_f64 v[12:13], v[12:13], v[46:47]
	v_fmac_f64_e32 v[8:9], v[10:11], v[40:41]
	v_fma_f64 v[4:5], v[64:65], v[100:101], -v[4:5]
	v_mul_f64 v[16:17], v[16:17], v[50:51]
	v_add_f64 v[2:3], v[2:3], v[8:9]
	v_fmac_f64_e32 v[12:13], v[14:15], v[44:45]
	v_add_f64 v[0:1], v[0:1], v[4:5]
	v_mul_f64 v[4:5], v[62:63], v[118:119]
	v_add_f64 v[2:3], v[2:3], v[12:13]
	v_fmac_f64_e32 v[16:17], v[18:19], v[48:49]
	v_mul_f64 v[6:7], v[24:25], v[70:71]
	v_fma_f64 v[4:5], v[60:61], v[116:117], -v[4:5]
	v_add_f64 v[2:3], v[2:3], v[16:17]
	v_mul_f64 v[8:9], v[28:29], v[82:83]
	v_fmac_f64_e32 v[6:7], v[26:27], v[68:69]
	v_add_f64 v[0:1], v[0:1], v[4:5]
	v_mul_f64 v[4:5], v[58:59], v[114:115]
	v_mul_f64 v[10:11], v[36:37], v[78:79]
	v_add_f64 v[2:3], v[2:3], v[6:7]
	v_fmac_f64_e32 v[8:9], v[30:31], v[80:81]
	v_fma_f64 v[4:5], v[56:57], v[112:113], -v[4:5]
	v_mul_f64 v[12:13], v[32:33], v[74:75]
	v_add_f64 v[2:3], v[2:3], v[8:9]
	v_fmac_f64_e32 v[10:11], v[38:39], v[76:77]
	v_add_f64 v[0:1], v[0:1], v[4:5]
	v_mul_f64 v[4:5], v[54:55], v[110:111]
	v_add_f64 v[2:3], v[2:3], v[10:11]
	v_fmac_f64_e32 v[12:13], v[34:35], v[72:73]
	v_mul_f64 v[6:7], v[64:65], v[102:103]
	v_fma_f64 v[4:5], v[52:53], v[108:109], -v[4:5]
	v_add_f64 v[2:3], v[2:3], v[12:13]
	v_mul_f64 v[8:9], v[60:61], v[118:119]
	v_add_f64 v[0:1], v[0:1], v[4:5]
	v_fmac_f64_e32 v[6:7], v[66:67], v[100:101]
	v_mul_f64 v[4:5], v[86:87], v[106:107]
	v_mul_f64 v[10:11], v[56:57], v[114:115]
	v_add_f64 v[2:3], v[2:3], v[6:7]
	v_fmac_f64_e32 v[8:9], v[62:63], v[116:117]
	v_fma_f64 v[4:5], v[84:85], v[104:105], -v[4:5]
	v_mul_f64 v[12:13], v[52:53], v[110:111]
	v_add_f64 v[2:3], v[2:3], v[8:9]
	v_fmac_f64_e32 v[10:11], v[58:59], v[112:113]
	v_add_f64 v[0:1], v[0:1], v[4:5]
	v_mul_f64 v[4:5], v[90:91], v[122:123]
	v_add_f64 v[2:3], v[2:3], v[10:11]
	v_fmac_f64_e32 v[12:13], v[54:55], v[108:109]
	v_mul_f64 v[6:7], v[84:85], v[106:107]
	v_fma_f64 v[4:5], v[88:89], v[120:121], -v[4:5]
	v_add_f64 v[2:3], v[2:3], v[12:13]
	v_mul_f64 v[8:9], v[88:89], v[122:123]
	v_add_f64 v[0:1], v[0:1], v[4:5]
	v_mul_f64 v[4:5], v[94:95], v[126:127]
	v_fmac_f64_e32 v[6:7], v[86:87], v[104:105]
	v_fma_f64 v[4:5], v[92:93], v[124:125], -v[4:5]
	v_mul_f64 v[10:11], v[92:93], v[126:127]
	v_fmac_f64_e32 v[8:9], v[90:91], v[120:121]
	v_add_f64 v[2:3], v[2:3], v[6:7]
	v_add_f64 v[0:1], v[0:1], v[4:5]
	v_mul_f64 v[4:5], v[98:99], v[130:131]
	v_mul_f64 v[12:13], v[96:97], v[130:131]
	v_fmac_f64_e32 v[10:11], v[94:95], v[124:125]
	v_add_f64 v[2:3], v[2:3], v[8:9]
	v_fma_f64 v[4:5], v[96:97], v[128:129], -v[4:5]
	v_fmac_f64_e32 v[12:13], v[98:99], v[128:129]
	v_add_f64 v[2:3], v[2:3], v[10:11]
	s_add_i32 s3, s3, 64
	s_add_i32 s2, s2, -1
	v_add_f64 v[0:1], v[0:1], v[4:5]
	v_add_f64 v[2:3], v[2:3], v[12:13]
	s_cmp_eq_u32 s2, 0
	v_lshl_add_u64 v[8:9], v[140:141], 0, s[10:11]
	s_barrier
	s_cbranch_scc1 .LBB56_137
.LBB56_133:                             ; =>This Inner Loop Header: Depth=1
	s_and_saveexec_b64 s[12:13], s[16:17]
	s_cbranch_execz .LBB56_135
; %bb.134:                              ;   in Loop: Header=BB56_133 Depth=1
	s_mul_i32 s14, s3, s21
	s_mul_hi_u32 s15, s3, s20
	s_add_i32 s15, s15, s14
	s_mul_i32 s14, s3, s20
	v_lshl_add_u64 v[4:5], s[14:15], 4, v[136:137]
	flat_load_dwordx4 v[4:7], v[4:5]
	s_waitcnt vmcnt(0) lgkmcnt(0)
	ds_write2_b64 v135, v[4:5], v[6:7] offset1:1
.LBB56_135:                             ;   in Loop: Header=BB56_133 Depth=1
	s_or_b64 exec, exec, s[12:13]
	s_waitcnt lgkmcnt(0)
	s_barrier
	flat_load_dwordx4 v[4:7], v[8:9]
	v_lshl_add_u64 v[12:13], v[8:9], 0, s[8:9]
	flat_load_dwordx4 v[8:11], v[12:13]
	v_lshl_add_u64 v[16:17], v[12:13], 0, s[8:9]
	;; [unrolled: 2-line block ×3, first 2 shown]
	flat_load_dwordx4 v[16:19], v[28:29]
	ds_read_b128 v[24:27], v143
	ds_read_b128 v[20:23], v147
	v_lshl_add_u64 v[36:37], v[28:29], 0, s[10:11]
	s_waitcnt vmcnt(0) lgkmcnt(0)
	v_mul_f64 v[28:29], v[6:7], v[26:27]
	v_mul_f64 v[30:31], v[6:7], v[24:25]
	v_fmac_f64_e32 v[28:29], v[4:5], v[24:25]
	v_fma_f64 v[30:31], v[4:5], v[26:27], -v[30:31]
	v_mul_f64 v[32:33], v[10:11], v[26:27]
	v_mul_f64 v[34:35], v[10:11], v[24:25]
	ds_write_b128 v148, v[28:31]
	v_fmac_f64_e32 v[32:33], v[8:9], v[24:25]
	v_fma_f64 v[34:35], v[8:9], v[26:27], -v[34:35]
	v_mul_f64 v[28:29], v[14:15], v[26:27]
	v_mul_f64 v[30:31], v[14:15], v[24:25]
	ds_read_b128 v[40:43], v147 offset:16
	ds_write_b128 v148, v[32:35] offset:1072
	v_fmac_f64_e32 v[28:29], v[12:13], v[24:25]
	v_fma_f64 v[30:31], v[12:13], v[26:27], -v[30:31]
	v_mul_f64 v[32:33], v[18:19], v[26:27]
	v_mul_f64 v[34:35], v[18:19], v[24:25]
	ds_read_b128 v[44:47], v147 offset:32
	ds_write_b128 v148, v[28:31] offset:2144
	v_fmac_f64_e32 v[32:33], v[16:17], v[24:25]
	v_fma_f64 v[34:35], v[16:17], v[26:27], -v[34:35]
	ds_read_b128 v[48:51], v147 offset:48
	ds_write_b128 v148, v[32:35] offset:3216
	s_waitcnt lgkmcnt(0)
	s_barrier
	ds_read_b128 v[128:131], v146
	ds_read_b128 v[124:127], v146 offset:16
	ds_read_b128 v[120:123], v146 offset:32
	;; [unrolled: 1-line block ×3, first 2 shown]
	s_waitcnt lgkmcnt(0)
	s_barrier
	flat_load_dwordx4 v[24:27], v[36:37]
	v_lshl_add_u64 v[32:33], v[36:37], 0, s[8:9]
	flat_load_dwordx4 v[28:31], v[32:33]
	v_lshl_add_u64 v[32:33], v[32:33], 0, s[8:9]
	;; [unrolled: 2-line block ×3, first 2 shown]
	flat_load_dwordx4 v[32:35], v[56:57]
	ds_read_b128 v[52:55], v143
	ds_read_b128 v[68:71], v147 offset:256
	v_lshl_add_u64 v[88:89], v[56:57], 0, s[10:11]
	v_add_f64 v[128:129], v[128:129], 0
	v_add_f64 v[130:131], v[130:131], 0
	;; [unrolled: 1-line block ×8, first 2 shown]
	s_waitcnt vmcnt(0) lgkmcnt(0)
	v_mul_f64 v[56:57], v[26:27], v[54:55]
	v_mul_f64 v[58:59], v[26:27], v[52:53]
	v_mul_f64 v[60:61], v[30:31], v[54:55]
	v_mul_f64 v[62:63], v[30:31], v[52:53]
	v_fmac_f64_e32 v[56:57], v[24:25], v[52:53]
	v_fma_f64 v[58:59], v[24:25], v[54:55], -v[58:59]
	v_mul_f64 v[64:65], v[38:39], v[54:55]
	v_mul_f64 v[66:67], v[38:39], v[52:53]
	v_fmac_f64_e32 v[60:61], v[28:29], v[52:53]
	v_fma_f64 v[62:63], v[28:29], v[54:55], -v[62:63]
	ds_write_b128 v148, v[56:59]
	v_mul_f64 v[84:85], v[34:35], v[54:55]
	v_mul_f64 v[72:73], v[34:35], v[52:53]
	v_fmac_f64_e32 v[64:65], v[36:37], v[52:53]
	v_fma_f64 v[66:67], v[36:37], v[54:55], -v[66:67]
	ds_read_b128 v[80:83], v147 offset:272
	ds_write_b128 v148, v[60:63] offset:1072
	v_fmac_f64_e32 v[84:85], v[32:33], v[52:53]
	v_fma_f64 v[86:87], v[32:33], v[54:55], -v[72:73]
	ds_read_b128 v[76:79], v147 offset:288
	ds_write_b128 v148, v[64:67] offset:2144
	ds_read_b128 v[72:75], v147 offset:304
	ds_write_b128 v148, v[84:87] offset:3216
	s_waitcnt lgkmcnt(0)
	s_barrier
	ds_read_b128 v[152:155], v146
	ds_read_b128 v[156:159], v146 offset:16
	ds_read_b128 v[160:163], v146 offset:32
	;; [unrolled: 1-line block ×3, first 2 shown]
	s_waitcnt lgkmcnt(0)
	s_barrier
	flat_load_dwordx4 v[64:67], v[88:89]
	v_lshl_add_u64 v[52:53], v[88:89], 0, s[8:9]
	flat_load_dwordx4 v[60:63], v[52:53]
	v_lshl_add_u64 v[52:53], v[52:53], 0, s[8:9]
	;; [unrolled: 2-line block ×3, first 2 shown]
	flat_load_dwordx4 v[52:55], v[88:89]
	ds_read_b128 v[84:87], v143
	ds_read_b128 v[100:103], v147 offset:512
	v_lshl_add_u64 v[140:141], v[88:89], 0, s[10:11]
	v_add_f64 v[104:105], v[152:153], 0
	v_add_f64 v[106:107], v[154:155], 0
	;; [unrolled: 1-line block ×8, first 2 shown]
	s_waitcnt vmcnt(0) lgkmcnt(0)
	v_mul_f64 v[88:89], v[66:67], v[86:87]
	v_mul_f64 v[90:91], v[66:67], v[84:85]
	;; [unrolled: 1-line block ×4, first 2 shown]
	v_fmac_f64_e32 v[88:89], v[64:65], v[84:85]
	v_fma_f64 v[90:91], v[64:65], v[86:87], -v[90:91]
	v_mul_f64 v[96:97], v[58:59], v[86:87]
	v_mul_f64 v[98:99], v[58:59], v[84:85]
	v_fmac_f64_e32 v[92:93], v[60:61], v[84:85]
	v_fma_f64 v[94:95], v[60:61], v[86:87], -v[94:95]
	ds_write_b128 v148, v[88:91]
	v_mul_f64 v[168:169], v[54:55], v[86:87]
	v_mul_f64 v[108:109], v[54:55], v[84:85]
	v_fmac_f64_e32 v[96:97], v[56:57], v[84:85]
	v_fma_f64 v[98:99], v[56:57], v[86:87], -v[98:99]
	ds_read_b128 v[116:119], v147 offset:528
	ds_write_b128 v148, v[92:95] offset:1072
	v_fmac_f64_e32 v[168:169], v[52:53], v[84:85]
	v_fma_f64 v[170:171], v[52:53], v[86:87], -v[108:109]
	ds_read_b128 v[112:115], v147 offset:544
	ds_write_b128 v148, v[96:99] offset:2144
	v_lshl_add_u64 v[92:93], v[140:141], 0, s[8:9]
	ds_read_b128 v[108:111], v147 offset:560
	ds_write_b128 v148, v[168:171] offset:3216
	s_waitcnt lgkmcnt(0)
	s_barrier
	ds_read_b128 v[168:171], v146
	ds_read_b128 v[172:175], v146 offset:16
	ds_read_b128 v[176:179], v146 offset:32
	;; [unrolled: 1-line block ×3, first 2 shown]
	s_waitcnt lgkmcnt(0)
	s_barrier
	flat_load_dwordx4 v[84:87], v[140:141]
	v_lshl_add_u64 v[96:97], v[92:93], 0, s[8:9]
	flat_load_dwordx4 v[88:91], v[92:93]
	v_lshl_add_u64 v[140:141], v[96:97], 0, s[8:9]
	flat_load_dwordx4 v[92:95], v[96:97]
	v_add_f64 v[124:125], v[168:169], 0
	flat_load_dwordx4 v[96:99], v[140:141]
	ds_read_b128 v[120:123], v143
	ds_read_b128 v[104:107], v147 offset:768
	v_add_f64 v[126:127], v[170:171], 0
	v_add_f64 v[124:125], v[124:125], v[172:173]
	v_add_f64 v[126:127], v[126:127], v[174:175]
	v_add_f64 v[124:125], v[124:125], v[176:177]
	v_add_f64 v[126:127], v[126:127], v[178:179]
	v_add_f64 v[156:157], v[124:125], v[180:181]
	v_add_f64 v[158:159], v[126:127], v[182:183]
	s_waitcnt vmcnt(0) lgkmcnt(0)
	v_mul_f64 v[124:125], v[86:87], v[122:123]
	v_mul_f64 v[126:127], v[86:87], v[120:121]
	v_mul_f64 v[128:129], v[90:91], v[122:123]
	v_mul_f64 v[130:131], v[90:91], v[120:121]
	v_fma_f64 v[126:127], v[84:85], v[122:123], -v[126:127]
	v_fmac_f64_e32 v[124:125], v[84:85], v[120:121]
	v_mul_f64 v[160:161], v[94:95], v[122:123]
	v_mul_f64 v[162:163], v[94:95], v[120:121]
	;; [unrolled: 1-line block ×4, first 2 shown]
	v_fma_f64 v[130:131], v[88:89], v[122:123], -v[130:131]
	v_fmac_f64_e32 v[128:129], v[88:89], v[120:121]
	ds_write_b128 v148, v[124:127]
	v_fma_f64 v[162:163], v[92:93], v[122:123], -v[162:163]
	v_fmac_f64_e32 v[160:161], v[92:93], v[120:121]
	v_fmac_f64_e32 v[164:165], v[96:97], v[120:121]
	v_fma_f64 v[166:167], v[96:97], v[122:123], -v[166:167]
	ds_read_b128 v[120:123], v147 offset:784
	ds_write_b128 v148, v[128:131] offset:1072
	ds_read_b128 v[124:127], v147 offset:800
	ds_write_b128 v148, v[160:163] offset:2144
	;; [unrolled: 2-line block ×3, first 2 shown]
	s_waitcnt lgkmcnt(0)
	s_barrier
	ds_read_b128 v[160:163], v146
	ds_read_b128 v[164:167], v146 offset:16
	ds_read_b128 v[168:171], v146 offset:32
	;; [unrolled: 1-line block ×3, first 2 shown]
	s_waitcnt lgkmcnt(0)
	s_barrier
	ds_write_b128 v149, v[184:187]
	ds_write_b128 v149, v[152:155] offset:256
	ds_write_b128 v149, v[156:159] offset:512
	v_add_f64 v[152:153], v[160:161], 0
	v_add_f64 v[154:155], v[162:163], 0
	;; [unrolled: 1-line block ×8, first 2 shown]
	ds_write_b128 v149, v[152:155] offset:768
	s_waitcnt lgkmcnt(0)
	s_barrier
	s_and_saveexec_b64 s[12:13], s[4:5]
	s_cbranch_execz .LBB56_132
; %bb.136:                              ;   in Loop: Header=BB56_133 Depth=1
	ds_read_b128 v[152:155], v144
	ds_read_b128 v[156:159], v144 offset:16
	ds_read_b128 v[160:163], v144 offset:32
	;; [unrolled: 1-line block ×3, first 2 shown]
	v_add_u32_e32 v138, s3, v150
	s_waitcnt lgkmcnt(2)
	v_add_f64 v[152:153], v[156:157], v[152:153]
	v_add_f64 v[156:157], v[158:159], v[154:155]
	s_waitcnt lgkmcnt(1)
	v_add_f64 v[158:159], v[152:153], v[160:161]
	ds_read_b128 v[152:155], v144 offset:64
	v_add_f64 v[160:161], v[156:157], v[162:163]
	s_waitcnt lgkmcnt(1)
	v_add_f64 v[162:163], v[158:159], v[164:165]
	ds_read_b128 v[156:159], v144 offset:80
	v_add_f64 v[164:165], v[160:161], v[166:167]
	s_waitcnt lgkmcnt(1)
	v_add_f64 v[152:153], v[162:163], v[152:153]
	ds_read_b128 v[160:163], v144 offset:96
	v_add_f64 v[164:165], v[164:165], v[154:155]
	s_waitcnt lgkmcnt(1)
	v_add_f64 v[156:157], v[152:153], v[156:157]
	ds_read_b128 v[152:155], v144 offset:112
	v_add_f64 v[164:165], v[164:165], v[158:159]
	s_waitcnt lgkmcnt(1)
	v_add_f64 v[160:161], v[156:157], v[160:161]
	ds_read_b128 v[156:159], v144 offset:128
	v_add_f64 v[164:165], v[164:165], v[162:163]
	s_waitcnt lgkmcnt(1)
	v_add_f64 v[152:153], v[160:161], v[152:153]
	ds_read_b128 v[160:163], v144 offset:144
	v_add_f64 v[164:165], v[164:165], v[154:155]
	s_waitcnt lgkmcnt(1)
	v_add_f64 v[156:157], v[152:153], v[156:157]
	ds_read_b128 v[152:155], v144 offset:160
	v_add_f64 v[164:165], v[164:165], v[158:159]
	s_waitcnt lgkmcnt(1)
	v_add_f64 v[160:161], v[156:157], v[160:161]
	ds_read_b128 v[156:159], v144 offset:176
	v_add_f64 v[164:165], v[164:165], v[162:163]
	s_waitcnt lgkmcnt(1)
	v_add_f64 v[152:153], v[160:161], v[152:153]
	ds_read_b128 v[160:163], v144 offset:192
	v_add_f64 v[154:155], v[164:165], v[154:155]
	s_waitcnt lgkmcnt(1)
	v_add_f64 v[156:157], v[152:153], v[156:157]
	v_add_f64 v[164:165], v[154:155], v[158:159]
	ds_read_b128 v[152:155], v144 offset:208
	s_waitcnt lgkmcnt(1)
	v_add_f64 v[166:167], v[156:157], v[160:161]
	ds_read_b128 v[156:159], v144 offset:224
	v_add_f64 v[164:165], v[164:165], v[162:163]
	ds_read_b128 v[160:163], v145
	s_waitcnt lgkmcnt(2)
	v_add_f64 v[152:153], v[166:167], v[152:153]
	v_add_f64 v[154:155], v[164:165], v[154:155]
	s_waitcnt lgkmcnt(1)
	v_add_f64 v[152:153], v[152:153], v[156:157]
	v_add_f64 v[154:155], v[154:155], v[158:159]
	;; [unrolled: 3-line block ×3, first 2 shown]
	v_lshl_add_u64 v[156:157], v[138:139], 4, s[6:7]
	global_store_dwordx4 v[156:157], v[152:155], off
	s_branch .LBB56_132
.LBB56_137:
	s_movk_i32 s2, 0x430
	s_or_b64 s[0:1], s[0:1], vcc
	v_mad_u32_u24 v4, v142, s2, v134
	s_xor_b64 s[0:1], s[0:1], -1
	ds_write_b128 v4, v[0:3]
	s_waitcnt lgkmcnt(0)
	s_barrier
	s_and_saveexec_b64 s[2:3], s[0:1]
	s_cbranch_execz .LBB56_139
; %bb.138:
	ds_read_b128 v[0:3], v134 offset:1072
	ds_read_b128 v[4:7], v134
	ds_read_b128 v[8:11], v134 offset:2144
	ds_read_b128 v[12:15], v134 offset:3216
	s_waitcnt lgkmcnt(2)
	v_add_f64 v[0:1], v[0:1], v[4:5]
	v_add_f64 v[2:3], v[2:3], v[6:7]
	s_waitcnt lgkmcnt(1)
	v_add_f64 v[0:1], v[0:1], v[8:9]
	v_add_f64 v[2:3], v[2:3], v[10:11]
	;; [unrolled: 3-line block ×3, first 2 shown]
	v_lshl_add_u64 v[4:5], v[132:133], 4, s[6:7]
	global_store_dwordx4 v[4:5], v[0:3], off
.LBB56_139:
	s_endpgm
	.section	.rodata,"a",@progbits
	.p2align	6, 0x0
	.amdhsa_kernel _ZL26rocblas_hemvn_kernel_lowerILb1ELi64ELi4ELi33ELi32ELi16ElPK19rocblas_complex_numIdEPKS3_PS1_EviT6_lT7_lT5_lS8_lS9_lS7_lT8_i
		.amdhsa_group_segment_fixed_size 19200
		.amdhsa_private_segment_fixed_size 0
		.amdhsa_kernarg_size 376
		.amdhsa_user_sgpr_count 2
		.amdhsa_user_sgpr_dispatch_ptr 0
		.amdhsa_user_sgpr_queue_ptr 0
		.amdhsa_user_sgpr_kernarg_segment_ptr 1
		.amdhsa_user_sgpr_dispatch_id 0
		.amdhsa_user_sgpr_kernarg_preload_length 0
		.amdhsa_user_sgpr_kernarg_preload_offset 0
		.amdhsa_user_sgpr_private_segment_size 0
		.amdhsa_uses_dynamic_stack 0
		.amdhsa_enable_private_segment 0
		.amdhsa_system_sgpr_workgroup_id_x 1
		.amdhsa_system_sgpr_workgroup_id_y 0
		.amdhsa_system_sgpr_workgroup_id_z 1
		.amdhsa_system_sgpr_workgroup_info 0
		.amdhsa_system_vgpr_workitem_id 1
		.amdhsa_next_free_vgpr 188
		.amdhsa_next_free_sgpr 42
		.amdhsa_accum_offset 188
		.amdhsa_reserve_vcc 1
		.amdhsa_float_round_mode_32 0
		.amdhsa_float_round_mode_16_64 0
		.amdhsa_float_denorm_mode_32 3
		.amdhsa_float_denorm_mode_16_64 3
		.amdhsa_dx10_clamp 1
		.amdhsa_ieee_mode 1
		.amdhsa_fp16_overflow 0
		.amdhsa_tg_split 0
		.amdhsa_exception_fp_ieee_invalid_op 0
		.amdhsa_exception_fp_denorm_src 0
		.amdhsa_exception_fp_ieee_div_zero 0
		.amdhsa_exception_fp_ieee_overflow 0
		.amdhsa_exception_fp_ieee_underflow 0
		.amdhsa_exception_fp_ieee_inexact 0
		.amdhsa_exception_int_div_zero 0
	.end_amdhsa_kernel
	.section	.text._ZL26rocblas_hemvn_kernel_lowerILb1ELi64ELi4ELi33ELi32ELi16ElPK19rocblas_complex_numIdEPKS3_PS1_EviT6_lT7_lT5_lS8_lS9_lS7_lT8_i,"axG",@progbits,_ZL26rocblas_hemvn_kernel_lowerILb1ELi64ELi4ELi33ELi32ELi16ElPK19rocblas_complex_numIdEPKS3_PS1_EviT6_lT7_lT5_lS8_lS9_lS7_lT8_i,comdat
.Lfunc_end56:
	.size	_ZL26rocblas_hemvn_kernel_lowerILb1ELi64ELi4ELi33ELi32ELi16ElPK19rocblas_complex_numIdEPKS3_PS1_EviT6_lT7_lT5_lS8_lS9_lS7_lT8_i, .Lfunc_end56-_ZL26rocblas_hemvn_kernel_lowerILb1ELi64ELi4ELi33ELi32ELi16ElPK19rocblas_complex_numIdEPKS3_PS1_EviT6_lT7_lT5_lS8_lS9_lS7_lT8_i
                                        ; -- End function
	.section	.AMDGPU.csdata,"",@progbits
; Kernel info:
; codeLenInByte = 9532
; NumSgprs: 48
; NumVgprs: 188
; NumAgprs: 0
; TotalNumVgprs: 188
; ScratchSize: 0
; MemoryBound: 0
; FloatMode: 240
; IeeeMode: 1
; LDSByteSize: 19200 bytes/workgroup (compile time only)
; SGPRBlocks: 5
; VGPRBlocks: 23
; NumSGPRsForWavesPerEU: 48
; NumVGPRsForWavesPerEU: 188
; AccumOffset: 188
; Occupancy: 2
; WaveLimiterHint : 1
; COMPUTE_PGM_RSRC2:SCRATCH_EN: 0
; COMPUTE_PGM_RSRC2:USER_SGPR: 2
; COMPUTE_PGM_RSRC2:TRAP_HANDLER: 0
; COMPUTE_PGM_RSRC2:TGID_X_EN: 1
; COMPUTE_PGM_RSRC2:TGID_Y_EN: 0
; COMPUTE_PGM_RSRC2:TGID_Z_EN: 1
; COMPUTE_PGM_RSRC2:TIDIG_COMP_CNT: 1
; COMPUTE_PGM_RSRC3_GFX90A:ACCUM_OFFSET: 46
; COMPUTE_PGM_RSRC3_GFX90A:TG_SPLIT: 0
	.section	.text._ZL36rocblas_hemvn_kernel_lower_block_sumILi64ElPK19rocblas_complex_numIdEPKPS1_S1_EviT1_lS7_lT2_lT0_lPT3_i,"axG",@progbits,_ZL36rocblas_hemvn_kernel_lower_block_sumILi64ElPK19rocblas_complex_numIdEPKPS1_S1_EviT1_lS7_lT2_lT0_lPT3_i,comdat
	.globl	_ZL36rocblas_hemvn_kernel_lower_block_sumILi64ElPK19rocblas_complex_numIdEPKPS1_S1_EviT1_lS7_lT2_lT0_lPT3_i ; -- Begin function _ZL36rocblas_hemvn_kernel_lower_block_sumILi64ElPK19rocblas_complex_numIdEPKPS1_S1_EviT1_lS7_lT2_lT0_lPT3_i
	.p2align	8
	.type	_ZL36rocblas_hemvn_kernel_lower_block_sumILi64ElPK19rocblas_complex_numIdEPKPS1_S1_EviT1_lS7_lT2_lT0_lPT3_i,@function
_ZL36rocblas_hemvn_kernel_lower_block_sumILi64ElPK19rocblas_complex_numIdEPKPS1_S1_EviT1_lS7_lT2_lT0_lPT3_i: ; @_ZL36rocblas_hemvn_kernel_lower_block_sumILi64ElPK19rocblas_complex_numIdEPKPS1_S1_EviT1_lS7_lT2_lT0_lPT3_i
; %bb.0:
	s_load_dwordx8 s[4:11], s[0:1], 0x8
	s_mov_b32 s20, s3
	s_waitcnt lgkmcnt(0)
	s_mul_i32 s3, s3, s7
	s_mul_hi_u32 s7, s20, s6
	s_add_i32 s7, s7, s3
	s_mul_i32 s6, s20, s6
	s_lshl_b64 s[6:7], s[6:7], 4
	s_add_u32 s4, s4, s6
	s_addc_u32 s5, s5, s7
	s_load_dwordx4 s[12:15], s[4:5], 0x0
	s_mul_i32 s3, s20, s11
	s_mul_hi_u32 s4, s20, s10
	s_add_i32 s5, s4, s3
	s_mul_i32 s4, s20, s10
	s_lshl_b64 s[4:5], s[4:5], 4
	s_add_u32 s4, s8, s4
	s_addc_u32 s5, s9, s5
	s_load_dwordx4 s[8:11], s[4:5], 0x0
	s_waitcnt lgkmcnt(0)
	v_cmp_neq_f64_e64 s[4:5], s[12:13], 0
	v_cmp_neq_f64_e64 s[6:7], s[14:15], 0
	s_or_b64 s[16:17], s[4:5], s[6:7]
	s_mov_b64 s[4:5], -1
	s_and_b64 vcc, exec, s[16:17]
	s_cbranch_vccnz .LBB57_2
; %bb.1:
	v_cmp_neq_f64_e64 s[4:5], s[8:9], 1.0
	v_cmp_neq_f64_e64 s[6:7], s[10:11], 0
	s_or_b64 s[4:5], s[4:5], s[6:7]
.LBB57_2:
	s_andn2_b64 vcc, exec, s[4:5]
	s_cbranch_vccnz .LBB57_22
; %bb.3:
	s_load_dwordx2 s[18:19], s[0:1], 0x28
	s_load_dword s22, s[0:1], 0x0
	s_load_dwordx4 s[4:7], s[0:1], 0x30
	s_mov_b32 s21, 0
	s_lshl_b64 s[24:25], s[20:21], 3
	s_xor_b64 s[26:27], s[16:17], -1
	s_waitcnt lgkmcnt(0)
	s_add_u32 s16, s18, s24
	s_addc_u32 s17, s19, s25
	s_load_dwordx2 s[16:17], s[16:17], 0x0
	s_lshl_b64 s[4:5], s[4:5], 4
	v_lshl_or_b32 v6, s2, 6, v0
	s_waitcnt lgkmcnt(0)
	s_add_u32 s16, s16, s4
	s_addc_u32 s17, s17, s5
	s_andn2_b64 vcc, exec, s[26:27]
	v_cmp_gt_i32_e64 s[4:5], s22, v6
	s_cbranch_vccnz .LBB57_8
; %bb.4:
	s_mov_b64 s[24:25], 0
	s_mov_b64 s[18:19], 0
                                        ; implicit-def: $vgpr2_vgpr3
                                        ; implicit-def: $vgpr4_vgpr5
	s_and_saveexec_b64 s[26:27], s[4:5]
	s_cbranch_execz .LBB57_9
; %bb.5:
	v_cmp_neq_f64_e64 s[4:5], s[8:9], 0
	v_cmp_neq_f64_e64 s[18:19], s[10:11], 0
	v_ashrrev_i32_e32 v0, 31, v6
	v_mov_b64_e32 v[2:3], 0
	v_mul_lo_u32 v1, v6, s7
	v_mul_lo_u32 v0, v0, s6
	v_mad_u64_u32 v[4:5], s[28:29], v6, s6, 0
	s_or_b64 s[4:5], s[4:5], s[18:19]
	v_add3_u32 v5, v5, v1, v0
	s_andn2_b64 vcc, exec, s[4:5]
	v_mov_b64_e32 v[0:1], v[2:3]
	s_cbranch_vccnz .LBB57_7
; %bb.6:
	v_lshl_add_u64 v[0:1], v[4:5], 4, s[16:17]
	global_load_dwordx4 v[8:11], v[0:1], off
	s_waitcnt vmcnt(0)
	v_mul_f64 v[0:1], s[10:11], v[10:11]
	v_mul_f64 v[2:3], s[8:9], v[10:11]
	v_fma_f64 v[0:1], s[8:9], v[8:9], -v[0:1]
	v_fmac_f64_e32 v[2:3], s[10:11], v[8:9]
.LBB57_7:
	s_mov_b64 s[18:19], exec
	s_or_b64 exec, exec, s[26:27]
	s_and_b64 vcc, exec, s[24:25]
	s_cbranch_vccnz .LBB57_10
	s_branch .LBB57_20
.LBB57_8:
	s_mov_b64 s[18:19], 0
                                        ; implicit-def: $vgpr2_vgpr3
                                        ; implicit-def: $vgpr4_vgpr5
	s_cbranch_execnz .LBB57_10
	s_branch .LBB57_20
.LBB57_9:
	s_or_b64 exec, exec, s[26:27]
	s_and_b64 vcc, exec, s[24:25]
	s_cbranch_vccz .LBB57_20
.LBB57_10:
	v_cmp_gt_i32_e32 vcc, s22, v6
                                        ; implicit-def: $vgpr2_vgpr3
                                        ; implicit-def: $vgpr4_vgpr5
	s_and_saveexec_b64 s[4:5], vcc
	s_cbranch_execz .LBB57_19
; %bb.11:
	s_load_dword s3, s[0:1], 0x58
	v_mov_b64_e32 v[0:1], 0
	v_mov_b64_e32 v[4:5], v[0:1]
	s_waitcnt lgkmcnt(0)
	s_cmp_ge_i32 s2, s3
	s_cbranch_scc1 .LBB57_14
; %bb.12:
	s_ashr_i32 s23, s22, 31
	s_mul_i32 s21, s2, s22
	s_load_dwordx2 s[0:1], s[0:1], 0x48
	v_add_u32_e32 v0, s21, v6
	s_mul_hi_u32 s21, s22, s20
	s_mul_i32 s24, s23, s20
	s_add_i32 s21, s21, s24
	s_mul_i32 s20, s22, s20
	s_mul_i32 s21, s21, s3
	s_mul_hi_u32 s24, s20, s3
	s_add_i32 s21, s24, s21
	s_mul_i32 s20, s20, s3
	s_lshl_b64 s[20:21], s[20:21], 4
	s_waitcnt lgkmcnt(0)
	s_add_u32 s0, s0, s20
	v_ashrrev_i32_e32 v1, 31, v0
	s_addc_u32 s1, s1, s21
	v_lshl_add_u64 v[0:1], v[0:1], 4, s[0:1]
	v_lshl_add_u64 v[2:3], v[0:1], 0, 8
	v_mov_b64_e32 v[0:1], 0
	s_lshl_b64 s[0:1], s[22:23], 4
	v_mov_b64_e32 v[4:5], v[0:1]
.LBB57_13:                              ; =>This Inner Loop Header: Depth=1
	global_load_dwordx4 v[8:11], v[2:3], off offset:-8
	s_add_i32 s2, s2, 1
	v_lshl_add_u64 v[2:3], v[2:3], 0, s[0:1]
	s_cmp_ge_i32 s2, s3
	s_waitcnt vmcnt(0)
	v_add_f64 v[4:5], v[4:5], v[8:9]
	v_add_f64 v[0:1], v[0:1], v[10:11]
	s_cbranch_scc0 .LBB57_13
.LBB57_14:
	v_cmp_neq_f64_e64 s[2:3], s[8:9], 0
	v_cmp_neq_f64_e64 s[20:21], s[10:11], 0
	s_or_b64 s[2:3], s[2:3], s[20:21]
	v_mul_f64 v[8:9], s[14:15], v[0:1]
	v_mul_f64 v[2:3], s[12:13], v[0:1]
	v_ashrrev_i32_e32 v10, 31, v6
	s_mov_b64 s[0:1], 0
	s_andn2_b64 vcc, exec, s[2:3]
	v_fma_f64 v[0:1], s[12:13], v[4:5], -v[8:9]
	v_fmac_f64_e32 v[2:3], s[14:15], v[4:5]
	v_mul_lo_u32 v7, v6, s7
	v_mul_lo_u32 v8, v10, s6
	s_cbranch_vccz .LBB57_16
; %bb.15:
	v_mad_u64_u32 v[4:5], s[2:3], v6, s6, 0
	v_add3_u32 v5, v5, v7, v8
	s_andn2_b64 vcc, exec, s[0:1]
	s_cbranch_vccz .LBB57_17
	s_branch .LBB57_18
.LBB57_16:
                                        ; implicit-def: $vgpr4_vgpr5
.LBB57_17:
	v_mad_u64_u32 v[4:5], s[0:1], v6, s6, 0
	v_add3_u32 v5, v5, v7, v8
	v_lshl_add_u64 v[6:7], v[4:5], 4, s[16:17]
	global_load_dwordx4 v[6:9], v[6:7], off
	s_waitcnt vmcnt(0)
	v_mul_f64 v[10:11], s[10:11], v[8:9]
	v_mul_f64 v[8:9], s[8:9], v[8:9]
	v_fma_f64 v[10:11], s[8:9], v[6:7], -v[10:11]
	v_fmac_f64_e32 v[8:9], s[10:11], v[6:7]
	v_add_f64 v[0:1], v[0:1], v[10:11]
	v_add_f64 v[2:3], v[2:3], v[8:9]
.LBB57_18:
	s_or_b64 s[18:19], s[18:19], exec
.LBB57_19:
	s_or_b64 exec, exec, s[4:5]
.LBB57_20:
	s_and_saveexec_b64 s[0:1], s[18:19]
	s_cbranch_execz .LBB57_22
; %bb.21:
	v_lshl_add_u64 v[4:5], v[4:5], 4, s[16:17]
	global_store_dwordx4 v[4:5], v[0:3], off
.LBB57_22:
	s_endpgm
	.section	.rodata,"a",@progbits
	.p2align	6, 0x0
	.amdhsa_kernel _ZL36rocblas_hemvn_kernel_lower_block_sumILi64ElPK19rocblas_complex_numIdEPKPS1_S1_EviT1_lS7_lT2_lT0_lPT3_i
		.amdhsa_group_segment_fixed_size 0
		.amdhsa_private_segment_fixed_size 0
		.amdhsa_kernarg_size 344
		.amdhsa_user_sgpr_count 2
		.amdhsa_user_sgpr_dispatch_ptr 0
		.amdhsa_user_sgpr_queue_ptr 0
		.amdhsa_user_sgpr_kernarg_segment_ptr 1
		.amdhsa_user_sgpr_dispatch_id 0
		.amdhsa_user_sgpr_kernarg_preload_length 0
		.amdhsa_user_sgpr_kernarg_preload_offset 0
		.amdhsa_user_sgpr_private_segment_size 0
		.amdhsa_uses_dynamic_stack 0
		.amdhsa_enable_private_segment 0
		.amdhsa_system_sgpr_workgroup_id_x 1
		.amdhsa_system_sgpr_workgroup_id_y 0
		.amdhsa_system_sgpr_workgroup_id_z 1
		.amdhsa_system_sgpr_workgroup_info 0
		.amdhsa_system_vgpr_workitem_id 0
		.amdhsa_next_free_vgpr 12
		.amdhsa_next_free_sgpr 30
		.amdhsa_accum_offset 12
		.amdhsa_reserve_vcc 1
		.amdhsa_float_round_mode_32 0
		.amdhsa_float_round_mode_16_64 0
		.amdhsa_float_denorm_mode_32 3
		.amdhsa_float_denorm_mode_16_64 3
		.amdhsa_dx10_clamp 1
		.amdhsa_ieee_mode 1
		.amdhsa_fp16_overflow 0
		.amdhsa_tg_split 0
		.amdhsa_exception_fp_ieee_invalid_op 0
		.amdhsa_exception_fp_denorm_src 0
		.amdhsa_exception_fp_ieee_div_zero 0
		.amdhsa_exception_fp_ieee_overflow 0
		.amdhsa_exception_fp_ieee_underflow 0
		.amdhsa_exception_fp_ieee_inexact 0
		.amdhsa_exception_int_div_zero 0
	.end_amdhsa_kernel
	.section	.text._ZL36rocblas_hemvn_kernel_lower_block_sumILi64ElPK19rocblas_complex_numIdEPKPS1_S1_EviT1_lS7_lT2_lT0_lPT3_i,"axG",@progbits,_ZL36rocblas_hemvn_kernel_lower_block_sumILi64ElPK19rocblas_complex_numIdEPKPS1_S1_EviT1_lS7_lT2_lT0_lPT3_i,comdat
.Lfunc_end57:
	.size	_ZL36rocblas_hemvn_kernel_lower_block_sumILi64ElPK19rocblas_complex_numIdEPKPS1_S1_EviT1_lS7_lT2_lT0_lPT3_i, .Lfunc_end57-_ZL36rocblas_hemvn_kernel_lower_block_sumILi64ElPK19rocblas_complex_numIdEPKPS1_S1_EviT1_lS7_lT2_lT0_lPT3_i
                                        ; -- End function
	.section	.AMDGPU.csdata,"",@progbits
; Kernel info:
; codeLenInByte = 840
; NumSgprs: 36
; NumVgprs: 12
; NumAgprs: 0
; TotalNumVgprs: 12
; ScratchSize: 0
; MemoryBound: 0
; FloatMode: 240
; IeeeMode: 1
; LDSByteSize: 0 bytes/workgroup (compile time only)
; SGPRBlocks: 4
; VGPRBlocks: 1
; NumSGPRsForWavesPerEU: 36
; NumVGPRsForWavesPerEU: 12
; AccumOffset: 12
; Occupancy: 8
; WaveLimiterHint : 1
; COMPUTE_PGM_RSRC2:SCRATCH_EN: 0
; COMPUTE_PGM_RSRC2:USER_SGPR: 2
; COMPUTE_PGM_RSRC2:TRAP_HANDLER: 0
; COMPUTE_PGM_RSRC2:TGID_X_EN: 1
; COMPUTE_PGM_RSRC2:TGID_Y_EN: 0
; COMPUTE_PGM_RSRC2:TGID_Z_EN: 1
; COMPUTE_PGM_RSRC2:TIDIG_COMP_CNT: 0
; COMPUTE_PGM_RSRC3_GFX90A:ACCUM_OFFSET: 2
; COMPUTE_PGM_RSRC3_GFX90A:TG_SPLIT: 0
	.section	.text._ZL26rocblas_hemvn_kernel_lowerILb1ELi64ELi4ELi33ELi32ELi16EiPK19rocblas_complex_numIdEPKS3_PS1_EviT6_lT7_lT5_lS8_lS9_lS7_lT8_i,"axG",@progbits,_ZL26rocblas_hemvn_kernel_lowerILb1ELi64ELi4ELi33ELi32ELi16EiPK19rocblas_complex_numIdEPKS3_PS1_EviT6_lT7_lT5_lS8_lS9_lS7_lT8_i,comdat
	.globl	_ZL26rocblas_hemvn_kernel_lowerILb1ELi64ELi4ELi33ELi32ELi16EiPK19rocblas_complex_numIdEPKS3_PS1_EviT6_lT7_lT5_lS8_lS9_lS7_lT8_i ; -- Begin function _ZL26rocblas_hemvn_kernel_lowerILb1ELi64ELi4ELi33ELi32ELi16EiPK19rocblas_complex_numIdEPKS3_PS1_EviT6_lT7_lT5_lS8_lS9_lS7_lT8_i
	.p2align	8
	.type	_ZL26rocblas_hemvn_kernel_lowerILb1ELi64ELi4ELi33ELi32ELi16EiPK19rocblas_complex_numIdEPKS3_PS1_EviT6_lT7_lT5_lS8_lS9_lS7_lT8_i,@function
_ZL26rocblas_hemvn_kernel_lowerILb1ELi64ELi4ELi33ELi32ELi16EiPK19rocblas_complex_numIdEPKS3_PS1_EviT6_lT7_lT5_lS8_lS9_lS7_lT8_i: ; @_ZL26rocblas_hemvn_kernel_lowerILb1ELi64ELi4ELi33ELi32ELi16EiPK19rocblas_complex_numIdEPKS3_PS1_EviT6_lT7_lT5_lS8_lS9_lS7_lT8_i
; %bb.0:
	s_load_dwordx2 s[4:5], s[0:1], 0x84
	s_add_u32 s12, s0, 0x78
	s_mov_b32 s20, s3
	s_addc_u32 s13, s1, 0
	s_waitcnt lgkmcnt(0)
	s_and_b32 s3, s5, 0xffff
	s_lshr_b32 s5, s4, 16
	s_and_b32 s4, s4, 0xffff
	s_mul_i32 s4, s5, s4
	s_mul_i32 s4, s4, s3
	s_cmpk_lg_i32 s4, 0x100
	s_cbranch_scc1 .LBB58_139
; %bb.1:
	s_load_dwordx8 s[4:11], s[0:1], 0x8
	s_mov_b32 s21, 0
	s_mov_b64 s[16:17], 0
	s_waitcnt lgkmcnt(0)
	s_mul_i32 s3, s20, s7
	s_mul_hi_u32 s7, s20, s6
	s_mul_i32 s6, s20, s6
	s_add_i32 s7, s7, s3
	s_lshl_b64 s[6:7], s[6:7], 4
	s_add_u32 s14, s4, s6
	s_addc_u32 s15, s5, s7
	s_load_dwordx4 s[24:27], s[14:15], 0x0
	s_load_dwordx2 s[22:23], s[0:1], 0x68
	s_load_dwordx4 s[4:7], s[0:1], 0x58
	s_waitcnt lgkmcnt(0)
	v_cmp_neq_f64_e64 s[14:15], s[24:25], 0
	v_cmp_neq_f64_e64 s[18:19], s[26:27], 0
	s_or_b64 s[14:15], s[14:15], s[18:19]
	s_and_b64 vcc, exec, s[14:15]
	s_cbranch_vccnz .LBB58_3
; %bb.2:
	s_mul_i32 s3, s20, s7
	s_mul_hi_u32 s7, s20, s6
	s_add_i32 s7, s7, s3
	s_mul_i32 s6, s20, s6
	s_lshl_b64 s[6:7], s[6:7], 4
	s_add_u32 s4, s4, s6
	s_addc_u32 s5, s5, s7
	s_load_dwordx4 s[16:19], s[4:5], 0x0
	s_mov_b64 s[6:7], 0
	s_waitcnt lgkmcnt(0)
	v_cmp_neq_f64_e64 s[4:5], s[16:17], 1.0
	v_cmp_neq_f64_e64 s[16:17], s[18:19], 0
	s_or_b64 s[16:17], s[4:5], s[16:17]
	s_cbranch_execz .LBB58_4
	s_branch .LBB58_5
.LBB58_3:
	s_mov_b64 s[6:7], -1
.LBB58_4:
	s_lshl_b64 s[4:5], s[20:21], 3
	s_add_u32 s4, s8, s4
	s_addc_u32 s5, s9, s5
	s_load_dwordx2 s[4:5], s[4:5], 0x0
	s_lshl_b64 s[6:7], s[10:11], 4
	s_mov_b64 s[16:17], -1
	s_waitcnt lgkmcnt(0)
	s_add_u32 s6, s4, s6
	s_addc_u32 s7, s5, s7
.LBB58_5:
	s_andn2_b64 vcc, exec, s[16:17]
	s_cbranch_vccnz .LBB58_139
; %bb.6:
	v_cndmask_b32_e64 v1, 0, 1, s[14:15]
	v_cmp_ne_u32_e64 s[4:5], 1, v1
	s_andn2_b64 vcc, exec, s[14:15]
	s_mov_b64 s[8:9], 0
	s_cbranch_vccnz .LBB58_8
; %bb.7:
	s_load_dwordx4 s[8:11], s[0:1], 0x38
	s_lshl_b64 s[14:15], s[20:21], 3
	s_waitcnt lgkmcnt(0)
	s_add_u32 s8, s8, s14
	s_addc_u32 s9, s9, s15
	s_load_dwordx2 s[8:9], s[8:9], 0x0
	s_lshl_b64 s[10:11], s[10:11], 4
	s_waitcnt lgkmcnt(0)
	s_add_u32 s8, s8, s10
	s_addc_u32 s9, s9, s11
.LBB58_8:
	s_and_b64 vcc, exec, s[4:5]
	s_cbranch_vccnz .LBB58_139
; %bb.9:
	s_load_dword s33, s[12:13], 0x0
	s_load_dword s21, s[0:1], 0x0
	;; [unrolled: 1-line block ×3, first 2 shown]
	v_and_b32_e32 v42, 0x3ff, v0
	s_lshl_b32 s28, s2, 6
	v_add_u32_e32 v132, s28, v42
	s_waitcnt lgkmcnt(0)
	s_ashr_i32 s40, s21, 31
	s_lshr_b32 s5, s40, 26
	s_add_i32 s5, s21, s5
	s_andn2_b32 s5, s5, 63
	v_bfe_u32 v133, v0, 10, 10
	s_add_i32 s4, s33, -1
	s_sub_i32 s5, s21, s5
	v_mul_lo_u32 v0, v132, s3
	s_cmp_eq_u32 s2, s4
	v_ashrrev_i32_e32 v1, 31, v0
	s_cselect_b32 s24, s5, 0
	v_lshl_add_u64 v[36:37], v[0:1], 4, s[8:9]
	v_cmp_ne_u32_e64 s[16:17], 0, v133
	v_cmp_eq_u32_e64 s[18:19], 0, v133
	s_and_saveexec_b64 s[4:5], s[18:19]
	s_cbranch_execz .LBB58_14
; %bb.10:
	s_cmp_lg_u32 s24, 0
	s_cselect_b64 s[8:9], -1, 0
	v_cmp_le_i32_e32 vcc, s24, v42
	v_mov_b32_e32 v0, 0x4700
	s_and_b64 s[8:9], s[8:9], vcc
	v_lshl_add_u32 v0, v42, 4, v0
	s_and_saveexec_b64 s[10:11], s[8:9]
	s_xor_b64 s[8:9], exec, s[10:11]
	s_cbranch_execz .LBB58_12
; %bb.11:
	v_mov_b32_e32 v2, 0
	v_mov_b32_e32 v3, v2
	;; [unrolled: 1-line block ×4, first 2 shown]
	ds_write_b128 v0, v[2:5]
                                        ; implicit-def: $vgpr0
.LBB58_12:
	s_andn2_saveexec_b64 s[8:9], s[8:9]
	s_cbranch_execz .LBB58_14
; %bb.13:
	flat_load_dwordx4 v[2:5], v[36:37]
	s_waitcnt vmcnt(0) lgkmcnt(0)
	ds_write2_b64 v0, v[2:3], v[4:5] offset1:1
.LBB58_14:
	s_or_b64 exec, exec, s[4:5]
	s_load_dword s26, s[0:1], 0x28
	s_ashr_i32 s29, s28, 31
	v_lshl_add_u32 v43, v133, 6, v42
	s_lshl_b64 s[0:1], s[28:29], 4
	v_and_b32_e32 v4, 31, v42
	v_lshrrev_b32_e32 v5, 5, v43
	s_add_u32 s4, s6, s0
	s_addc_u32 s5, s7, s1
	s_waitcnt lgkmcnt(0)
	v_mad_u64_u32 v[38:39], s[0:1], v5, s26, v[4:5]
	s_mul_i32 s0, s28, s26
	s_ashr_i32 s1, s0, 31
	s_lshl_b64 s[30:31], s[0:1], 4
	s_add_u32 s0, s30, s4
	s_addc_u32 s1, s31, s5
	s_cmp_lg_u32 s24, 0
	v_ashrrev_i32_e32 v39, 31, v38
	s_cselect_b64 s[34:35], -1, 0
	s_cmp_eq_u32 s24, 0
	v_lshl_add_u64 v[6:7], v[38:39], 4, s[0:1]
	s_cselect_b64 s[36:37], -1, 0
	s_and_b64 vcc, exec, s[34:35]
	s_cbranch_vccnz .LBB58_16
; %bb.15:
	flat_load_dwordx4 v[0:3], v[6:7]
	v_mul_u32_u24_e32 v8, 33, v5
	s_lshl_b32 s0, s26, 3
	v_add_lshl_u32 v10, v8, v4, 4
	s_ashr_i32 s1, s0, 31
	v_lshl_add_u64 v[8:9], s[0:1], 4, v[6:7]
	s_ashr_i32 s27, s26, 31
	s_lshl_b64 s[0:1], s[26:27], 7
	v_add_u32_e32 v11, 0x1080, v10
	s_waitcnt vmcnt(0) lgkmcnt(0)
	ds_write2_b64 v10, v[0:1], v[2:3] offset1:1
	flat_load_dwordx4 v[0:3], v[8:9]
	v_lshl_add_u64 v[8:9], v[8:9], 0, s[0:1]
	s_waitcnt vmcnt(0) lgkmcnt(0)
	ds_write2_b64 v11, v[0:1], v[2:3] offset1:1
	flat_load_dwordx4 v[0:3], v[8:9]
	v_add_u32_e32 v11, 0x2100, v10
	v_lshl_add_u64 v[8:9], v[8:9], 0, s[0:1]
	s_waitcnt vmcnt(0) lgkmcnt(0)
	ds_write2_b64 v11, v[0:1], v[2:3] offset1:1
	flat_load_dwordx4 v[0:3], v[8:9]
	v_add_u32_e32 v8, 0x3180, v10
	s_waitcnt vmcnt(0) lgkmcnt(0)
	ds_write2_b64 v8, v[0:1], v[2:3] offset1:1
	s_cbranch_execz .LBB58_17
	s_branch .LBB58_34
.LBB58_16:
.LBB58_17:
	v_lshlrev_b32_e32 v0, 4, v4
	v_sub_co_u32_e32 v2, vcc, v6, v0
	s_ashr_i32 s25, s24, 31
	s_nop 0
	v_subbrev_co_u32_e32 v3, vcc, 0, v7, vcc
	v_lshl_add_u64 v[2:3], s[24:25], 4, v[2:3]
	v_lshl_add_u64 v[2:3], v[2:3], 0, -16
	v_cmp_gt_i32_e32 vcc, s24, v4
	v_mul_u32_u24_e32 v1, 33, v5
	v_cmp_le_i32_e64 s[0:1], s24, v5
	v_cndmask_b32_e32 v3, v3, v7, vcc
	v_cndmask_b32_e32 v2, v2, v6, vcc
	v_add_lshl_u32 v1, v1, v4, 4
	s_and_saveexec_b64 s[4:5], s[0:1]
	s_xor_b64 s[0:1], exec, s[4:5]
	s_cbranch_execz .LBB58_19
; %bb.18:
	v_mov_b32_e32 v8, 0
	v_mov_b32_e32 v9, v8
	;; [unrolled: 1-line block ×4, first 2 shown]
	ds_write_b128 v1, v[8:11]
.LBB58_19:
	s_andn2_saveexec_b64 s[0:1], s[0:1]
	s_cbranch_execz .LBB58_21
; %bb.20:
	flat_load_dwordx4 v[8:11], v[2:3]
	s_waitcnt vmcnt(0) lgkmcnt(0)
	ds_write2_b64 v1, v[8:9], v[10:11] offset1:1
.LBB58_21:
	s_or_b64 exec, exec, s[0:1]
	v_add_u32_e32 v8, 8, v5
	v_cmp_le_i32_e64 s[0:1], s24, v8
	s_and_saveexec_b64 s[4:5], s[0:1]
	s_xor_b64 s[0:1], exec, s[4:5]
	s_cbranch_execz .LBB58_23
; %bb.22:
	v_mul_u32_u24_e32 v8, 33, v8
	v_add_lshl_u32 v12, v8, v4, 4
	v_mov_b32_e32 v8, 0
	v_mov_b32_e32 v9, v8
	;; [unrolled: 1-line block ×4, first 2 shown]
	ds_write_b128 v12, v[8:11]
.LBB58_23:
	s_andn2_saveexec_b64 s[0:1], s[0:1]
	s_cbranch_execz .LBB58_25
; %bb.24:
	s_lshl_b32 s4, s26, 3
	s_ashr_i32 s5, s4, 31
	v_lshl_add_u64 v[8:9], s[4:5], 4, v[2:3]
	flat_load_dwordx4 v[8:11], v[8:9]
	v_add_u32_e32 v12, 0x1080, v1
	s_waitcnt vmcnt(0) lgkmcnt(0)
	ds_write2_b64 v12, v[8:9], v[10:11] offset1:1
.LBB58_25:
	s_or_b64 exec, exec, s[0:1]
	v_add_u32_e32 v8, 16, v5
	v_cmp_le_i32_e64 s[0:1], s24, v8
	s_and_saveexec_b64 s[4:5], s[0:1]
	s_xor_b64 s[0:1], exec, s[4:5]
	s_cbranch_execz .LBB58_27
; %bb.26:
	v_mul_u32_u24_e32 v8, 33, v8
	v_add_lshl_u32 v12, v8, v4, 4
	v_mov_b32_e32 v8, 0
	v_mov_b32_e32 v9, v8
	;; [unrolled: 1-line block ×4, first 2 shown]
	ds_write_b128 v12, v[8:11]
.LBB58_27:
	s_andn2_saveexec_b64 s[0:1], s[0:1]
	s_cbranch_execz .LBB58_29
; %bb.28:
	s_lshl_b32 s4, s26, 4
	s_ashr_i32 s5, s4, 31
	v_lshl_add_u64 v[8:9], s[4:5], 4, v[2:3]
	flat_load_dwordx4 v[8:11], v[8:9]
	v_add_u32_e32 v12, 0x2100, v1
	s_waitcnt vmcnt(0) lgkmcnt(0)
	ds_write2_b64 v12, v[8:9], v[10:11] offset1:1
.LBB58_29:
	s_or_b64 exec, exec, s[0:1]
	v_add_u32_e32 v8, 24, v5
	v_cmp_le_i32_e64 s[0:1], s24, v8
	s_and_saveexec_b64 s[4:5], s[0:1]
	s_xor_b64 s[0:1], exec, s[4:5]
	s_cbranch_execz .LBB58_31
; %bb.30:
	v_mov_b32_e32 v8, 0
	v_mov_b32_e32 v9, v8
	;; [unrolled: 1-line block ×4, first 2 shown]
	ds_write_b128 v1, v[8:11] offset:12672
                                        ; implicit-def: $vgpr1
.LBB58_31:
	s_andn2_saveexec_b64 s[0:1], s[0:1]
	s_cbranch_execz .LBB58_33
; %bb.32:
	s_mul_i32 s4, s26, 24
	s_ashr_i32 s5, s4, 31
	v_lshl_add_u64 v[8:9], s[4:5], 4, v[2:3]
	flat_load_dwordx4 v[8:11], v[8:9]
	v_add_u32_e32 v1, 0x3180, v1
	s_waitcnt vmcnt(0) lgkmcnt(0)
	ds_write2_b64 v1, v[8:9], v[10:11] offset1:1
.LBB58_33:
	s_or_b64 exec, exec, s[0:1]
	v_mov_b32_e32 v1, 0
	v_lshl_add_u64 v[0:1], v[2:3], 0, v[0:1]
	s_lshl_b64 s[0:1], s[24:25], 4
	v_mov_b32_e32 v2, s1
	v_subrev_co_u32_e64 v0, s[0:1], s0, v0
	s_nop 1
	v_subb_co_u32_e64 v1, s[0:1], v1, v2, s[0:1]
	v_lshl_add_u64 v[0:1], v[0:1], 0, 16
	v_cndmask_b32_e32 v7, v1, v7, vcc
	v_cndmask_b32_e32 v6, v0, v6, vcc
.LBB58_34:
	v_lshlrev_b32_e32 v12, 2, v5
	v_cmp_ge_u32_e64 s[6:7], v12, v4
	s_waitcnt lgkmcnt(0)
	s_barrier
	s_and_saveexec_b64 s[0:1], s[6:7]
	s_xor_b64 s[0:1], exec, s[0:1]
	s_cbranch_execz .LBB58_38
; %bb.35:
	v_cmp_eq_u32_e32 vcc, v12, v4
	s_and_saveexec_b64 s[4:5], vcc
	s_cbranch_execz .LBB58_37
; %bb.36:
	v_mul_u32_u24_e32 v0, 34, v4
	v_lshlrev_b32_e32 v2, 4, v0
	v_mov_b32_e32 v0, 0
	v_mov_b32_e32 v1, v0
	ds_write_b64 v2, v[0:1] offset:8
.LBB58_37:
	s_or_b64 exec, exec, s[4:5]
.LBB58_38:
	s_or_saveexec_b64 s[0:1], s[0:1]
	v_mul_u32_u24_e32 v44, 33, v4
	v_add_lshl_u32 v10, v12, v44, 4
	s_xor_b64 exec, exec, s[0:1]
	s_cbranch_execz .LBB58_40
; %bb.39:
	v_mul_u32_u24_e32 v0, 0x84, v5
	v_add_lshl_u32 v0, v0, v4, 4
	ds_read_b128 v[0:3], v0
	s_waitcnt lgkmcnt(0)
	v_xor_b32_e32 v3, 0x80000000, v3
	ds_write_b128 v10, v[0:3]
.LBB58_40:
	s_or_b64 exec, exec, s[0:1]
	v_or_b32_e32 v13, 1, v12
	v_cmp_ge_u32_e64 s[8:9], v13, v4
	s_and_saveexec_b64 s[0:1], s[8:9]
	s_xor_b64 s[0:1], exec, s[0:1]
	s_cbranch_execz .LBB58_44
; %bb.41:
	v_cmp_eq_u32_e32 vcc, v13, v4
	s_and_saveexec_b64 s[4:5], vcc
	s_cbranch_execz .LBB58_43
; %bb.42:
	v_mul_u32_u24_e32 v0, 34, v4
	v_lshlrev_b32_e32 v2, 4, v0
	v_mov_b32_e32 v0, 0
	v_mov_b32_e32 v1, v0
	ds_write_b64 v2, v[0:1] offset:8
.LBB58_43:
	s_or_b64 exec, exec, s[4:5]
.LBB58_44:
	s_or_saveexec_b64 s[0:1], s[0:1]
	v_mul_u32_u24_e32 v0, 33, v13
	s_xor_b64 exec, exec, s[0:1]
	s_cbranch_execz .LBB58_46
; %bb.45:
	v_add_lshl_u32 v1, v0, v4, 4
	ds_read_b128 v[14:17], v1
	s_waitcnt lgkmcnt(0)
	v_xor_b32_e32 v17, 0x80000000, v17
	ds_write_b128 v10, v[14:17] offset:16
.LBB58_46:
	s_or_b64 exec, exec, s[0:1]
	v_or_b32_e32 v14, 2, v12
	v_cmp_ge_u32_e64 s[10:11], v14, v4
	s_and_saveexec_b64 s[0:1], s[10:11]
	s_xor_b64 s[0:1], exec, s[0:1]
	s_cbranch_execz .LBB58_50
; %bb.47:
	v_cmp_eq_u32_e32 vcc, v14, v4
	s_and_saveexec_b64 s[4:5], vcc
	s_cbranch_execz .LBB58_49
; %bb.48:
	v_mul_u32_u24_e32 v1, 34, v4
	v_mov_b32_e32 v2, 0
	v_lshlrev_b32_e32 v1, 4, v1
	v_mov_b32_e32 v3, v2
	ds_write_b64 v1, v[2:3] offset:8
.LBB58_49:
	s_or_b64 exec, exec, s[4:5]
.LBB58_50:
	s_andn2_saveexec_b64 s[0:1], s[0:1]
	s_cbranch_execz .LBB58_52
; %bb.51:
	v_mul_u32_u24_e32 v1, 33, v14
	v_add_lshl_u32 v1, v1, v4, 4
	ds_read_b128 v[16:19], v1
	s_waitcnt lgkmcnt(0)
	v_xor_b32_e32 v19, 0x80000000, v19
	ds_write_b128 v10, v[16:19] offset:32
.LBB58_52:
	s_or_b64 exec, exec, s[0:1]
	v_or_b32_e32 v15, 3, v12
	v_cmp_ge_u32_e64 s[12:13], v15, v4
	s_and_saveexec_b64 s[0:1], s[12:13]
	s_xor_b64 s[0:1], exec, s[0:1]
	s_cbranch_execz .LBB58_56
; %bb.53:
	v_cmp_eq_u32_e32 vcc, v15, v4
	s_and_saveexec_b64 s[4:5], vcc
	s_cbranch_execz .LBB58_55
; %bb.54:
	v_mul_u32_u24_e32 v1, 34, v4
	v_mov_b32_e32 v2, 0
	v_lshlrev_b32_e32 v1, 4, v1
	v_mov_b32_e32 v3, v2
	ds_write_b64 v1, v[2:3] offset:8
.LBB58_55:
	s_or_b64 exec, exec, s[4:5]
.LBB58_56:
	s_andn2_saveexec_b64 s[0:1], s[0:1]
	s_cbranch_execz .LBB58_58
; %bb.57:
	v_mul_u32_u24_e32 v1, 33, v15
	v_add_lshl_u32 v1, v1, v4, 4
	ds_read_b128 v[16:19], v1
	s_waitcnt lgkmcnt(0)
	v_xor_b32_e32 v19, 0x80000000, v19
	ds_write_b128 v10, v[16:19] offset:48
.LBB58_58:
	s_or_b64 exec, exec, s[0:1]
	v_mul_u32_u24_e32 v1, 0x84, v5
	v_lshlrev_b32_e32 v17, 4, v12
	s_waitcnt lgkmcnt(0)
	s_barrier
	v_add_lshl_u32 v16, v1, v4, 4
	ds_read_b128 v[18:21], v17 offset:18176
	ds_read_b128 v[22:25], v17 offset:18192
	ds_read_b128 v[26:29], v16
	ds_read_b128 v[30:33], v17 offset:18208
	ds_read_b128 v[46:49], v17 offset:18224
	v_add_lshl_u32 v11, v0, v4, 4
	ds_read_b128 v[0:3], v11
	s_waitcnt lgkmcnt(3)
	v_mul_f64 v[8:9], v[20:21], v[28:29]
	v_fma_f64 v[8:9], v[18:19], v[26:27], -v[8:9]
	v_mul_f64 v[18:19], v[18:19], v[28:29]
	v_fmac_f64_e32 v[18:19], v[20:21], v[26:27]
	v_add_f64 v[26:27], v[18:19], 0
	s_waitcnt lgkmcnt(0)
	v_mul_f64 v[18:19], v[24:25], v[2:3]
	v_fma_f64 v[28:29], v[22:23], v[0:1], -v[18:19]
	v_mul_f64 v[2:3], v[22:23], v[2:3]
	ds_read_b128 v[18:21], v11 offset:528
	v_fmac_f64_e32 v[2:3], v[24:25], v[0:1]
	v_add_f64 v[22:23], v[26:27], v[2:3]
	ds_read_b128 v[0:3], v11 offset:1056
	v_add_f64 v[8:9], v[8:9], 0
	s_waitcnt lgkmcnt(1)
	v_mul_f64 v[24:25], v[32:33], v[20:21]
	v_mul_f64 v[20:21], v[30:31], v[20:21]
	v_fmac_f64_e32 v[20:21], v[32:33], v[18:19]
	v_add_f64 v[8:9], v[8:9], v[28:29]
	v_fma_f64 v[24:25], v[30:31], v[18:19], -v[24:25]
	v_add_f64 v[18:19], v[22:23], v[20:21]
	s_waitcnt lgkmcnt(0)
	v_mul_f64 v[20:21], v[48:49], v[2:3]
	v_mul_f64 v[2:3], v[46:47], v[2:3]
	v_add_f64 v[8:9], v[8:9], v[24:25]
	v_fma_f64 v[20:21], v[46:47], v[0:1], -v[20:21]
	v_fmac_f64_e32 v[2:3], v[48:49], v[0:1]
	v_add_f64 v[0:1], v[8:9], v[20:21]
	v_add_f64 v[2:3], v[18:19], v[2:3]
	v_add_lshl_u32 v45, v5, v44, 4
	s_barrier
	ds_write_b128 v45, v[0:3]
	v_mov_b64_e32 v[0:1], 0
	v_cmp_gt_u32_e64 s[4:5], 32, v43
	v_mov_b64_e32 v[2:3], v[0:1]
	s_waitcnt lgkmcnt(0)
	s_barrier
	s_and_saveexec_b64 s[0:1], s[4:5]
	s_cbranch_execz .LBB58_60
; %bb.59:
	v_lshlrev_b32_e32 v30, 4, v44
	ds_read_b128 v[0:3], v30
	ds_read_b128 v[18:21], v30 offset:16
	ds_read_b128 v[22:25], v30 offset:32
	;; [unrolled: 1-line block ×3, first 2 shown]
	s_waitcnt lgkmcnt(2)
	v_add_f64 v[0:1], v[18:19], v[0:1]
	v_add_f64 v[8:9], v[20:21], v[2:3]
	s_waitcnt lgkmcnt(1)
	v_add_f64 v[18:19], v[0:1], v[22:23]
	ds_read_b128 v[0:3], v30 offset:64
	v_add_f64 v[8:9], v[8:9], v[24:25]
	s_waitcnt lgkmcnt(1)
	v_add_f64 v[22:23], v[18:19], v[26:27]
	ds_read_b128 v[18:21], v30 offset:80
	;; [unrolled: 4-line block ×3, first 2 shown]
	v_add_f64 v[8:9], v[8:9], v[2:3]
	ds_read_b128 v[0:3], v30 offset:112
	s_waitcnt lgkmcnt(2)
	v_add_f64 v[18:19], v[26:27], v[18:19]
	v_add_f64 v[8:9], v[8:9], v[20:21]
	s_waitcnt lgkmcnt(1)
	v_add_f64 v[18:19], v[18:19], v[22:23]
	v_add_f64 v[8:9], v[8:9], v[24:25]
	;; [unrolled: 3-line block ×3, first 2 shown]
.LBB58_60:
	s_or_b64 exec, exec, s[0:1]
	s_lshl_b32 s38, s26, 5
	s_ashr_i32 s39, s38, 31
	v_lshl_add_u64 v[8:9], s[38:39], 4, v[6:7]
	s_mov_b64 s[0:1], 0x200
	v_cndmask_b32_e64 v6, 0, 1, s[36:37]
	v_cmp_ne_u32_e64 s[14:15], 1, v6
	s_andn2_b64 vcc, exec, s[36:37]
	v_lshl_add_u64 v[6:7], v[8:9], 0, s[0:1]
	s_barrier
	s_cbranch_vccnz .LBB58_62
; %bb.61:
	flat_load_dwordx4 v[18:21], v[6:7]
	v_mul_u32_u24_e32 v22, 33, v5
	s_lshl_b32 s0, s26, 3
	v_add_lshl_u32 v22, v22, v4, 4
	s_ashr_i32 s1, s0, 31
	v_lshl_add_u64 v[8:9], s[0:1], 4, v[8:9]
	s_ashr_i32 s27, s26, 31
	s_lshl_b64 s[0:1], s[26:27], 7
	v_add_u32_e32 v23, 0x1080, v22
	s_waitcnt vmcnt(0) lgkmcnt(0)
	ds_write2_b64 v22, v[18:19], v[20:21] offset1:1
	flat_load_dwordx4 v[18:21], v[8:9] offset:512
	v_lshl_add_u64 v[8:9], v[8:9], 0, s[0:1]
	s_waitcnt vmcnt(0) lgkmcnt(0)
	ds_write2_b64 v23, v[18:19], v[20:21] offset1:1
	flat_load_dwordx4 v[18:21], v[8:9] offset:512
	v_add_u32_e32 v23, 0x2100, v22
	v_lshl_add_u64 v[8:9], v[8:9], 0, s[0:1]
	s_waitcnt vmcnt(0) lgkmcnt(0)
	ds_write2_b64 v23, v[18:19], v[20:21] offset1:1
	flat_load_dwordx4 v[18:21], v[8:9] offset:512
	v_add_u32_e32 v8, 0x3180, v22
	s_waitcnt vmcnt(0) lgkmcnt(0)
	ds_write2_b64 v8, v[18:19], v[20:21] offset1:1
	s_cbranch_execz .LBB58_63
	s_branch .LBB58_80
.LBB58_62:
.LBB58_63:
	v_or_b32_e32 v18, 32, v4
	v_lshlrev_b32_e32 v8, 4, v18
	v_sub_co_u32_e32 v8, vcc, v6, v8
	s_ashr_i32 s25, s24, 31
	s_nop 0
	v_subbrev_co_u32_e32 v9, vcc, 0, v7, vcc
	v_lshl_add_u64 v[8:9], s[24:25], 4, v[8:9]
	v_lshl_add_u64 v[8:9], v[8:9], 0, -16
	v_cmp_gt_i32_e32 vcc, s24, v18
	s_sub_i32 s27, s24, 32
	v_mul_u32_u24_e32 v18, 33, v5
	v_cndmask_b32_e32 v9, v9, v7, vcc
	v_cndmask_b32_e32 v8, v8, v6, vcc
	v_cmp_le_i32_e64 s[0:1], s27, v5
	v_add_lshl_u32 v18, v18, v4, 4
	s_and_saveexec_b64 s[36:37], s[0:1]
	s_xor_b64 s[0:1], exec, s[36:37]
	s_cbranch_execz .LBB58_65
; %bb.64:
	v_mov_b32_e32 v20, 0
	v_mov_b32_e32 v21, v20
	;; [unrolled: 1-line block ×4, first 2 shown]
	ds_write_b128 v18, v[20:23]
.LBB58_65:
	s_andn2_saveexec_b64 s[0:1], s[0:1]
	s_cbranch_execz .LBB58_67
; %bb.66:
	flat_load_dwordx4 v[20:23], v[8:9]
	s_waitcnt vmcnt(0) lgkmcnt(0)
	ds_write2_b64 v18, v[20:21], v[22:23] offset1:1
.LBB58_67:
	s_or_b64 exec, exec, s[0:1]
	v_add_u32_e32 v19, 8, v5
	v_cmp_le_i32_e64 s[0:1], s27, v19
	s_and_saveexec_b64 s[36:37], s[0:1]
	s_xor_b64 s[0:1], exec, s[36:37]
	s_cbranch_execz .LBB58_69
; %bb.68:
	v_mul_u32_u24_e32 v19, 33, v19
	v_mov_b32_e32 v20, 0
	v_add_lshl_u32 v19, v19, v4, 4
	v_mov_b32_e32 v21, v20
	v_mov_b32_e32 v22, v20
	;; [unrolled: 1-line block ×3, first 2 shown]
	ds_write_b128 v19, v[20:23]
.LBB58_69:
	s_andn2_saveexec_b64 s[0:1], s[0:1]
	s_cbranch_execz .LBB58_71
; %bb.70:
	s_lshl_b32 s36, s26, 3
	s_ashr_i32 s37, s36, 31
	v_lshl_add_u64 v[20:21], s[36:37], 4, v[8:9]
	flat_load_dwordx4 v[20:23], v[20:21]
	v_add_u32_e32 v19, 0x1080, v18
	s_waitcnt vmcnt(0) lgkmcnt(0)
	ds_write2_b64 v19, v[20:21], v[22:23] offset1:1
.LBB58_71:
	s_or_b64 exec, exec, s[0:1]
	v_add_u32_e32 v19, 16, v5
	v_cmp_le_i32_e64 s[0:1], s27, v19
	s_and_saveexec_b64 s[36:37], s[0:1]
	s_xor_b64 s[0:1], exec, s[36:37]
	s_cbranch_execz .LBB58_73
; %bb.72:
	v_mul_u32_u24_e32 v19, 33, v19
	v_mov_b32_e32 v20, 0
	v_add_lshl_u32 v19, v19, v4, 4
	v_mov_b32_e32 v21, v20
	v_mov_b32_e32 v22, v20
	v_mov_b32_e32 v23, v20
	ds_write_b128 v19, v[20:23]
.LBB58_73:
	s_andn2_saveexec_b64 s[0:1], s[0:1]
	s_cbranch_execz .LBB58_75
; %bb.74:
	s_lshl_b32 s36, s26, 4
	s_ashr_i32 s37, s36, 31
	v_lshl_add_u64 v[20:21], s[36:37], 4, v[8:9]
	flat_load_dwordx4 v[20:23], v[20:21]
	v_add_u32_e32 v19, 0x2100, v18
	s_waitcnt vmcnt(0) lgkmcnt(0)
	ds_write2_b64 v19, v[20:21], v[22:23] offset1:1
.LBB58_75:
	s_or_b64 exec, exec, s[0:1]
	v_add_u32_e32 v19, 24, v5
	v_cmp_le_i32_e64 s[0:1], s27, v19
	s_and_saveexec_b64 s[36:37], s[0:1]
	s_xor_b64 s[0:1], exec, s[36:37]
	s_cbranch_execz .LBB58_77
; %bb.76:
	v_mov_b32_e32 v20, 0
	v_mov_b32_e32 v21, v20
	;; [unrolled: 1-line block ×4, first 2 shown]
	ds_write_b128 v18, v[20:23] offset:12672
                                        ; implicit-def: $vgpr18
.LBB58_77:
	s_andn2_saveexec_b64 s[0:1], s[0:1]
	s_cbranch_execz .LBB58_79
; %bb.78:
	s_mul_i32 s36, s26, 24
	s_ashr_i32 s37, s36, 31
	v_lshl_add_u64 v[20:21], s[36:37], 4, v[8:9]
	flat_load_dwordx4 v[20:23], v[20:21]
	v_add_u32_e32 v18, 0x3180, v18
	s_waitcnt vmcnt(0) lgkmcnt(0)
	ds_write2_b64 v18, v[20:21], v[22:23] offset1:1
.LBB58_79:
	s_or_b64 exec, exec, s[0:1]
	v_lshlrev_b32_e32 v18, 4, v4
	v_mov_b32_e32 v19, 0
	v_lshl_add_u64 v[8:9], v[8:9], 0, v[18:19]
	s_lshl_b64 s[0:1], s[24:25], 4
	v_mov_b32_e32 v18, s1
	v_subrev_co_u32_e64 v8, s[0:1], s0, v8
	s_nop 1
	v_subb_co_u32_e64 v9, s[0:1], v9, v18, s[0:1]
	s_mov_b64 s[0:1], 0x210
	s_nop 0
	v_lshl_add_u64 v[8:9], v[8:9], 0, s[0:1]
	v_cndmask_b32_e32 v7, v9, v7, vcc
	v_cndmask_b32_e32 v6, v8, v6, vcc
.LBB58_80:
	v_add_u32_e32 v8, 0x4700, v17
	s_waitcnt lgkmcnt(0)
	s_barrier
	s_and_saveexec_b64 s[0:1], s[6:7]
	s_xor_b64 s[0:1], exec, s[0:1]
	s_cbranch_execnz .LBB58_93
; %bb.81:
	s_andn2_saveexec_b64 s[0:1], s[0:1]
	s_cbranch_execnz .LBB58_96
.LBB58_82:
	s_or_b64 exec, exec, s[0:1]
	s_and_saveexec_b64 s[0:1], s[8:9]
	s_xor_b64 s[0:1], exec, s[0:1]
	s_cbranch_execnz .LBB58_97
.LBB58_83:
	s_andn2_saveexec_b64 s[0:1], s[0:1]
	s_cbranch_execnz .LBB58_100
.LBB58_84:
	s_or_b64 exec, exec, s[0:1]
	s_and_saveexec_b64 s[0:1], s[10:11]
	s_xor_b64 s[0:1], exec, s[0:1]
	s_cbranch_execnz .LBB58_101
.LBB58_85:
	s_andn2_saveexec_b64 s[0:1], s[0:1]
	s_cbranch_execnz .LBB58_104
.LBB58_86:
	s_or_b64 exec, exec, s[0:1]
	s_and_saveexec_b64 s[0:1], s[12:13]
	s_xor_b64 s[0:1], exec, s[0:1]
	s_cbranch_execnz .LBB58_105
.LBB58_87:
	s_andn2_saveexec_b64 s[0:1], s[0:1]
	s_cbranch_execz .LBB58_89
.LBB58_88:
	ds_read_b128 v[12:15], v11 offset:1056
	s_waitcnt lgkmcnt(0)
	v_xor_b32_e32 v15, 0x80000000, v15
	ds_write_b128 v10, v[12:15] offset:48
.LBB58_89:
	s_or_b64 exec, exec, s[0:1]
	s_waitcnt lgkmcnt(0)
	s_barrier
	ds_read_b128 v[12:15], v8 offset:512
	ds_read_b128 v[16:19], v16
	ds_read_b128 v[20:23], v8 offset:528
	ds_read_b128 v[24:27], v8 offset:544
	v_cmp_eq_u32_e64 s[6:7], 1, v5
	s_waitcnt lgkmcnt(2)
	v_mul_f64 v[28:29], v[14:15], v[18:19]
	v_fma_f64 v[40:41], v[12:13], v[16:17], -v[28:29]
	ds_read_b128 v[28:31], v8 offset:560
	ds_read_b128 v[32:35], v11
	v_mul_f64 v[12:13], v[12:13], v[18:19]
	v_fmac_f64_e32 v[12:13], v[14:15], v[16:17]
	v_add_f64 v[18:19], v[12:13], 0
	v_add_f64 v[16:17], v[40:41], 0
	s_waitcnt lgkmcnt(0)
	v_mul_f64 v[12:13], v[22:23], v[34:35]
	v_fma_f64 v[40:41], v[20:21], v[32:33], -v[12:13]
	v_mul_f64 v[20:21], v[20:21], v[34:35]
	ds_read_b128 v[12:15], v11 offset:528
	v_fmac_f64_e32 v[20:21], v[22:23], v[32:33]
	v_add_f64 v[22:23], v[16:17], v[40:41]
	v_add_f64 v[20:21], v[18:19], v[20:21]
	ds_read_b128 v[16:19], v11 offset:1056
	s_waitcnt lgkmcnt(1)
	v_mul_f64 v[32:33], v[26:27], v[14:15]
	v_mul_f64 v[14:15], v[24:25], v[14:15]
	v_fmac_f64_e32 v[14:15], v[26:27], v[12:13]
	v_fma_f64 v[32:33], v[24:25], v[12:13], -v[32:33]
	v_add_f64 v[14:15], v[20:21], v[14:15]
	s_waitcnt lgkmcnt(0)
	v_mul_f64 v[20:21], v[30:31], v[18:19]
	v_mul_f64 v[18:19], v[28:29], v[18:19]
	v_add_f64 v[12:13], v[22:23], v[32:33]
	v_fma_f64 v[20:21], v[28:29], v[16:17], -v[20:21]
	v_fmac_f64_e32 v[18:19], v[30:31], v[16:17]
	v_add_f64 v[12:13], v[12:13], v[20:21]
	v_add_f64 v[14:15], v[14:15], v[18:19]
	s_barrier
	ds_write_b128 v45, v[12:15]
	s_waitcnt lgkmcnt(0)
	s_barrier
	s_and_saveexec_b64 s[0:1], s[6:7]
	s_cbranch_execz .LBB58_91
; %bb.90:
	v_lshlrev_b32_e32 v9, 4, v44
	ds_read_b128 v[0:3], v9
	ds_read_b128 v[12:15], v9 offset:16
	ds_read_b128 v[16:19], v9 offset:32
	;; [unrolled: 1-line block ×3, first 2 shown]
	s_waitcnt lgkmcnt(2)
	v_add_f64 v[0:1], v[12:13], v[0:1]
	v_add_f64 v[12:13], v[14:15], v[2:3]
	s_waitcnt lgkmcnt(1)
	v_add_f64 v[14:15], v[0:1], v[16:17]
	ds_read_b128 v[0:3], v9 offset:64
	v_add_f64 v[12:13], v[12:13], v[18:19]
	s_waitcnt lgkmcnt(1)
	v_add_f64 v[16:17], v[14:15], v[20:21]
	v_add_f64 v[20:21], v[12:13], v[22:23]
	ds_read_b128 v[12:15], v9 offset:80
	s_waitcnt lgkmcnt(1)
	v_add_f64 v[22:23], v[16:17], v[0:1]
	ds_read_b128 v[16:19], v9 offset:96
	v_add_f64 v[20:21], v[20:21], v[2:3]
	ds_read_b128 v[0:3], v9 offset:112
	s_waitcnt lgkmcnt(2)
	v_add_f64 v[12:13], v[22:23], v[12:13]
	v_add_f64 v[14:15], v[20:21], v[14:15]
	s_waitcnt lgkmcnt(1)
	v_add_f64 v[12:13], v[12:13], v[16:17]
	v_add_f64 v[14:15], v[14:15], v[18:19]
	;; [unrolled: 3-line block ×3, first 2 shown]
.LBB58_91:
	s_or_b64 exec, exec, s[0:1]
	s_lshl_b64 s[0:1], s[38:39], 4
	v_mov_b32_e32 v9, s1
	v_subrev_co_u32_e64 v40, s[0:1], s0, v6
	s_and_b64 vcc, exec, s[14:15]
	s_nop 0
	v_subb_co_u32_e64 v41, s[0:1], v7, v9, s[0:1]
	s_barrier
	s_cbranch_vccnz .LBB58_108
; %bb.92:
	flat_load_dwordx4 v[12:15], v[40:41]
	v_mad_u32_u24 v9, v5, 33, v4
	s_lshl_b32 s0, s26, 3
	v_lshlrev_b32_e32 v20, 4, v9
	s_ashr_i32 s1, s0, 31
	v_lshl_add_u64 v[6:7], s[0:1], 4, v[40:41]
	s_ashr_i32 s27, s26, 31
	s_lshl_b64 s[0:1], s[26:27], 7
	v_add_u32_e32 v11, 0x1080, v20
	s_waitcnt vmcnt(0) lgkmcnt(0)
	ds_write2_b64 v20, v[12:13], v[14:15] offset1:1
	flat_load_dwordx4 v[12:15], v[6:7]
	v_lshl_add_u64 v[6:7], v[6:7], 0, s[0:1]
	s_waitcnt vmcnt(0) lgkmcnt(0)
	ds_write2_b64 v11, v[12:13], v[14:15] offset1:1
	flat_load_dwordx4 v[12:15], v[6:7]
	v_add_u32_e32 v11, 0x2100, v20
	v_lshl_add_u64 v[6:7], v[6:7], 0, s[0:1]
	s_waitcnt vmcnt(0) lgkmcnt(0)
	ds_write2_b64 v11, v[12:13], v[14:15] offset1:1
	flat_load_dwordx4 v[16:19], v[6:7]
	v_add_u32_e32 v11, 8, v5
	v_add_u32_e32 v12, 16, v5
	;; [unrolled: 1-line block ×7, first 2 shown]
	s_waitcnt vmcnt(0) lgkmcnt(0)
	ds_write2_b64 v15, v[16:17], v[18:19] offset1:1
	s_cbranch_execz .LBB58_109
	s_branch .LBB58_126
.LBB58_93:
	v_cmp_eq_u32_e32 vcc, v12, v4
	s_and_saveexec_b64 s[6:7], vcc
	s_cbranch_execz .LBB58_95
; %bb.94:
	v_mul_u32_u24_e32 v9, 34, v4
	v_mov_b32_e32 v18, 0
	v_lshlrev_b32_e32 v9, 4, v9
	v_mov_b32_e32 v19, v18
	ds_write_b64 v9, v[18:19] offset:8
.LBB58_95:
	s_or_b64 exec, exec, s[6:7]
	s_andn2_saveexec_b64 s[0:1], s[0:1]
	s_cbranch_execz .LBB58_82
.LBB58_96:
	ds_read_b128 v[18:21], v16
	s_waitcnt lgkmcnt(0)
	v_xor_b32_e32 v21, 0x80000000, v21
	ds_write_b128 v10, v[18:21]
	s_or_b64 exec, exec, s[0:1]
	s_and_saveexec_b64 s[0:1], s[8:9]
	s_xor_b64 s[0:1], exec, s[0:1]
	s_cbranch_execz .LBB58_83
.LBB58_97:
	v_cmp_eq_u32_e32 vcc, v13, v4
	s_and_saveexec_b64 s[6:7], vcc
	s_cbranch_execz .LBB58_99
; %bb.98:
	v_mul_u32_u24_e32 v9, 34, v4
	v_mov_b32_e32 v12, 0
	v_lshlrev_b32_e32 v9, 4, v9
	v_mov_b32_e32 v13, v12
	ds_write_b64 v9, v[12:13] offset:8
.LBB58_99:
	s_or_b64 exec, exec, s[6:7]
	s_andn2_saveexec_b64 s[0:1], s[0:1]
	s_cbranch_execz .LBB58_84
.LBB58_100:
	ds_read_b128 v[18:21], v11
	s_waitcnt lgkmcnt(0)
	v_xor_b32_e32 v21, 0x80000000, v21
	ds_write_b128 v10, v[18:21] offset:16
	s_or_b64 exec, exec, s[0:1]
	s_and_saveexec_b64 s[0:1], s[10:11]
	s_xor_b64 s[0:1], exec, s[0:1]
	s_cbranch_execz .LBB58_85
.LBB58_101:
	v_cmp_eq_u32_e32 vcc, v14, v4
	s_and_saveexec_b64 s[6:7], vcc
	s_cbranch_execz .LBB58_103
; %bb.102:
	v_mul_u32_u24_e32 v9, 34, v4
	v_mov_b32_e32 v12, 0
	v_lshlrev_b32_e32 v9, 4, v9
	v_mov_b32_e32 v13, v12
	ds_write_b64 v9, v[12:13] offset:8
.LBB58_103:
	s_or_b64 exec, exec, s[6:7]
	s_andn2_saveexec_b64 s[0:1], s[0:1]
	s_cbranch_execz .LBB58_86
.LBB58_104:
	ds_read_b128 v[18:21], v11 offset:528
	s_waitcnt lgkmcnt(0)
	v_xor_b32_e32 v21, 0x80000000, v21
	ds_write_b128 v10, v[18:21] offset:32
	s_or_b64 exec, exec, s[0:1]
	s_and_saveexec_b64 s[0:1], s[12:13]
	s_xor_b64 s[0:1], exec, s[0:1]
	s_cbranch_execz .LBB58_87
.LBB58_105:
	v_cmp_eq_u32_e32 vcc, v15, v4
	s_and_saveexec_b64 s[6:7], vcc
	s_cbranch_execz .LBB58_107
; %bb.106:
	v_mul_u32_u24_e32 v9, 34, v4
	v_mov_b32_e32 v12, 0
	v_lshlrev_b32_e32 v9, 4, v9
	v_mov_b32_e32 v13, v12
	ds_write_b64 v9, v[12:13] offset:8
.LBB58_107:
	s_or_b64 exec, exec, s[6:7]
	s_andn2_saveexec_b64 s[0:1], s[0:1]
	s_cbranch_execnz .LBB58_88
	s_branch .LBB58_89
.LBB58_108:
                                        ; implicit-def: $vgpr9
                                        ; implicit-def: $vgpr11
                                        ; implicit-def: $vgpr7
                                        ; implicit-def: $vgpr12
                                        ; implicit-def: $vgpr6
                                        ; implicit-def: $vgpr13
                                        ; implicit-def: $vgpr14
.LBB58_109:
	v_or_b32_e32 v9, 32, v4
	v_lshlrev_b32_e32 v6, 4, v9
	v_sub_co_u32_e32 v6, vcc, v40, v6
	s_ashr_i32 s25, s24, 31
	s_nop 0
	v_subbrev_co_u32_e32 v7, vcc, 0, v41, vcc
	v_lshl_add_u64 v[6:7], s[24:25], 4, v[6:7]
	v_lshl_add_u64 v[6:7], v[6:7], 0, -16
	v_cmp_gt_i32_e32 vcc, s24, v9
	v_mad_u32_u24 v9, v5, 33, v4
	v_cmp_le_i32_e64 s[0:1], s24, v5
	v_cndmask_b32_e32 v7, v7, v41, vcc
	v_cndmask_b32_e32 v6, v6, v40, vcc
	v_lshlrev_b32_e32 v15, 4, v9
	s_and_saveexec_b64 s[8:9], s[0:1]
	s_xor_b64 s[0:1], exec, s[8:9]
	s_cbranch_execz .LBB58_111
; %bb.110:
	v_mov_b32_e32 v16, 0
	v_mov_b32_e32 v17, v16
	;; [unrolled: 1-line block ×4, first 2 shown]
	ds_write_b128 v15, v[16:19]
.LBB58_111:
	s_andn2_saveexec_b64 s[0:1], s[0:1]
	s_cbranch_execz .LBB58_113
; %bb.112:
	flat_load_dwordx4 v[16:19], v[6:7]
	s_waitcnt vmcnt(0) lgkmcnt(0)
	ds_write2_b64 v15, v[16:17], v[18:19] offset1:1
.LBB58_113:
	s_or_b64 exec, exec, s[0:1]
	v_add_u32_e32 v11, 8, v5
	v_cmp_le_i32_e64 s[0:1], s24, v11
	s_and_saveexec_b64 s[8:9], s[0:1]
	s_xor_b64 s[0:1], exec, s[8:9]
	s_cbranch_execz .LBB58_115
; %bb.114:
	v_mul_u32_u24_e32 v12, 33, v11
	v_mov_b32_e32 v16, 0
	v_add_lshl_u32 v12, v12, v4, 4
	v_mov_b32_e32 v17, v16
	v_mov_b32_e32 v18, v16
	;; [unrolled: 1-line block ×3, first 2 shown]
	ds_write_b128 v12, v[16:19]
.LBB58_115:
	s_andn2_saveexec_b64 s[0:1], s[0:1]
	s_cbranch_execz .LBB58_117
; %bb.116:
	s_lshl_b32 s8, s26, 3
	s_ashr_i32 s9, s8, 31
	v_lshl_add_u64 v[12:13], s[8:9], 4, v[6:7]
	flat_load_dwordx4 v[16:19], v[12:13]
	v_add_u32_e32 v12, 0x1080, v15
	s_waitcnt vmcnt(0) lgkmcnt(0)
	ds_write2_b64 v12, v[16:17], v[18:19] offset1:1
.LBB58_117:
	s_or_b64 exec, exec, s[0:1]
	v_add_u32_e32 v12, 16, v5
	v_cmp_le_i32_e64 s[0:1], s24, v12
	s_and_saveexec_b64 s[8:9], s[0:1]
	s_xor_b64 s[0:1], exec, s[8:9]
	s_cbranch_execz .LBB58_119
; %bb.118:
	v_mul_u32_u24_e32 v13, 33, v12
	v_mov_b32_e32 v16, 0
	v_add_lshl_u32 v13, v13, v4, 4
	v_mov_b32_e32 v17, v16
	v_mov_b32_e32 v18, v16
	;; [unrolled: 1-line block ×3, first 2 shown]
	ds_write_b128 v13, v[16:19]
.LBB58_119:
	s_andn2_saveexec_b64 s[0:1], s[0:1]
	s_cbranch_execz .LBB58_121
; %bb.120:
	s_lshl_b32 s8, s26, 4
	s_ashr_i32 s9, s8, 31
	v_lshl_add_u64 v[16:17], s[8:9], 4, v[6:7]
	flat_load_dwordx4 v[16:19], v[16:17]
	v_add_u32_e32 v13, 0x2100, v15
	s_waitcnt vmcnt(0) lgkmcnt(0)
	ds_write2_b64 v13, v[16:17], v[18:19] offset1:1
.LBB58_121:
	s_or_b64 exec, exec, s[0:1]
	v_add_u32_e32 v13, 24, v5
	v_cmp_le_i32_e64 s[0:1], s24, v13
                                        ; implicit-def: $vgpr14
	s_and_saveexec_b64 s[8:9], s[0:1]
	s_xor_b64 s[0:1], exec, s[8:9]
	s_cbranch_execz .LBB58_123
; %bb.122:
	v_mad_u32_u24 v14, v13, 33, v4
	v_mov_b32_e32 v16, 0
	v_lshlrev_b32_e32 v15, 4, v14
	v_mov_b32_e32 v17, v16
	v_mov_b32_e32 v18, v16
	;; [unrolled: 1-line block ×3, first 2 shown]
	ds_write_b128 v15, v[16:19]
                                        ; implicit-def: $vgpr15
.LBB58_123:
	s_andn2_saveexec_b64 s[0:1], s[0:1]
	s_cbranch_execz .LBB58_125
; %bb.124:
	s_mul_i32 s8, s26, 24
	s_ashr_i32 s9, s8, 31
	v_lshl_add_u64 v[16:17], s[8:9], 4, v[6:7]
	flat_load_dwordx4 v[16:19], v[16:17]
	v_add_u32_e32 v14, 0x318, v9
	v_add_u32_e32 v15, 0x3180, v15
	s_waitcnt vmcnt(0) lgkmcnt(0)
	ds_write2_b64 v15, v[16:17], v[18:19] offset1:1
.LBB58_125:
	s_or_b64 exec, exec, s[0:1]
	v_lshlrev_b32_e32 v16, 4, v4
	v_mov_b32_e32 v17, 0
	v_lshl_add_u64 v[6:7], v[6:7], 0, v[16:17]
	s_lshl_b64 s[0:1], s[24:25], 4
	v_mov_b32_e32 v4, s1
	v_subrev_co_u32_e64 v6, s[0:1], s0, v6
	s_nop 1
	v_subb_co_u32_e64 v7, s[0:1], v7, v4, s[0:1]
	s_mov_b64 s[0:1], 0x210
	s_nop 0
	v_lshl_add_u64 v[6:7], v[6:7], 0, s[0:1]
	v_cndmask_b32_e32 v41, v7, v41, vcc
	v_cndmask_b32_e32 v40, v6, v40, vcc
	v_add_u32_e32 v7, 0x108, v9
	v_add_u32_e32 v6, 0x210, v9
.LBB58_126:
	v_lshlrev_b32_e32 v5, 4, v5
	s_waitcnt lgkmcnt(0)
	s_barrier
	v_lshlrev_b32_e32 v4, 4, v9
	ds_read_b128 v[46:49], v5 offset:18176
	ds_read_b128 v[50:53], v4
	v_lshlrev_b32_e32 v5, 4, v11
	v_lshlrev_b32_e32 v4, 4, v7
	ds_read_b128 v[54:57], v5 offset:18176
	ds_read_b128 v[58:61], v4
	v_lshlrev_b32_e32 v7, 4, v12
	;; [unrolled: 4-line block ×3, first 2 shown]
	v_lshlrev_b32_e32 v6, 4, v14
	ds_read_b128 v[70:73], v7 offset:18176
	ds_read_b128 v[74:77], v6
	s_waitcnt lgkmcnt(6)
	v_mul_f64 v[4:5], v[48:49], v[52:53]
	v_fma_f64 v[4:5], v[46:47], v[50:51], -v[4:5]
	s_waitcnt lgkmcnt(4)
	v_mul_f64 v[16:17], v[56:57], v[60:61]
	v_add_f64 v[4:5], v[4:5], 0
	v_fma_f64 v[16:17], v[54:55], v[58:59], -v[16:17]
	s_waitcnt lgkmcnt(2)
	v_mul_f64 v[6:7], v[64:65], v[68:69]
	v_add_f64 v[4:5], v[4:5], v[16:17]
	v_fma_f64 v[6:7], v[62:63], v[66:67], -v[6:7]
	v_add_f64 v[4:5], v[4:5], v[6:7]
	s_waitcnt lgkmcnt(0)
	v_mul_f64 v[6:7], v[72:73], v[76:77]
	v_fma_f64 v[6:7], v[70:71], v[74:75], -v[6:7]
	v_add_f64 v[78:79], v[4:5], v[6:7]
	ds_read_b128 v[28:31], v10
	ds_read_b128 v[20:23], v10 offset:16
	ds_read_b128 v[12:15], v10 offset:32
	ds_read_b128 v[4:7], v10 offset:48
	ds_read_b128 v[32:35], v8 offset:512
	ds_read_b128 v[24:27], v8 offset:528
	ds_read_b128 v[16:19], v8 offset:544
	ds_read_b128 v[8:11], v8 offset:560
	v_mul_f64 v[46:47], v[46:47], v[52:53]
	v_fmac_f64_e32 v[46:47], v[48:49], v[50:51]
	v_mul_f64 v[48:49], v[54:55], v[60:61]
	v_add_f64 v[46:47], v[46:47], 0
	v_fmac_f64_e32 v[48:49], v[56:57], v[58:59]
	v_add_f64 v[46:47], v[46:47], v[48:49]
	v_mul_f64 v[48:49], v[62:63], v[68:69]
	v_fmac_f64_e32 v[48:49], v[64:65], v[66:67]
	v_add_f64 v[46:47], v[46:47], v[48:49]
	v_mul_f64 v[48:49], v[70:71], v[76:77]
	v_fmac_f64_e32 v[48:49], v[72:73], v[74:75]
	v_add_f64 v[80:81], v[46:47], v[48:49]
	s_waitcnt lgkmcnt(0)
	s_barrier
	ds_write_b128 v45, v[78:81]
	s_waitcnt lgkmcnt(0)
	s_barrier
	s_and_saveexec_b64 s[0:1], s[6:7]
	s_cbranch_execz .LBB58_128
; %bb.127:
	v_lshlrev_b32_e32 v62, 4, v44
	ds_read_b128 v[46:49], v62
	ds_read_b128 v[50:53], v62 offset:16
	ds_read_b128 v[54:57], v62 offset:32
	;; [unrolled: 1-line block ×3, first 2 shown]
	s_waitcnt lgkmcnt(3)
	v_add_f64 v[0:1], v[0:1], v[46:47]
	v_add_f64 v[2:3], v[2:3], v[48:49]
	s_waitcnt lgkmcnt(2)
	v_add_f64 v[0:1], v[0:1], v[50:51]
	v_add_f64 v[46:47], v[2:3], v[52:53]
	s_waitcnt lgkmcnt(1)
	v_add_f64 v[48:49], v[0:1], v[54:55]
	ds_read_b128 v[0:3], v62 offset:64
	v_add_f64 v[46:47], v[46:47], v[56:57]
	s_waitcnt lgkmcnt(1)
	v_add_f64 v[50:51], v[48:49], v[58:59]
	v_add_f64 v[54:55], v[46:47], v[60:61]
	ds_read_b128 v[46:49], v62 offset:80
	s_waitcnt lgkmcnt(1)
	v_add_f64 v[56:57], v[50:51], v[0:1]
	ds_read_b128 v[50:53], v62 offset:96
	v_add_f64 v[54:55], v[54:55], v[2:3]
	ds_read_b128 v[0:3], v62 offset:112
	s_waitcnt lgkmcnt(2)
	v_add_f64 v[46:47], v[56:57], v[46:47]
	v_add_f64 v[48:49], v[54:55], v[48:49]
	s_waitcnt lgkmcnt(1)
	v_add_f64 v[46:47], v[46:47], v[50:51]
	v_add_f64 v[48:49], v[48:49], v[52:53]
	;; [unrolled: 3-line block ×3, first 2 shown]
.LBB58_128:
	s_or_b64 exec, exec, s[0:1]
	v_mul_f64 v[46:47], v[30:31], v[34:35]
	v_mul_f64 v[30:31], v[30:31], v[32:33]
	v_fmac_f64_e32 v[46:47], v[28:29], v[32:33]
	v_fma_f64 v[28:29], v[28:29], v[34:35], -v[30:31]
	v_mul_f64 v[32:33], v[22:23], v[26:27]
	v_mul_f64 v[22:23], v[22:23], v[24:25]
	v_add_f64 v[30:31], v[46:47], 0
	v_add_f64 v[28:29], v[28:29], 0
	v_fmac_f64_e32 v[32:33], v[20:21], v[24:25]
	v_fma_f64 v[20:21], v[20:21], v[26:27], -v[22:23]
	v_mul_f64 v[24:25], v[14:15], v[18:19]
	v_mul_f64 v[14:15], v[14:15], v[16:17]
	v_add_f64 v[22:23], v[30:31], v[32:33]
	v_add_f64 v[20:21], v[28:29], v[20:21]
	;; [unrolled: 6-line block ×3, first 2 shown]
	v_fmac_f64_e32 v[16:17], v[4:5], v[8:9]
	v_fma_f64 v[6:7], v[4:5], v[10:11], -v[6:7]
	v_add_f64 v[4:5], v[14:15], v[16:17]
	v_add_f64 v[6:7], v[12:13], v[6:7]
	s_barrier
	ds_write_b128 v45, v[4:7]
	s_waitcnt lgkmcnt(0)
	s_barrier
	s_and_saveexec_b64 s[0:1], s[4:5]
	s_cbranch_execz .LBB58_130
; %bb.129:
	v_lshlrev_b32_e32 v20, 4, v44
	ds_read_b128 v[4:7], v20
	ds_read_b128 v[8:11], v20 offset:16
	ds_read_b128 v[12:15], v20 offset:32
	ds_read_b128 v[16:19], v20 offset:48
	s_waitcnt lgkmcnt(3)
	v_add_f64 v[0:1], v[0:1], v[4:5]
	v_add_f64 v[2:3], v[2:3], v[6:7]
	s_waitcnt lgkmcnt(2)
	v_add_f64 v[0:1], v[0:1], v[8:9]
	v_add_f64 v[4:5], v[2:3], v[10:11]
	s_waitcnt lgkmcnt(1)
	v_add_f64 v[6:7], v[0:1], v[12:13]
	ds_read_b128 v[0:3], v20 offset:64
	v_add_f64 v[4:5], v[4:5], v[14:15]
	s_waitcnt lgkmcnt(1)
	v_add_f64 v[8:9], v[6:7], v[16:17]
	v_add_f64 v[12:13], v[4:5], v[18:19]
	ds_read_b128 v[4:7], v20 offset:80
	s_waitcnt lgkmcnt(1)
	v_add_f64 v[14:15], v[8:9], v[0:1]
	ds_read_b128 v[8:11], v20 offset:96
	v_add_f64 v[12:13], v[12:13], v[2:3]
	ds_read_b128 v[0:3], v20 offset:112
	s_waitcnt lgkmcnt(2)
	v_add_f64 v[4:5], v[14:15], v[4:5]
	v_add_f64 v[6:7], v[12:13], v[6:7]
	s_waitcnt lgkmcnt(1)
	v_add_f64 v[4:5], v[4:5], v[8:9]
	v_add_f64 v[6:7], v[6:7], v[10:11]
	s_waitcnt lgkmcnt(0)
	v_add_f64 v[0:1], v[4:5], v[0:1]
	v_add_f64 v[2:3], v[6:7], v[2:3]
.LBB58_130:
	s_or_b64 exec, exec, s[0:1]
	s_mul_hi_u32 s0, s21, s20
	s_mul_i32 s40, s40, s20
	s_add_i32 s0, s0, s40
	s_mul_i32 s4, s21, s20
	s_mul_i32 s0, s0, s33
	s_mul_hi_u32 s1, s4, s33
	s_add_i32 s1, s1, s0
	s_mul_i32 s0, s4, s33
	s_lshl_b64 s[0:1], s[0:1], 4
	s_add_u32 s4, s22, s0
	s_mul_i32 s0, s2, s21
	s_addc_u32 s5, s23, s1
	s_ashr_i32 s1, s0, 31
	s_lshl_b64 s[0:1], s[0:1], 4
	s_add_u32 s6, s4, s0
	v_cmp_le_i32_e32 vcc, s24, v42
	s_addc_u32 s7, s5, s1
	s_and_b64 vcc, s[34:35], vcc
	s_cmp_lt_i32 s2, 1
	v_lshlrev_b32_e32 v140, 4, v42
	s_barrier
	s_cbranch_scc1 .LBB58_137
; %bb.131:
	s_mul_i32 s0, s28, s3
	s_ashr_i32 s1, s0, 31
	s_lshl_b64 s[0:1], s[0:1], 4
	v_mov_b32_e32 v4, s1
	v_subrev_co_u32_e64 v134, s[0:1], s0, v36
	s_ashr_i32 s25, s24, 31
	s_nop 0
	v_subb_co_u32_e64 v135, s[0:1], v37, v4, s[0:1]
	v_mov_b32_e32 v4, s31
	v_subrev_co_u32_e64 v6, s[0:1], s30, v40
	v_and_b32_e32 v10, 15, v42
	s_nop 0
	v_subb_co_u32_e64 v7, s[0:1], v41, v4, s[0:1]
	v_lshlrev_b64 v[4:5], 4, v[38:39]
	v_sub_co_u32_e64 v4, s[0:1], v6, v4
	v_mul_lo_u32 v6, v133, s26
	s_nop 0
	v_subb_co_u32_e64 v5, s[0:1], v7, v5, s[0:1]
	v_lshl_add_u32 v6, v6, 2, v42
	v_ashrrev_i32_e32 v7, 31, v6
	s_movk_i32 s0, 0xfe00
	v_lshl_add_u64 v[4:5], v[6:7], 4, v[4:5]
	s_mov_b32 s1, -1
	v_lshl_add_u64 v[4:5], v[4:5], 0, s[0:1]
	v_sub_co_u32_e64 v6, s[0:1], v4, v140
	s_ashr_i32 s27, s26, 31
	s_nop 0
	v_subbrev_co_u32_e64 v7, s[0:1], 0, v5, s[0:1]
	v_lshl_add_u64 v[6:7], s[24:25], 4, v[6:7]
	v_lshl_add_u64 v[6:7], v[6:7], 0, -16
	v_cndmask_b32_e32 v8, v4, v6, vcc
	v_and_b32_e32 v4, 48, v42
	v_cndmask_b32_e32 v9, v5, v7, vcc
	v_lshlrev_b32_e32 v5, 4, v4
	s_movk_i32 s0, 0x430
	v_mad_u32_u24 v143, v10, s0, v5
	v_or_b32_e32 v5, 0xf0, v140
	v_mad_u32_u24 v144, v10, s0, v5
	v_lshlrev_b32_e32 v5, 2, v43
	v_and_b32_e32 v5, 0x7ffc0, v5
	v_mad_u32_u24 v145, v10, s0, v5
	v_mov_b32_e32 v5, 0x4300
	v_lshl_add_u32 v146, v133, 6, v5
	s_movk_i32 s1, 0x10c0
	v_and_b32_e32 v5, 0x1fff0, v43
	v_mov_b32_e32 v137, 0
	s_lshl_b32 s3, s3, 6
	v_add_u32_e32 v141, 0x4300, v140
	v_add_u32_e32 v142, 0x4700, v140
	v_cmp_gt_u32_e64 s[4:5], 64, v43
	v_mad_u32_u24 v147, v133, s1, v140
	v_mad_u32_u24 v148, v10, s0, v5
	s_lshl_b64 s[0:1], s[26:27], 4
	s_mul_hi_i32 s9, s26, 0xd0
	s_mul_i32 s8, s26, 0xd0
	v_or_b32_e32 v136, v4, v10
	s_mov_b32 s10, 0
	s_branch .LBB58_133
.LBB58_132:                             ;   in Loop: Header=BB58_133 Depth=1
	s_or_b64 exec, exec, s[12:13]
	v_mul_f64 v[150:151], v[6:7], v[22:23]
	v_fma_f64 v[150:151], v[4:5], v[20:21], -v[150:151]
	v_mul_f64 v[4:5], v[4:5], v[22:23]
	v_mul_f64 v[22:23], v[10:11], v[42:43]
	v_add_f64 v[0:1], v[0:1], v[150:151]
	v_fma_f64 v[22:23], v[8:9], v[40:41], -v[22:23]
	v_add_f64 v[0:1], v[0:1], v[22:23]
	v_mul_f64 v[22:23], v[14:15], v[46:47]
	v_fma_f64 v[22:23], v[12:13], v[44:45], -v[22:23]
	v_add_f64 v[0:1], v[0:1], v[22:23]
	v_mul_f64 v[22:23], v[18:19], v[50:51]
	v_fmac_f64_e32 v[4:5], v[6:7], v[20:21]
	v_fma_f64 v[22:23], v[16:17], v[48:49], -v[22:23]
	v_add_f64 v[2:3], v[2:3], v[4:5]
	v_mul_f64 v[4:5], v[26:27], v[70:71]
	v_add_f64 v[0:1], v[0:1], v[22:23]
	v_fma_f64 v[4:5], v[24:25], v[68:69], -v[4:5]
	v_add_f64 v[0:1], v[0:1], v[4:5]
	v_mul_f64 v[4:5], v[30:31], v[82:83]
	v_fma_f64 v[4:5], v[28:29], v[80:81], -v[4:5]
	v_add_f64 v[0:1], v[0:1], v[4:5]
	v_mul_f64 v[4:5], v[38:39], v[78:79]
	v_fma_f64 v[4:5], v[36:37], v[76:77], -v[4:5]
	v_add_f64 v[0:1], v[0:1], v[4:5]
	v_mul_f64 v[4:5], v[34:35], v[74:75]
	v_fma_f64 v[4:5], v[32:33], v[72:73], -v[4:5]
	v_mul_f64 v[8:9], v[8:9], v[42:43]
	v_add_f64 v[0:1], v[0:1], v[4:5]
	v_mul_f64 v[4:5], v[66:67], v[102:103]
	v_mul_f64 v[12:13], v[12:13], v[46:47]
	v_fmac_f64_e32 v[8:9], v[10:11], v[40:41]
	v_fma_f64 v[4:5], v[64:65], v[100:101], -v[4:5]
	v_mul_f64 v[16:17], v[16:17], v[50:51]
	v_add_f64 v[2:3], v[2:3], v[8:9]
	v_fmac_f64_e32 v[12:13], v[14:15], v[44:45]
	v_add_f64 v[0:1], v[0:1], v[4:5]
	v_mul_f64 v[4:5], v[62:63], v[118:119]
	v_add_f64 v[2:3], v[2:3], v[12:13]
	v_fmac_f64_e32 v[16:17], v[18:19], v[48:49]
	v_mul_f64 v[6:7], v[24:25], v[70:71]
	v_fma_f64 v[4:5], v[60:61], v[116:117], -v[4:5]
	v_add_f64 v[2:3], v[2:3], v[16:17]
	v_mul_f64 v[8:9], v[28:29], v[82:83]
	v_fmac_f64_e32 v[6:7], v[26:27], v[68:69]
	v_add_f64 v[0:1], v[0:1], v[4:5]
	v_mul_f64 v[4:5], v[58:59], v[114:115]
	v_mul_f64 v[10:11], v[36:37], v[78:79]
	v_add_f64 v[2:3], v[2:3], v[6:7]
	v_fmac_f64_e32 v[8:9], v[30:31], v[80:81]
	v_fma_f64 v[4:5], v[56:57], v[112:113], -v[4:5]
	v_mul_f64 v[12:13], v[32:33], v[74:75]
	v_add_f64 v[2:3], v[2:3], v[8:9]
	v_fmac_f64_e32 v[10:11], v[38:39], v[76:77]
	v_add_f64 v[0:1], v[0:1], v[4:5]
	v_mul_f64 v[4:5], v[54:55], v[110:111]
	v_add_f64 v[2:3], v[2:3], v[10:11]
	v_fmac_f64_e32 v[12:13], v[34:35], v[72:73]
	v_mul_f64 v[6:7], v[64:65], v[102:103]
	v_fma_f64 v[4:5], v[52:53], v[108:109], -v[4:5]
	v_add_f64 v[2:3], v[2:3], v[12:13]
	v_mul_f64 v[8:9], v[60:61], v[118:119]
	v_add_f64 v[0:1], v[0:1], v[4:5]
	v_fmac_f64_e32 v[6:7], v[66:67], v[100:101]
	v_mul_f64 v[4:5], v[86:87], v[106:107]
	v_mul_f64 v[10:11], v[56:57], v[114:115]
	v_add_f64 v[2:3], v[2:3], v[6:7]
	v_fmac_f64_e32 v[8:9], v[62:63], v[116:117]
	v_fma_f64 v[4:5], v[84:85], v[104:105], -v[4:5]
	v_mul_f64 v[12:13], v[52:53], v[110:111]
	v_add_f64 v[2:3], v[2:3], v[8:9]
	v_fmac_f64_e32 v[10:11], v[58:59], v[112:113]
	v_add_f64 v[0:1], v[0:1], v[4:5]
	v_mul_f64 v[4:5], v[90:91], v[122:123]
	v_add_f64 v[2:3], v[2:3], v[10:11]
	v_fmac_f64_e32 v[12:13], v[54:55], v[108:109]
	v_mul_f64 v[6:7], v[84:85], v[106:107]
	v_fma_f64 v[4:5], v[88:89], v[120:121], -v[4:5]
	v_add_f64 v[2:3], v[2:3], v[12:13]
	v_mul_f64 v[8:9], v[88:89], v[122:123]
	v_add_f64 v[0:1], v[0:1], v[4:5]
	v_mul_f64 v[4:5], v[94:95], v[126:127]
	v_fmac_f64_e32 v[6:7], v[86:87], v[104:105]
	v_fma_f64 v[4:5], v[92:93], v[124:125], -v[4:5]
	v_mul_f64 v[10:11], v[92:93], v[126:127]
	v_fmac_f64_e32 v[8:9], v[90:91], v[120:121]
	v_add_f64 v[2:3], v[2:3], v[6:7]
	v_add_f64 v[0:1], v[0:1], v[4:5]
	v_mul_f64 v[4:5], v[98:99], v[130:131]
	v_mul_f64 v[12:13], v[96:97], v[130:131]
	v_fmac_f64_e32 v[10:11], v[94:95], v[124:125]
	v_add_f64 v[2:3], v[2:3], v[8:9]
	v_fma_f64 v[4:5], v[96:97], v[128:129], -v[4:5]
	v_fmac_f64_e32 v[12:13], v[98:99], v[128:129]
	v_add_f64 v[2:3], v[2:3], v[10:11]
	s_add_i32 s2, s2, -1
	s_add_i32 s10, s10, s3
	v_add_f64 v[0:1], v[0:1], v[4:5]
	v_add_f64 v[2:3], v[2:3], v[12:13]
	v_add_u32_e32 v136, 64, v136
	s_cmp_eq_u32 s2, 0
	v_lshl_add_u64 v[8:9], v[138:139], 0, s[8:9]
	s_barrier
	s_cbranch_scc1 .LBB58_137
.LBB58_133:                             ; =>This Inner Loop Header: Depth=1
	s_and_saveexec_b64 s[12:13], s[18:19]
	s_cbranch_execz .LBB58_135
; %bb.134:                              ;   in Loop: Header=BB58_133 Depth=1
	s_ashr_i32 s11, s10, 31
	v_lshl_add_u64 v[4:5], s[10:11], 4, v[134:135]
	flat_load_dwordx4 v[4:7], v[4:5]
	s_waitcnt vmcnt(0) lgkmcnt(0)
	ds_write2_b64 v141, v[4:5], v[6:7] offset1:1
.LBB58_135:                             ;   in Loop: Header=BB58_133 Depth=1
	s_or_b64 exec, exec, s[12:13]
	s_waitcnt lgkmcnt(0)
	s_barrier
	flat_load_dwordx4 v[4:7], v[8:9]
	v_lshl_add_u64 v[12:13], v[8:9], 0, s[0:1]
	flat_load_dwordx4 v[8:11], v[12:13]
	v_lshl_add_u64 v[16:17], v[12:13], 0, s[0:1]
	;; [unrolled: 2-line block ×3, first 2 shown]
	flat_load_dwordx4 v[16:19], v[28:29]
	ds_read_b128 v[24:27], v142
	ds_read_b128 v[20:23], v146
	v_lshl_add_u64 v[36:37], v[28:29], 0, s[8:9]
	s_waitcnt vmcnt(0) lgkmcnt(0)
	v_mul_f64 v[28:29], v[6:7], v[26:27]
	v_mul_f64 v[30:31], v[6:7], v[24:25]
	v_fmac_f64_e32 v[28:29], v[4:5], v[24:25]
	v_fma_f64 v[30:31], v[4:5], v[26:27], -v[30:31]
	v_mul_f64 v[32:33], v[10:11], v[26:27]
	v_mul_f64 v[34:35], v[10:11], v[24:25]
	ds_write_b128 v147, v[28:31]
	v_fmac_f64_e32 v[32:33], v[8:9], v[24:25]
	v_fma_f64 v[34:35], v[8:9], v[26:27], -v[34:35]
	v_mul_f64 v[28:29], v[14:15], v[26:27]
	v_mul_f64 v[30:31], v[14:15], v[24:25]
	ds_read_b128 v[40:43], v146 offset:16
	ds_write_b128 v147, v[32:35] offset:1072
	v_fmac_f64_e32 v[28:29], v[12:13], v[24:25]
	v_fma_f64 v[30:31], v[12:13], v[26:27], -v[30:31]
	v_mul_f64 v[32:33], v[18:19], v[26:27]
	v_mul_f64 v[34:35], v[18:19], v[24:25]
	ds_read_b128 v[44:47], v146 offset:32
	ds_write_b128 v147, v[28:31] offset:2144
	v_fmac_f64_e32 v[32:33], v[16:17], v[24:25]
	v_fma_f64 v[34:35], v[16:17], v[26:27], -v[34:35]
	ds_read_b128 v[48:51], v146 offset:48
	ds_write_b128 v147, v[32:35] offset:3216
	s_waitcnt lgkmcnt(0)
	s_barrier
	ds_read_b128 v[128:131], v145
	ds_read_b128 v[124:127], v145 offset:16
	ds_read_b128 v[120:123], v145 offset:32
	;; [unrolled: 1-line block ×3, first 2 shown]
	s_waitcnt lgkmcnt(0)
	s_barrier
	flat_load_dwordx4 v[24:27], v[36:37]
	v_lshl_add_u64 v[32:33], v[36:37], 0, s[0:1]
	flat_load_dwordx4 v[28:31], v[32:33]
	v_lshl_add_u64 v[32:33], v[32:33], 0, s[0:1]
	;; [unrolled: 2-line block ×3, first 2 shown]
	flat_load_dwordx4 v[32:35], v[56:57]
	ds_read_b128 v[52:55], v142
	ds_read_b128 v[68:71], v146 offset:256
	v_lshl_add_u64 v[88:89], v[56:57], 0, s[8:9]
	v_add_f64 v[128:129], v[128:129], 0
	v_add_f64 v[130:131], v[130:131], 0
	;; [unrolled: 1-line block ×8, first 2 shown]
	s_waitcnt vmcnt(0) lgkmcnt(0)
	v_mul_f64 v[56:57], v[26:27], v[54:55]
	v_mul_f64 v[58:59], v[26:27], v[52:53]
	;; [unrolled: 1-line block ×4, first 2 shown]
	v_fmac_f64_e32 v[56:57], v[24:25], v[52:53]
	v_fma_f64 v[58:59], v[24:25], v[54:55], -v[58:59]
	v_mul_f64 v[64:65], v[38:39], v[54:55]
	v_mul_f64 v[66:67], v[38:39], v[52:53]
	v_fmac_f64_e32 v[60:61], v[28:29], v[52:53]
	v_fma_f64 v[62:63], v[28:29], v[54:55], -v[62:63]
	ds_write_b128 v147, v[56:59]
	v_mul_f64 v[84:85], v[34:35], v[54:55]
	v_mul_f64 v[72:73], v[34:35], v[52:53]
	v_fmac_f64_e32 v[64:65], v[36:37], v[52:53]
	v_fma_f64 v[66:67], v[36:37], v[54:55], -v[66:67]
	ds_read_b128 v[80:83], v146 offset:272
	ds_write_b128 v147, v[60:63] offset:1072
	v_fmac_f64_e32 v[84:85], v[32:33], v[52:53]
	v_fma_f64 v[86:87], v[32:33], v[54:55], -v[72:73]
	ds_read_b128 v[76:79], v146 offset:288
	ds_write_b128 v147, v[64:67] offset:2144
	ds_read_b128 v[72:75], v146 offset:304
	ds_write_b128 v147, v[84:87] offset:3216
	s_waitcnt lgkmcnt(0)
	s_barrier
	ds_read_b128 v[150:153], v145
	ds_read_b128 v[154:157], v145 offset:16
	ds_read_b128 v[158:161], v145 offset:32
	ds_read_b128 v[162:165], v145 offset:48
	s_waitcnt lgkmcnt(0)
	s_barrier
	flat_load_dwordx4 v[64:67], v[88:89]
	v_lshl_add_u64 v[52:53], v[88:89], 0, s[0:1]
	flat_load_dwordx4 v[60:63], v[52:53]
	v_lshl_add_u64 v[52:53], v[52:53], 0, s[0:1]
	;; [unrolled: 2-line block ×3, first 2 shown]
	flat_load_dwordx4 v[52:55], v[88:89]
	ds_read_b128 v[84:87], v142
	ds_read_b128 v[100:103], v146 offset:512
	v_lshl_add_u64 v[138:139], v[88:89], 0, s[8:9]
	v_add_f64 v[104:105], v[150:151], 0
	v_add_f64 v[106:107], v[152:153], 0
	;; [unrolled: 1-line block ×8, first 2 shown]
	s_waitcnt vmcnt(0) lgkmcnt(0)
	v_mul_f64 v[88:89], v[66:67], v[86:87]
	v_mul_f64 v[90:91], v[66:67], v[84:85]
	;; [unrolled: 1-line block ×4, first 2 shown]
	v_fmac_f64_e32 v[88:89], v[64:65], v[84:85]
	v_fma_f64 v[90:91], v[64:65], v[86:87], -v[90:91]
	v_mul_f64 v[96:97], v[58:59], v[86:87]
	v_mul_f64 v[98:99], v[58:59], v[84:85]
	v_fmac_f64_e32 v[92:93], v[60:61], v[84:85]
	v_fma_f64 v[94:95], v[60:61], v[86:87], -v[94:95]
	ds_write_b128 v147, v[88:91]
	v_mul_f64 v[166:167], v[54:55], v[86:87]
	v_mul_f64 v[108:109], v[54:55], v[84:85]
	v_fmac_f64_e32 v[96:97], v[56:57], v[84:85]
	v_fma_f64 v[98:99], v[56:57], v[86:87], -v[98:99]
	ds_read_b128 v[116:119], v146 offset:528
	ds_write_b128 v147, v[92:95] offset:1072
	v_fmac_f64_e32 v[166:167], v[52:53], v[84:85]
	v_fma_f64 v[168:169], v[52:53], v[86:87], -v[108:109]
	ds_read_b128 v[112:115], v146 offset:544
	ds_write_b128 v147, v[96:99] offset:2144
	v_lshl_add_u64 v[92:93], v[138:139], 0, s[0:1]
	ds_read_b128 v[108:111], v146 offset:560
	ds_write_b128 v147, v[166:169] offset:3216
	s_waitcnt lgkmcnt(0)
	s_barrier
	ds_read_b128 v[166:169], v145
	ds_read_b128 v[170:173], v145 offset:16
	ds_read_b128 v[174:177], v145 offset:32
	ds_read_b128 v[178:181], v145 offset:48
	s_waitcnt lgkmcnt(0)
	s_barrier
	flat_load_dwordx4 v[84:87], v[138:139]
	v_lshl_add_u64 v[96:97], v[92:93], 0, s[0:1]
	flat_load_dwordx4 v[88:91], v[92:93]
	v_lshl_add_u64 v[138:139], v[96:97], 0, s[0:1]
	flat_load_dwordx4 v[92:95], v[96:97]
	v_add_f64 v[124:125], v[166:167], 0
	flat_load_dwordx4 v[96:99], v[138:139]
	ds_read_b128 v[120:123], v142
	ds_read_b128 v[104:107], v146 offset:768
	v_add_f64 v[126:127], v[168:169], 0
	v_add_f64 v[124:125], v[124:125], v[170:171]
	;; [unrolled: 1-line block ×7, first 2 shown]
	s_waitcnt vmcnt(0) lgkmcnt(0)
	v_mul_f64 v[124:125], v[86:87], v[122:123]
	v_mul_f64 v[126:127], v[86:87], v[120:121]
	;; [unrolled: 1-line block ×4, first 2 shown]
	v_fma_f64 v[126:127], v[84:85], v[122:123], -v[126:127]
	v_fmac_f64_e32 v[124:125], v[84:85], v[120:121]
	v_mul_f64 v[158:159], v[94:95], v[122:123]
	v_mul_f64 v[160:161], v[94:95], v[120:121]
	;; [unrolled: 1-line block ×4, first 2 shown]
	v_fma_f64 v[130:131], v[88:89], v[122:123], -v[130:131]
	v_fmac_f64_e32 v[128:129], v[88:89], v[120:121]
	ds_write_b128 v147, v[124:127]
	v_fma_f64 v[160:161], v[92:93], v[122:123], -v[160:161]
	v_fmac_f64_e32 v[158:159], v[92:93], v[120:121]
	v_fmac_f64_e32 v[162:163], v[96:97], v[120:121]
	v_fma_f64 v[164:165], v[96:97], v[122:123], -v[164:165]
	ds_read_b128 v[120:123], v146 offset:784
	ds_write_b128 v147, v[128:131] offset:1072
	ds_read_b128 v[124:127], v146 offset:800
	ds_write_b128 v147, v[158:161] offset:2144
	;; [unrolled: 2-line block ×3, first 2 shown]
	s_waitcnt lgkmcnt(0)
	s_barrier
	ds_read_b128 v[158:161], v145
	ds_read_b128 v[162:165], v145 offset:16
	ds_read_b128 v[166:169], v145 offset:32
	;; [unrolled: 1-line block ×3, first 2 shown]
	s_waitcnt lgkmcnt(0)
	s_barrier
	ds_write_b128 v148, v[182:185]
	ds_write_b128 v148, v[150:153] offset:256
	ds_write_b128 v148, v[154:157] offset:512
	v_add_f64 v[150:151], v[158:159], 0
	v_add_f64 v[152:153], v[160:161], 0
	;; [unrolled: 1-line block ×8, first 2 shown]
	ds_write_b128 v148, v[150:153] offset:768
	s_waitcnt lgkmcnt(0)
	s_barrier
	s_and_saveexec_b64 s[12:13], s[4:5]
	s_cbranch_execz .LBB58_132
; %bb.136:                              ;   in Loop: Header=BB58_133 Depth=1
	ds_read_b128 v[150:153], v143
	ds_read_b128 v[154:157], v143 offset:16
	ds_read_b128 v[158:161], v143 offset:32
	;; [unrolled: 1-line block ×3, first 2 shown]
	s_waitcnt lgkmcnt(2)
	v_add_f64 v[150:151], v[154:155], v[150:151]
	v_add_f64 v[154:155], v[156:157], v[152:153]
	s_waitcnt lgkmcnt(1)
	v_add_f64 v[156:157], v[150:151], v[158:159]
	ds_read_b128 v[150:153], v143 offset:64
	v_add_f64 v[158:159], v[154:155], v[160:161]
	s_waitcnt lgkmcnt(1)
	v_add_f64 v[160:161], v[156:157], v[162:163]
	ds_read_b128 v[154:157], v143 offset:80
	v_add_f64 v[162:163], v[158:159], v[164:165]
	s_waitcnt lgkmcnt(1)
	v_add_f64 v[150:151], v[160:161], v[150:151]
	ds_read_b128 v[158:161], v143 offset:96
	v_add_f64 v[162:163], v[162:163], v[152:153]
	s_waitcnt lgkmcnt(1)
	v_add_f64 v[154:155], v[150:151], v[154:155]
	ds_read_b128 v[150:153], v143 offset:112
	v_add_f64 v[162:163], v[162:163], v[156:157]
	s_waitcnt lgkmcnt(1)
	v_add_f64 v[158:159], v[154:155], v[158:159]
	ds_read_b128 v[154:157], v143 offset:128
	v_add_f64 v[162:163], v[162:163], v[160:161]
	s_waitcnt lgkmcnt(1)
	v_add_f64 v[150:151], v[158:159], v[150:151]
	ds_read_b128 v[158:161], v143 offset:144
	v_add_f64 v[162:163], v[162:163], v[152:153]
	s_waitcnt lgkmcnt(1)
	v_add_f64 v[154:155], v[150:151], v[154:155]
	ds_read_b128 v[150:153], v143 offset:160
	v_add_f64 v[162:163], v[162:163], v[156:157]
	s_waitcnt lgkmcnt(1)
	v_add_f64 v[158:159], v[154:155], v[158:159]
	ds_read_b128 v[154:157], v143 offset:176
	v_add_f64 v[162:163], v[162:163], v[160:161]
	s_waitcnt lgkmcnt(1)
	v_add_f64 v[150:151], v[158:159], v[150:151]
	ds_read_b128 v[158:161], v143 offset:192
	v_add_f64 v[152:153], v[162:163], v[152:153]
	s_waitcnt lgkmcnt(1)
	v_add_f64 v[154:155], v[150:151], v[154:155]
	v_add_f64 v[162:163], v[152:153], v[156:157]
	ds_read_b128 v[150:153], v143 offset:208
	s_waitcnt lgkmcnt(1)
	v_add_f64 v[164:165], v[154:155], v[158:159]
	ds_read_b128 v[154:157], v143 offset:224
	v_add_f64 v[162:163], v[162:163], v[160:161]
	ds_read_b128 v[158:161], v144
	s_waitcnt lgkmcnt(2)
	v_add_f64 v[150:151], v[164:165], v[150:151]
	v_add_f64 v[152:153], v[162:163], v[152:153]
	s_waitcnt lgkmcnt(1)
	v_add_f64 v[150:151], v[150:151], v[154:155]
	v_add_f64 v[152:153], v[152:153], v[156:157]
	;; [unrolled: 3-line block ×3, first 2 shown]
	v_lshl_add_u64 v[154:155], v[136:137], 4, s[6:7]
	global_store_dwordx4 v[154:155], v[150:153], off
	s_branch .LBB58_132
.LBB58_137:
	s_movk_i32 s0, 0x430
	v_mad_u32_u24 v4, v133, s0, v140
	s_or_b64 s[0:1], s[16:17], vcc
	s_xor_b64 s[0:1], s[0:1], -1
	ds_write_b128 v4, v[0:3]
	s_waitcnt lgkmcnt(0)
	s_barrier
	s_and_saveexec_b64 s[2:3], s[0:1]
	s_cbranch_execz .LBB58_139
; %bb.138:
	ds_read_b128 v[0:3], v140 offset:1072
	ds_read_b128 v[4:7], v140
	ds_read_b128 v[8:11], v140 offset:2144
	ds_read_b128 v[12:15], v140 offset:3216
	v_ashrrev_i32_e32 v133, 31, v132
	s_waitcnt lgkmcnt(2)
	v_add_f64 v[0:1], v[0:1], v[4:5]
	v_add_f64 v[2:3], v[2:3], v[6:7]
	s_waitcnt lgkmcnt(1)
	v_add_f64 v[0:1], v[0:1], v[8:9]
	v_add_f64 v[2:3], v[2:3], v[10:11]
	;; [unrolled: 3-line block ×3, first 2 shown]
	v_lshl_add_u64 v[4:5], v[132:133], 4, s[6:7]
	global_store_dwordx4 v[4:5], v[0:3], off
.LBB58_139:
	s_endpgm
	.section	.rodata,"a",@progbits
	.p2align	6, 0x0
	.amdhsa_kernel _ZL26rocblas_hemvn_kernel_lowerILb1ELi64ELi4ELi33ELi32ELi16EiPK19rocblas_complex_numIdEPKS3_PS1_EviT6_lT7_lT5_lS8_lS9_lS7_lT8_i
		.amdhsa_group_segment_fixed_size 19200
		.amdhsa_private_segment_fixed_size 0
		.amdhsa_kernarg_size 376
		.amdhsa_user_sgpr_count 2
		.amdhsa_user_sgpr_dispatch_ptr 0
		.amdhsa_user_sgpr_queue_ptr 0
		.amdhsa_user_sgpr_kernarg_segment_ptr 1
		.amdhsa_user_sgpr_dispatch_id 0
		.amdhsa_user_sgpr_kernarg_preload_length 0
		.amdhsa_user_sgpr_kernarg_preload_offset 0
		.amdhsa_user_sgpr_private_segment_size 0
		.amdhsa_uses_dynamic_stack 0
		.amdhsa_enable_private_segment 0
		.amdhsa_system_sgpr_workgroup_id_x 1
		.amdhsa_system_sgpr_workgroup_id_y 0
		.amdhsa_system_sgpr_workgroup_id_z 1
		.amdhsa_system_sgpr_workgroup_info 0
		.amdhsa_system_vgpr_workitem_id 1
		.amdhsa_next_free_vgpr 186
		.amdhsa_next_free_sgpr 41
		.amdhsa_accum_offset 188
		.amdhsa_reserve_vcc 1
		.amdhsa_float_round_mode_32 0
		.amdhsa_float_round_mode_16_64 0
		.amdhsa_float_denorm_mode_32 3
		.amdhsa_float_denorm_mode_16_64 3
		.amdhsa_dx10_clamp 1
		.amdhsa_ieee_mode 1
		.amdhsa_fp16_overflow 0
		.amdhsa_tg_split 0
		.amdhsa_exception_fp_ieee_invalid_op 0
		.amdhsa_exception_fp_denorm_src 0
		.amdhsa_exception_fp_ieee_div_zero 0
		.amdhsa_exception_fp_ieee_overflow 0
		.amdhsa_exception_fp_ieee_underflow 0
		.amdhsa_exception_fp_ieee_inexact 0
		.amdhsa_exception_int_div_zero 0
	.end_amdhsa_kernel
	.section	.text._ZL26rocblas_hemvn_kernel_lowerILb1ELi64ELi4ELi33ELi32ELi16EiPK19rocblas_complex_numIdEPKS3_PS1_EviT6_lT7_lT5_lS8_lS9_lS7_lT8_i,"axG",@progbits,_ZL26rocblas_hemvn_kernel_lowerILb1ELi64ELi4ELi33ELi32ELi16EiPK19rocblas_complex_numIdEPKS3_PS1_EviT6_lT7_lT5_lS8_lS9_lS7_lT8_i,comdat
.Lfunc_end58:
	.size	_ZL26rocblas_hemvn_kernel_lowerILb1ELi64ELi4ELi33ELi32ELi16EiPK19rocblas_complex_numIdEPKS3_PS1_EviT6_lT7_lT5_lS8_lS9_lS7_lT8_i, .Lfunc_end58-_ZL26rocblas_hemvn_kernel_lowerILb1ELi64ELi4ELi33ELi32ELi16EiPK19rocblas_complex_numIdEPKS3_PS1_EviT6_lT7_lT5_lS8_lS9_lS7_lT8_i
                                        ; -- End function
	.section	.AMDGPU.csdata,"",@progbits
; Kernel info:
; codeLenInByte = 9432
; NumSgprs: 47
; NumVgprs: 186
; NumAgprs: 0
; TotalNumVgprs: 186
; ScratchSize: 0
; MemoryBound: 0
; FloatMode: 240
; IeeeMode: 1
; LDSByteSize: 19200 bytes/workgroup (compile time only)
; SGPRBlocks: 5
; VGPRBlocks: 23
; NumSGPRsForWavesPerEU: 47
; NumVGPRsForWavesPerEU: 186
; AccumOffset: 188
; Occupancy: 2
; WaveLimiterHint : 1
; COMPUTE_PGM_RSRC2:SCRATCH_EN: 0
; COMPUTE_PGM_RSRC2:USER_SGPR: 2
; COMPUTE_PGM_RSRC2:TRAP_HANDLER: 0
; COMPUTE_PGM_RSRC2:TGID_X_EN: 1
; COMPUTE_PGM_RSRC2:TGID_Y_EN: 0
; COMPUTE_PGM_RSRC2:TGID_Z_EN: 1
; COMPUTE_PGM_RSRC2:TIDIG_COMP_CNT: 1
; COMPUTE_PGM_RSRC3_GFX90A:ACCUM_OFFSET: 46
; COMPUTE_PGM_RSRC3_GFX90A:TG_SPLIT: 0
	.section	.text._ZL36rocblas_hemvn_kernel_lower_block_sumILi64EiPK19rocblas_complex_numIdEPKPS1_S1_EviT1_lS7_lT2_lT0_lPT3_i,"axG",@progbits,_ZL36rocblas_hemvn_kernel_lower_block_sumILi64EiPK19rocblas_complex_numIdEPKPS1_S1_EviT1_lS7_lT2_lT0_lPT3_i,comdat
	.globl	_ZL36rocblas_hemvn_kernel_lower_block_sumILi64EiPK19rocblas_complex_numIdEPKPS1_S1_EviT1_lS7_lT2_lT0_lPT3_i ; -- Begin function _ZL36rocblas_hemvn_kernel_lower_block_sumILi64EiPK19rocblas_complex_numIdEPKPS1_S1_EviT1_lS7_lT2_lT0_lPT3_i
	.p2align	8
	.type	_ZL36rocblas_hemvn_kernel_lower_block_sumILi64EiPK19rocblas_complex_numIdEPKPS1_S1_EviT1_lS7_lT2_lT0_lPT3_i,@function
_ZL36rocblas_hemvn_kernel_lower_block_sumILi64EiPK19rocblas_complex_numIdEPKPS1_S1_EviT1_lS7_lT2_lT0_lPT3_i: ; @_ZL36rocblas_hemvn_kernel_lower_block_sumILi64EiPK19rocblas_complex_numIdEPKPS1_S1_EviT1_lS7_lT2_lT0_lPT3_i
; %bb.0:
	s_load_dwordx8 s[4:11], s[0:1], 0x8
	s_mov_b32 s18, s3
	s_waitcnt lgkmcnt(0)
	s_mul_i32 s3, s3, s7
	s_mul_hi_u32 s7, s18, s6
	s_add_i32 s7, s7, s3
	s_mul_i32 s6, s18, s6
	s_lshl_b64 s[6:7], s[6:7], 4
	s_add_u32 s4, s4, s6
	s_addc_u32 s5, s5, s7
	s_load_dwordx4 s[12:15], s[4:5], 0x0
	s_mul_i32 s3, s18, s11
	s_mul_hi_u32 s4, s18, s10
	s_add_i32 s5, s4, s3
	s_mul_i32 s4, s18, s10
	s_lshl_b64 s[4:5], s[4:5], 4
	s_add_u32 s4, s8, s4
	s_addc_u32 s5, s9, s5
	s_load_dwordx4 s[8:11], s[4:5], 0x0
	s_waitcnt lgkmcnt(0)
	v_cmp_neq_f64_e64 s[4:5], s[12:13], 0
	v_cmp_neq_f64_e64 s[6:7], s[14:15], 0
	s_or_b64 s[4:5], s[4:5], s[6:7]
	s_mov_b64 s[6:7], -1
	s_and_b64 vcc, exec, s[4:5]
	s_cbranch_vccnz .LBB59_2
; %bb.1:
	v_cmp_neq_f64_e64 s[6:7], s[8:9], 1.0
	v_cmp_neq_f64_e64 s[16:17], s[10:11], 0
	s_or_b64 s[6:7], s[6:7], s[16:17]
.LBB59_2:
	s_andn2_b64 vcc, exec, s[6:7]
	s_cbranch_vccnz .LBB59_22
; %bb.3:
	s_load_dwordx4 s[24:27], s[0:1], 0x28
	s_load_dword s3, s[0:1], 0x38
	s_load_dword s20, s[0:1], 0x0
	s_mov_b32 s19, 0
	s_lshl_b64 s[6:7], s[18:19], 3
	s_xor_b64 s[4:5], s[4:5], -1
	s_waitcnt lgkmcnt(0)
	s_add_u32 s6, s24, s6
	s_addc_u32 s7, s25, s7
	s_load_dwordx2 s[6:7], s[6:7], 0x0
	s_lshl_b64 s[16:17], s[26:27], 4
	v_lshl_or_b32 v8, s2, 6, v0
	s_waitcnt lgkmcnt(0)
	s_add_u32 s6, s6, s16
	s_addc_u32 s7, s7, s17
	s_andn2_b64 vcc, exec, s[4:5]
	v_cmp_gt_i32_e64 s[4:5], s20, v8
	s_cbranch_vccnz .LBB59_8
; %bb.4:
	s_mov_b64 s[22:23], 0
	s_mov_b64 s[16:17], 0
                                        ; implicit-def: $vgpr2_vgpr3
                                        ; implicit-def: $vgpr4_vgpr5
	s_and_saveexec_b64 s[24:25], s[4:5]
	s_cbranch_execz .LBB59_9
; %bb.5:
	v_cmp_neq_f64_e64 s[4:5], s[8:9], 0
	v_cmp_neq_f64_e64 s[16:17], s[10:11], 0
	v_mov_b64_e32 v[2:3], 0
	v_mul_lo_u32 v4, v8, s3
	s_or_b64 s[4:5], s[4:5], s[16:17]
	v_ashrrev_i32_e32 v5, 31, v4
	s_andn2_b64 vcc, exec, s[4:5]
	v_mov_b64_e32 v[0:1], v[2:3]
	s_cbranch_vccnz .LBB59_7
; %bb.6:
	v_lshl_add_u64 v[0:1], v[4:5], 4, s[6:7]
	global_load_dwordx4 v[10:13], v[0:1], off
	s_waitcnt vmcnt(0)
	v_mul_f64 v[0:1], s[10:11], v[12:13]
	v_mul_f64 v[2:3], s[8:9], v[12:13]
	v_fma_f64 v[0:1], s[8:9], v[10:11], -v[0:1]
	v_fmac_f64_e32 v[2:3], s[10:11], v[10:11]
.LBB59_7:
	s_mov_b64 s[16:17], exec
	s_or_b64 exec, exec, s[24:25]
	s_and_b64 vcc, exec, s[22:23]
	s_cbranch_vccnz .LBB59_10
	s_branch .LBB59_20
.LBB59_8:
	s_mov_b64 s[16:17], 0
                                        ; implicit-def: $vgpr2_vgpr3
                                        ; implicit-def: $vgpr4_vgpr5
	s_cbranch_execnz .LBB59_10
	s_branch .LBB59_20
.LBB59_9:
	s_or_b64 exec, exec, s[24:25]
	s_and_b64 vcc, exec, s[22:23]
	s_cbranch_vccz .LBB59_20
.LBB59_10:
	v_cmp_gt_i32_e32 vcc, s20, v8
                                        ; implicit-def: $vgpr2_vgpr3
                                        ; implicit-def: $vgpr4_vgpr5
	s_and_saveexec_b64 s[4:5], vcc
	s_cbranch_execz .LBB59_19
; %bb.11:
	s_load_dword s19, s[0:1], 0x58
	v_mov_b64_e32 v[0:1], 0
	v_mov_b64_e32 v[6:7], v[0:1]
	s_waitcnt lgkmcnt(0)
	s_cmp_ge_i32 s2, s19
	s_cbranch_scc1 .LBB59_14
; %bb.12:
	s_ashr_i32 s21, s20, 31
	s_mul_i32 s22, s2, s20
	s_load_dwordx2 s[0:1], s[0:1], 0x48
	v_add_u32_e32 v0, s22, v8
	s_mul_hi_u32 s22, s20, s18
	s_mul_i32 s23, s21, s18
	s_add_i32 s22, s22, s23
	s_mul_i32 s18, s20, s18
	s_mul_i32 s22, s22, s19
	s_mul_hi_u32 s23, s18, s19
	s_add_i32 s23, s23, s22
	s_mul_i32 s22, s18, s19
	s_lshl_b64 s[22:23], s[22:23], 4
	s_waitcnt lgkmcnt(0)
	s_add_u32 s0, s0, s22
	v_ashrrev_i32_e32 v1, 31, v0
	s_addc_u32 s1, s1, s23
	v_lshl_add_u64 v[0:1], v[0:1], 4, s[0:1]
	v_lshl_add_u64 v[2:3], v[0:1], 0, 8
	v_mov_b64_e32 v[0:1], 0
	s_lshl_b64 s[0:1], s[20:21], 4
	v_mov_b64_e32 v[6:7], v[0:1]
.LBB59_13:                              ; =>This Inner Loop Header: Depth=1
	global_load_dwordx4 v[10:13], v[2:3], off offset:-8
	s_add_i32 s2, s2, 1
	v_lshl_add_u64 v[2:3], v[2:3], 0, s[0:1]
	s_cmp_ge_i32 s2, s19
	s_waitcnt vmcnt(0)
	v_add_f64 v[6:7], v[6:7], v[10:11]
	v_add_f64 v[0:1], v[0:1], v[12:13]
	s_cbranch_scc0 .LBB59_13
.LBB59_14:
	v_cmp_neq_f64_e64 s[18:19], s[8:9], 0
	v_cmp_neq_f64_e64 s[20:21], s[10:11], 0
	s_or_b64 s[18:19], s[18:19], s[20:21]
	v_mul_f64 v[10:11], s[14:15], v[0:1]
	v_mul_f64 v[2:3], s[12:13], v[0:1]
	v_mul_lo_u32 v4, v8, s3
	s_mov_b64 s[0:1], 0
	s_andn2_b64 vcc, exec, s[18:19]
	v_fma_f64 v[0:1], s[12:13], v[6:7], -v[10:11]
	v_fmac_f64_e32 v[2:3], s[14:15], v[6:7]
	v_ashrrev_i32_e32 v5, 31, v4
	s_cbranch_vccnz .LBB59_16
; %bb.15:
	s_mov_b64 s[0:1], -1
.LBB59_16:
	s_andn2_b64 vcc, exec, s[0:1]
	s_cbranch_vccnz .LBB59_18
; %bb.17:
	v_lshl_add_u64 v[6:7], v[4:5], 4, s[6:7]
	global_load_dwordx4 v[6:9], v[6:7], off
	s_waitcnt vmcnt(0)
	v_mul_f64 v[10:11], s[10:11], v[8:9]
	v_mul_f64 v[8:9], s[8:9], v[8:9]
	v_fma_f64 v[10:11], s[8:9], v[6:7], -v[10:11]
	v_fmac_f64_e32 v[8:9], s[10:11], v[6:7]
	v_add_f64 v[0:1], v[0:1], v[10:11]
	v_add_f64 v[2:3], v[2:3], v[8:9]
.LBB59_18:
	s_or_b64 s[16:17], s[16:17], exec
.LBB59_19:
	s_or_b64 exec, exec, s[4:5]
.LBB59_20:
	s_and_saveexec_b64 s[0:1], s[16:17]
	s_cbranch_execz .LBB59_22
; %bb.21:
	v_lshl_add_u64 v[4:5], v[4:5], 4, s[6:7]
	global_store_dwordx4 v[4:5], v[0:3], off
.LBB59_22:
	s_endpgm
	.section	.rodata,"a",@progbits
	.p2align	6, 0x0
	.amdhsa_kernel _ZL36rocblas_hemvn_kernel_lower_block_sumILi64EiPK19rocblas_complex_numIdEPKPS1_S1_EviT1_lS7_lT2_lT0_lPT3_i
		.amdhsa_group_segment_fixed_size 0
		.amdhsa_private_segment_fixed_size 0
		.amdhsa_kernarg_size 344
		.amdhsa_user_sgpr_count 2
		.amdhsa_user_sgpr_dispatch_ptr 0
		.amdhsa_user_sgpr_queue_ptr 0
		.amdhsa_user_sgpr_kernarg_segment_ptr 1
		.amdhsa_user_sgpr_dispatch_id 0
		.amdhsa_user_sgpr_kernarg_preload_length 0
		.amdhsa_user_sgpr_kernarg_preload_offset 0
		.amdhsa_user_sgpr_private_segment_size 0
		.amdhsa_uses_dynamic_stack 0
		.amdhsa_enable_private_segment 0
		.amdhsa_system_sgpr_workgroup_id_x 1
		.amdhsa_system_sgpr_workgroup_id_y 0
		.amdhsa_system_sgpr_workgroup_id_z 1
		.amdhsa_system_sgpr_workgroup_info 0
		.amdhsa_system_vgpr_workitem_id 0
		.amdhsa_next_free_vgpr 14
		.amdhsa_next_free_sgpr 28
		.amdhsa_accum_offset 16
		.amdhsa_reserve_vcc 1
		.amdhsa_float_round_mode_32 0
		.amdhsa_float_round_mode_16_64 0
		.amdhsa_float_denorm_mode_32 3
		.amdhsa_float_denorm_mode_16_64 3
		.amdhsa_dx10_clamp 1
		.amdhsa_ieee_mode 1
		.amdhsa_fp16_overflow 0
		.amdhsa_tg_split 0
		.amdhsa_exception_fp_ieee_invalid_op 0
		.amdhsa_exception_fp_denorm_src 0
		.amdhsa_exception_fp_ieee_div_zero 0
		.amdhsa_exception_fp_ieee_overflow 0
		.amdhsa_exception_fp_ieee_underflow 0
		.amdhsa_exception_fp_ieee_inexact 0
		.amdhsa_exception_int_div_zero 0
	.end_amdhsa_kernel
	.section	.text._ZL36rocblas_hemvn_kernel_lower_block_sumILi64EiPK19rocblas_complex_numIdEPKPS1_S1_EviT1_lS7_lT2_lT0_lPT3_i,"axG",@progbits,_ZL36rocblas_hemvn_kernel_lower_block_sumILi64EiPK19rocblas_complex_numIdEPKPS1_S1_EviT1_lS7_lT2_lT0_lPT3_i,comdat
.Lfunc_end59:
	.size	_ZL36rocblas_hemvn_kernel_lower_block_sumILi64EiPK19rocblas_complex_numIdEPKPS1_S1_EviT1_lS7_lT2_lT0_lPT3_i, .Lfunc_end59-_ZL36rocblas_hemvn_kernel_lower_block_sumILi64EiPK19rocblas_complex_numIdEPKPS1_S1_EviT1_lS7_lT2_lT0_lPT3_i
                                        ; -- End function
	.section	.AMDGPU.csdata,"",@progbits
; Kernel info:
; codeLenInByte = 776
; NumSgprs: 34
; NumVgprs: 14
; NumAgprs: 0
; TotalNumVgprs: 14
; ScratchSize: 0
; MemoryBound: 0
; FloatMode: 240
; IeeeMode: 1
; LDSByteSize: 0 bytes/workgroup (compile time only)
; SGPRBlocks: 4
; VGPRBlocks: 1
; NumSGPRsForWavesPerEU: 34
; NumVGPRsForWavesPerEU: 14
; AccumOffset: 16
; Occupancy: 8
; WaveLimiterHint : 1
; COMPUTE_PGM_RSRC2:SCRATCH_EN: 0
; COMPUTE_PGM_RSRC2:USER_SGPR: 2
; COMPUTE_PGM_RSRC2:TRAP_HANDLER: 0
; COMPUTE_PGM_RSRC2:TGID_X_EN: 1
; COMPUTE_PGM_RSRC2:TGID_Y_EN: 0
; COMPUTE_PGM_RSRC2:TGID_Z_EN: 1
; COMPUTE_PGM_RSRC2:TIDIG_COMP_CNT: 0
; COMPUTE_PGM_RSRC3_GFX90A:ACCUM_OFFSET: 3
; COMPUTE_PGM_RSRC3_GFX90A:TG_SPLIT: 0
	.section	.text._ZL26rocblas_hemvn_kernel_lowerILb1ELi64ELi4ELi33ELi32ELi16El19rocblas_complex_numIdEPKPKS1_PS1_EviT6_lT7_lT5_lS8_lS9_lS7_lT8_i,"axG",@progbits,_ZL26rocblas_hemvn_kernel_lowerILb1ELi64ELi4ELi33ELi32ELi16El19rocblas_complex_numIdEPKPKS1_PS1_EviT6_lT7_lT5_lS8_lS9_lS7_lT8_i,comdat
	.globl	_ZL26rocblas_hemvn_kernel_lowerILb1ELi64ELi4ELi33ELi32ELi16El19rocblas_complex_numIdEPKPKS1_PS1_EviT6_lT7_lT5_lS8_lS9_lS7_lT8_i ; -- Begin function _ZL26rocblas_hemvn_kernel_lowerILb1ELi64ELi4ELi33ELi32ELi16El19rocblas_complex_numIdEPKPKS1_PS1_EviT6_lT7_lT5_lS8_lS9_lS7_lT8_i
	.p2align	8
	.type	_ZL26rocblas_hemvn_kernel_lowerILb1ELi64ELi4ELi33ELi32ELi16El19rocblas_complex_numIdEPKPKS1_PS1_EviT6_lT7_lT5_lS8_lS9_lS7_lT8_i,@function
_ZL26rocblas_hemvn_kernel_lowerILb1ELi64ELi4ELi33ELi32ELi16El19rocblas_complex_numIdEPKPKS1_PS1_EviT6_lT7_lT5_lS8_lS9_lS7_lT8_i: ; @_ZL26rocblas_hemvn_kernel_lowerILb1ELi64ELi4ELi33ELi32ELi16El19rocblas_complex_numIdEPKPKS1_PS1_EviT6_lT7_lT5_lS8_lS9_lS7_lT8_i
; %bb.0:
	s_load_dwordx2 s[4:5], s[0:1], 0x94
	s_add_u32 s14, s0, 0x88
	s_mov_b32 s26, s3
	s_addc_u32 s15, s1, 0
	s_waitcnt lgkmcnt(0)
	s_and_b32 s3, s5, 0xffff
	s_lshr_b32 s5, s4, 16
	s_and_b32 s4, s4, 0xffff
	s_mul_i32 s4, s5, s4
	s_mul_i32 s4, s4, s3
	s_cmpk_lg_i32 s4, 0x100
	s_cbranch_scc1 .LBB60_139
; %bb.1:
	s_load_dwordx4 s[16:19], s[0:1], 0x8
	s_load_dwordx4 s[4:7], s[0:1], 0x20
	s_load_dwordx2 s[24:25], s[0:1], 0x30
	s_mov_b64 s[8:9], 0
	s_waitcnt lgkmcnt(0)
	v_cmp_neq_f64_e64 s[10:11], s[16:17], 0
	v_cmp_neq_f64_e64 s[12:13], s[18:19], 0
	s_or_b64 s[16:17], s[10:11], s[12:13]
	s_and_b64 vcc, exec, s[16:17]
	s_cbranch_vccnz .LBB60_3
; %bb.2:
	s_load_dwordx4 s[8:11], s[0:1], 0x60
	s_mov_b64 s[12:13], 0
	s_waitcnt lgkmcnt(0)
	v_cmp_neq_f64_e64 s[8:9], s[8:9], 1.0
	v_cmp_neq_f64_e64 s[10:11], s[10:11], 0
	s_or_b64 s[8:9], s[8:9], s[10:11]
	s_cbranch_execz .LBB60_4
	s_branch .LBB60_5
.LBB60_3:
	s_mov_b64 s[12:13], -1
.LBB60_4:
	s_mov_b32 s27, 0
	s_lshl_b64 s[8:9], s[26:27], 3
	s_add_u32 s4, s4, s8
	s_addc_u32 s5, s5, s9
	s_load_dwordx2 s[4:5], s[4:5], 0x0
	s_lshl_b64 s[6:7], s[6:7], 4
	s_mov_b64 s[8:9], -1
	s_waitcnt lgkmcnt(0)
	s_add_u32 s12, s4, s6
	s_addc_u32 s13, s5, s7
.LBB60_5:
	s_andn2_b64 vcc, exec, s[8:9]
	s_cbranch_vccnz .LBB60_139
; %bb.6:
	s_load_dwordx4 s[8:11], s[0:1], 0x40
	s_load_dwordx2 s[22:23], s[0:1], 0x50
	v_cndmask_b32_e64 v1, 0, 1, s[16:17]
	v_cmp_ne_u32_e64 s[4:5], 1, v1
	s_andn2_b64 vcc, exec, s[16:17]
	s_mov_b64 s[6:7], 0
	s_cbranch_vccnz .LBB60_8
; %bb.7:
	s_mov_b32 s27, 0
	s_lshl_b64 s[6:7], s[26:27], 3
	s_waitcnt lgkmcnt(0)
	s_add_u32 s6, s8, s6
	s_addc_u32 s7, s9, s7
	s_load_dwordx2 s[6:7], s[6:7], 0x0
	s_lshl_b64 s[8:9], s[10:11], 4
	s_waitcnt lgkmcnt(0)
	s_add_u32 s6, s6, s8
	s_addc_u32 s7, s7, s9
.LBB60_8:
	s_and_b64 vcc, exec, s[4:5]
	s_cbranch_vccnz .LBB60_139
; %bb.9:
	s_load_dword s27, s[14:15], 0x0
	s_load_dword s3, s[0:1], 0x0
	v_and_b32_e32 v42, 0x3ff, v0
	s_lshl_b32 s30, s2, 6
	v_add_u32_e32 v132, s30, v42
	s_waitcnt lgkmcnt(0)
	s_add_i32 s4, s27, -1
	s_ashr_i32 s33, s3, 31
	s_lshr_b32 s5, s33, 26
	s_add_i32 s5, s3, s5
	s_andn2_b32 s5, s5, 63
	s_sub_i32 s5, s3, s5
	s_cmp_eq_u32 s2, s4
	v_ashrrev_i32_e32 v133, 31, v132
	v_bfe_u32 v142, v0, 10, 10
	s_cselect_b32 s28, s5, 0
	v_mul_lo_u32 v2, v133, s22
	v_mul_lo_u32 v3, v132, s23
	v_mad_u64_u32 v[0:1], s[4:5], v132, s22, 0
	v_add3_u32 v1, v1, v3, v2
	v_lshl_add_u64 v[36:37], v[0:1], 4, s[6:7]
	v_cmp_ne_u32_e64 s[4:5], 0, v142
	v_cmp_eq_u32_e64 s[18:19], 0, v142
	s_and_saveexec_b64 s[6:7], s[18:19]
	s_cbranch_execz .LBB60_14
; %bb.10:
	s_cmp_lg_u32 s28, 0
	s_cselect_b64 s[8:9], -1, 0
	v_cmp_le_i32_e32 vcc, s28, v42
	v_mov_b32_e32 v0, 0x4700
	s_and_b64 s[8:9], s[8:9], vcc
	v_lshl_add_u32 v0, v42, 4, v0
	s_and_saveexec_b64 s[10:11], s[8:9]
	s_xor_b64 s[8:9], exec, s[10:11]
	s_cbranch_execz .LBB60_12
; %bb.11:
	v_mov_b32_e32 v2, 0
	v_mov_b32_e32 v3, v2
	v_mov_b32_e32 v4, v2
	v_mov_b32_e32 v5, v2
	ds_write_b128 v0, v[2:5]
                                        ; implicit-def: $vgpr0
.LBB60_12:
	s_andn2_saveexec_b64 s[8:9], s[8:9]
	s_cbranch_execz .LBB60_14
; %bb.13:
	flat_load_dwordx4 v[2:5], v[36:37]
	s_waitcnt vmcnt(0) lgkmcnt(0)
	ds_write2_b64 v0, v[2:3], v[4:5] offset1:1
.LBB60_14:
	s_or_b64 exec, exec, s[6:7]
	s_ashr_i32 s31, s30, 31
	v_lshl_add_u32 v43, v142, 6, v42
	s_lshl_b64 s[6:7], s[30:31], 4
	v_and_b32_e32 v4, 31, v42
	v_lshrrev_b32_e32 v10, 5, v43
	s_add_u32 s8, s12, s6
	v_mov_b32_e32 v5, 0
	s_addc_u32 s9, s13, s7
	v_mad_u64_u32 v[38:39], s[6:7], v10, s24, v[4:5]
	v_mov_b32_e32 v0, v39
	v_mad_u64_u32 v[0:1], s[6:7], v10, s25, v[0:1]
	s_mul_i32 s6, s30, s25
	s_mul_hi_u32 s7, s30, s24
	s_add_i32 s6, s7, s6
	s_mul_i32 s7, s31, s24
	s_add_i32 s7, s6, s7
	s_mul_i32 s6, s30, s24
	s_lshl_b64 s[34:35], s[6:7], 4
	s_add_u32 s6, s34, s8
	s_addc_u32 s7, s35, s9
	s_cmp_lg_u32 s28, 0
	v_mov_b32_e32 v39, v0
	s_cselect_b64 s[36:37], -1, 0
	s_cmp_eq_u32 s28, 0
	v_lshl_add_u64 v[6:7], v[38:39], 4, s[6:7]
	s_cselect_b64 s[20:21], -1, 0
	s_and_b64 vcc, exec, s[36:37]
	s_cbranch_vccnz .LBB60_16
; %bb.15:
	flat_load_dwordx4 v[0:3], v[6:7]
	v_mul_u32_u24_e32 v5, 33, v10
	s_lshl_b64 s[6:7], s[24:25], 7
	v_add_lshl_u32 v5, v5, v4, 4
	v_lshl_add_u64 v[8:9], v[6:7], 0, s[6:7]
	v_add_u32_e32 v11, 0x1080, v5
	s_mul_i32 s8, s25, 0x180
	s_waitcnt vmcnt(0) lgkmcnt(0)
	ds_write2_b64 v5, v[0:1], v[2:3] offset1:1
	flat_load_dwordx4 v[0:3], v[8:9]
	v_lshl_add_u64 v[8:9], v[8:9], 0, s[6:7]
	s_waitcnt vmcnt(0) lgkmcnt(0)
	ds_write2_b64 v11, v[0:1], v[2:3] offset1:1
	flat_load_dwordx4 v[0:3], v[8:9]
	v_mov_b32_e32 v8, 0x180
	v_mad_u64_u32 v[8:9], s[6:7], s24, v8, v[6:7]
	v_add_u32_e32 v11, 0x2100, v5
	v_add_u32_e32 v9, s8, v9
	;; [unrolled: 1-line block ×3, first 2 shown]
	s_waitcnt vmcnt(0) lgkmcnt(0)
	ds_write2_b64 v11, v[0:1], v[2:3] offset1:1
	flat_load_dwordx4 v[0:3], v[8:9]
	s_waitcnt vmcnt(0) lgkmcnt(0)
	ds_write2_b64 v5, v[0:1], v[2:3] offset1:1
	s_cbranch_execz .LBB60_17
	s_branch .LBB60_34
.LBB60_16:
.LBB60_17:
	v_lshlrev_b32_e32 v0, 4, v4
	v_sub_co_u32_e32 v2, vcc, v6, v0
	s_ashr_i32 s29, s28, 31
	s_nop 0
	v_subbrev_co_u32_e32 v3, vcc, 0, v7, vcc
	v_lshl_add_u64 v[2:3], s[28:29], 4, v[2:3]
	v_lshl_add_u64 v[2:3], v[2:3], 0, -16
	v_cmp_gt_i32_e32 vcc, s28, v4
	v_mul_u32_u24_e32 v1, 33, v10
	v_cmp_le_i32_e64 s[6:7], s28, v10
	v_cndmask_b32_e32 v3, v3, v7, vcc
	v_cndmask_b32_e32 v2, v2, v6, vcc
	v_add_lshl_u32 v1, v1, v4, 4
	s_and_saveexec_b64 s[8:9], s[6:7]
	s_xor_b64 s[6:7], exec, s[8:9]
	s_cbranch_execz .LBB60_19
; %bb.18:
	v_mov_b32_e32 v12, 0
	v_mov_b32_e32 v13, v12
	;; [unrolled: 1-line block ×4, first 2 shown]
	ds_write_b128 v1, v[12:15]
.LBB60_19:
	s_andn2_saveexec_b64 s[6:7], s[6:7]
	s_cbranch_execz .LBB60_21
; %bb.20:
	flat_load_dwordx4 v[12:15], v[2:3]
	s_waitcnt vmcnt(0) lgkmcnt(0)
	ds_write2_b64 v1, v[12:13], v[14:15] offset1:1
.LBB60_21:
	s_or_b64 exec, exec, s[6:7]
	v_add_u32_e32 v5, 8, v10
	v_cmp_le_i32_e64 s[6:7], s28, v5
	s_and_saveexec_b64 s[8:9], s[6:7]
	s_xor_b64 s[6:7], exec, s[8:9]
	s_cbranch_execz .LBB60_23
; %bb.22:
	v_mul_u32_u24_e32 v5, 33, v5
	v_mov_b32_e32 v12, 0
	v_add_lshl_u32 v5, v5, v4, 4
	v_mov_b32_e32 v13, v12
	v_mov_b32_e32 v14, v12
	;; [unrolled: 1-line block ×3, first 2 shown]
	ds_write_b128 v5, v[12:15]
.LBB60_23:
	s_andn2_saveexec_b64 s[6:7], s[6:7]
	s_cbranch_execz .LBB60_25
; %bb.24:
	s_lshl_b64 s[8:9], s[24:25], 7
	v_lshl_add_u64 v[8:9], v[2:3], 0, s[8:9]
	flat_load_dwordx4 v[12:15], v[8:9]
	v_add_u32_e32 v5, 0x1080, v1
	s_waitcnt vmcnt(0) lgkmcnt(0)
	ds_write2_b64 v5, v[12:13], v[14:15] offset1:1
.LBB60_25:
	s_or_b64 exec, exec, s[6:7]
	v_add_u32_e32 v5, 16, v10
	v_cmp_le_i32_e64 s[6:7], s28, v5
	s_and_saveexec_b64 s[8:9], s[6:7]
	s_xor_b64 s[6:7], exec, s[8:9]
	s_cbranch_execz .LBB60_27
; %bb.26:
	v_mov_b32_e32 v12, 0
	v_mov_b32_e32 v13, v12
	;; [unrolled: 1-line block ×4, first 2 shown]
	ds_write_b128 v1, v[12:15] offset:8448
.LBB60_27:
	s_andn2_saveexec_b64 s[6:7], s[6:7]
	s_cbranch_execz .LBB60_29
; %bb.28:
	s_lshl_b64 s[8:9], s[24:25], 8
	v_lshl_add_u64 v[8:9], v[2:3], 0, s[8:9]
	flat_load_dwordx4 v[12:15], v[8:9]
	v_add_u32_e32 v5, 0x2100, v1
	s_waitcnt vmcnt(0) lgkmcnt(0)
	ds_write2_b64 v5, v[12:13], v[14:15] offset1:1
.LBB60_29:
	s_or_b64 exec, exec, s[6:7]
	v_add_u32_e32 v5, 24, v10
	v_cmp_le_i32_e64 s[6:7], s28, v5
	s_and_saveexec_b64 s[8:9], s[6:7]
	s_xor_b64 s[6:7], exec, s[8:9]
	s_cbranch_execz .LBB60_31
; %bb.30:
	v_mov_b32_e32 v12, 0
	v_mov_b32_e32 v13, v12
	;; [unrolled: 1-line block ×4, first 2 shown]
	ds_write_b128 v1, v[12:15] offset:12672
                                        ; implicit-def: $vgpr1
.LBB60_31:
	s_andn2_saveexec_b64 s[6:7], s[6:7]
	s_cbranch_execz .LBB60_33
; %bb.32:
	v_mov_b32_e32 v5, 0x180
	v_mad_u64_u32 v[8:9], s[8:9], s24, v5, v[2:3]
	s_mul_i32 s8, s25, 0x180
	s_nop 0
	v_add_u32_e32 v9, s8, v9
	flat_load_dwordx4 v[12:15], v[8:9]
	v_add_u32_e32 v1, 0x3180, v1
	s_waitcnt vmcnt(0) lgkmcnt(0)
	ds_write2_b64 v1, v[12:13], v[14:15] offset1:1
.LBB60_33:
	s_or_b64 exec, exec, s[6:7]
	v_mov_b32_e32 v1, 0
	v_lshl_add_u64 v[0:1], v[2:3], 0, v[0:1]
	s_lshl_b64 s[6:7], s[28:29], 4
	v_mov_b32_e32 v2, s7
	v_subrev_co_u32_e64 v0, s[6:7], s6, v0
	s_nop 1
	v_subb_co_u32_e64 v1, s[6:7], v1, v2, s[6:7]
	v_lshl_add_u64 v[0:1], v[0:1], 0, 16
	v_cndmask_b32_e32 v7, v1, v7, vcc
	v_cndmask_b32_e32 v6, v0, v6, vcc
.LBB60_34:
	v_lshlrev_b32_e32 v12, 2, v10
	v_cmp_ge_u32_e64 s[8:9], v12, v4
	s_waitcnt lgkmcnt(0)
	s_barrier
	s_and_saveexec_b64 s[6:7], s[8:9]
	s_xor_b64 s[6:7], exec, s[6:7]
	s_cbranch_execz .LBB60_38
; %bb.35:
	v_cmp_eq_u32_e32 vcc, v12, v4
	s_and_saveexec_b64 s[10:11], vcc
	s_cbranch_execz .LBB60_37
; %bb.36:
	v_mul_u32_u24_e32 v0, 34, v4
	v_lshlrev_b32_e32 v2, 4, v0
	v_mov_b32_e32 v0, 0
	v_mov_b32_e32 v1, v0
	ds_write_b64 v2, v[0:1] offset:8
.LBB60_37:
	s_or_b64 exec, exec, s[10:11]
.LBB60_38:
	s_or_saveexec_b64 s[6:7], s[6:7]
	v_mul_u32_u24_e32 v44, 33, v4
	v_add_lshl_u32 v5, v12, v44, 4
	s_xor_b64 exec, exec, s[6:7]
	s_cbranch_execz .LBB60_40
; %bb.39:
	v_mul_u32_u24_e32 v0, 0x84, v10
	v_add_lshl_u32 v0, v0, v4, 4
	ds_read_b128 v[0:3], v0
	s_waitcnt lgkmcnt(0)
	v_xor_b32_e32 v3, 0x80000000, v3
	ds_write_b128 v5, v[0:3]
.LBB60_40:
	s_or_b64 exec, exec, s[6:7]
	v_or_b32_e32 v13, 1, v12
	v_cmp_ge_u32_e64 s[10:11], v13, v4
	s_and_saveexec_b64 s[6:7], s[10:11]
	s_xor_b64 s[6:7], exec, s[6:7]
	s_cbranch_execz .LBB60_44
; %bb.41:
	v_cmp_eq_u32_e32 vcc, v13, v4
	s_and_saveexec_b64 s[12:13], vcc
	s_cbranch_execz .LBB60_43
; %bb.42:
	v_mul_u32_u24_e32 v0, 34, v4
	v_lshlrev_b32_e32 v2, 4, v0
	v_mov_b32_e32 v0, 0
	v_mov_b32_e32 v1, v0
	ds_write_b64 v2, v[0:1] offset:8
.LBB60_43:
	s_or_b64 exec, exec, s[12:13]
.LBB60_44:
	s_or_saveexec_b64 s[6:7], s[6:7]
	v_mul_u32_u24_e32 v0, 33, v13
	s_xor_b64 exec, exec, s[6:7]
	s_cbranch_execz .LBB60_46
; %bb.45:
	v_add_lshl_u32 v1, v0, v4, 4
	ds_read_b128 v[14:17], v1
	s_waitcnt lgkmcnt(0)
	v_xor_b32_e32 v17, 0x80000000, v17
	ds_write_b128 v5, v[14:17] offset:16
.LBB60_46:
	s_or_b64 exec, exec, s[6:7]
	v_or_b32_e32 v14, 2, v12
	v_cmp_ge_u32_e64 s[12:13], v14, v4
	s_and_saveexec_b64 s[6:7], s[12:13]
	s_xor_b64 s[6:7], exec, s[6:7]
	s_cbranch_execz .LBB60_50
; %bb.47:
	v_cmp_eq_u32_e32 vcc, v14, v4
	s_and_saveexec_b64 s[14:15], vcc
	s_cbranch_execz .LBB60_49
; %bb.48:
	v_mul_u32_u24_e32 v1, 34, v4
	v_mov_b32_e32 v2, 0
	v_lshlrev_b32_e32 v1, 4, v1
	v_mov_b32_e32 v3, v2
	ds_write_b64 v1, v[2:3] offset:8
.LBB60_49:
	s_or_b64 exec, exec, s[14:15]
.LBB60_50:
	s_andn2_saveexec_b64 s[6:7], s[6:7]
	s_cbranch_execz .LBB60_52
; %bb.51:
	v_mul_u32_u24_e32 v1, 33, v14
	v_add_lshl_u32 v1, v1, v4, 4
	ds_read_b128 v[16:19], v1
	s_waitcnt lgkmcnt(0)
	v_xor_b32_e32 v19, 0x80000000, v19
	ds_write_b128 v5, v[16:19] offset:32
.LBB60_52:
	s_or_b64 exec, exec, s[6:7]
	v_or_b32_e32 v15, 3, v12
	v_cmp_ge_u32_e64 s[14:15], v15, v4
	s_and_saveexec_b64 s[6:7], s[14:15]
	s_xor_b64 s[6:7], exec, s[6:7]
	s_cbranch_execz .LBB60_56
; %bb.53:
	v_cmp_eq_u32_e32 vcc, v15, v4
	s_and_saveexec_b64 s[16:17], vcc
	s_cbranch_execz .LBB60_55
; %bb.54:
	v_mul_u32_u24_e32 v1, 34, v4
	v_mov_b32_e32 v2, 0
	v_lshlrev_b32_e32 v1, 4, v1
	v_mov_b32_e32 v3, v2
	ds_write_b64 v1, v[2:3] offset:8
.LBB60_55:
	s_or_b64 exec, exec, s[16:17]
.LBB60_56:
	s_andn2_saveexec_b64 s[6:7], s[6:7]
	s_cbranch_execz .LBB60_58
; %bb.57:
	v_mul_u32_u24_e32 v1, 33, v15
	v_add_lshl_u32 v1, v1, v4, 4
	ds_read_b128 v[16:19], v1
	s_waitcnt lgkmcnt(0)
	v_xor_b32_e32 v19, 0x80000000, v19
	ds_write_b128 v5, v[16:19] offset:48
.LBB60_58:
	s_or_b64 exec, exec, s[6:7]
	v_mul_u32_u24_e32 v1, 0x84, v10
	v_lshlrev_b32_e32 v17, 4, v12
	s_waitcnt lgkmcnt(0)
	s_barrier
	v_add_lshl_u32 v16, v1, v4, 4
	ds_read_b128 v[18:21], v17 offset:18176
	ds_read_b128 v[22:25], v17 offset:18192
	ds_read_b128 v[26:29], v16
	ds_read_b128 v[30:33], v17 offset:18208
	ds_read_b128 v[46:49], v17 offset:18224
	v_add_lshl_u32 v11, v0, v4, 4
	ds_read_b128 v[0:3], v11
	s_waitcnt lgkmcnt(3)
	v_mul_f64 v[8:9], v[20:21], v[28:29]
	v_fma_f64 v[8:9], v[18:19], v[26:27], -v[8:9]
	v_mul_f64 v[18:19], v[18:19], v[28:29]
	v_fmac_f64_e32 v[18:19], v[20:21], v[26:27]
	v_add_f64 v[26:27], v[18:19], 0
	s_waitcnt lgkmcnt(0)
	v_mul_f64 v[18:19], v[24:25], v[2:3]
	v_fma_f64 v[28:29], v[22:23], v[0:1], -v[18:19]
	v_mul_f64 v[2:3], v[22:23], v[2:3]
	ds_read_b128 v[18:21], v11 offset:528
	v_fmac_f64_e32 v[2:3], v[24:25], v[0:1]
	v_add_f64 v[22:23], v[26:27], v[2:3]
	ds_read_b128 v[0:3], v11 offset:1056
	v_add_f64 v[8:9], v[8:9], 0
	s_waitcnt lgkmcnt(1)
	v_mul_f64 v[24:25], v[32:33], v[20:21]
	v_mul_f64 v[20:21], v[30:31], v[20:21]
	v_fmac_f64_e32 v[20:21], v[32:33], v[18:19]
	v_add_f64 v[8:9], v[8:9], v[28:29]
	v_fma_f64 v[24:25], v[30:31], v[18:19], -v[24:25]
	v_add_f64 v[18:19], v[22:23], v[20:21]
	s_waitcnt lgkmcnt(0)
	v_mul_f64 v[20:21], v[48:49], v[2:3]
	v_mul_f64 v[2:3], v[46:47], v[2:3]
	v_add_f64 v[8:9], v[8:9], v[24:25]
	v_fma_f64 v[20:21], v[46:47], v[0:1], -v[20:21]
	v_fmac_f64_e32 v[2:3], v[48:49], v[0:1]
	v_add_f64 v[0:1], v[8:9], v[20:21]
	v_add_f64 v[2:3], v[18:19], v[2:3]
	v_add_lshl_u32 v45, v10, v44, 4
	s_barrier
	ds_write_b128 v45, v[0:3]
	v_mov_b64_e32 v[0:1], 0
	v_cmp_gt_u32_e64 s[6:7], 32, v43
	v_mov_b64_e32 v[2:3], v[0:1]
	s_waitcnt lgkmcnt(0)
	s_barrier
	s_and_saveexec_b64 s[16:17], s[6:7]
	s_cbranch_execz .LBB60_60
; %bb.59:
	v_lshlrev_b32_e32 v30, 4, v44
	ds_read_b128 v[0:3], v30
	ds_read_b128 v[18:21], v30 offset:16
	ds_read_b128 v[22:25], v30 offset:32
	;; [unrolled: 1-line block ×3, first 2 shown]
	s_waitcnt lgkmcnt(2)
	v_add_f64 v[0:1], v[18:19], v[0:1]
	v_add_f64 v[8:9], v[20:21], v[2:3]
	s_waitcnt lgkmcnt(1)
	v_add_f64 v[18:19], v[0:1], v[22:23]
	ds_read_b128 v[0:3], v30 offset:64
	v_add_f64 v[8:9], v[8:9], v[24:25]
	s_waitcnt lgkmcnt(1)
	v_add_f64 v[22:23], v[18:19], v[26:27]
	ds_read_b128 v[18:21], v30 offset:80
	;; [unrolled: 4-line block ×3, first 2 shown]
	v_add_f64 v[8:9], v[8:9], v[2:3]
	ds_read_b128 v[0:3], v30 offset:112
	s_waitcnt lgkmcnt(2)
	v_add_f64 v[18:19], v[26:27], v[18:19]
	v_add_f64 v[8:9], v[8:9], v[20:21]
	s_waitcnt lgkmcnt(1)
	v_add_f64 v[18:19], v[18:19], v[22:23]
	v_add_f64 v[8:9], v[8:9], v[24:25]
	;; [unrolled: 3-line block ×3, first 2 shown]
.LBB60_60:
	s_or_b64 exec, exec, s[16:17]
	s_lshl_b64 s[16:17], s[24:25], 9
	v_lshl_add_u64 v[8:9], v[6:7], 0, s[16:17]
	s_mov_b64 s[38:39], 0x200
	v_cndmask_b32_e64 v6, 0, 1, s[20:21]
	v_cmp_ne_u32_e64 s[16:17], 1, v6
	s_andn2_b64 vcc, exec, s[20:21]
	v_lshl_add_u64 v[6:7], v[8:9], 0, s[38:39]
	s_barrier
	s_cbranch_vccnz .LBB60_62
; %bb.61:
	flat_load_dwordx4 v[18:21], v[6:7]
	v_mul_u32_u24_e32 v22, 33, v10
	s_lshl_b64 s[20:21], s[24:25], 7
	v_add_lshl_u32 v24, v22, v4, 4
	v_lshl_add_u64 v[22:23], v[8:9], 0, s[20:21]
	v_add_u32_e32 v25, 0x1080, v24
	s_mul_i32 s29, s25, 0x180
	s_waitcnt vmcnt(0) lgkmcnt(0)
	ds_write2_b64 v24, v[18:19], v[20:21] offset1:1
	flat_load_dwordx4 v[18:21], v[22:23] offset:512
	v_lshl_add_u64 v[22:23], v[22:23], 0, s[20:21]
	s_waitcnt vmcnt(0) lgkmcnt(0)
	ds_write2_b64 v25, v[18:19], v[20:21] offset1:1
	flat_load_dwordx4 v[18:21], v[22:23] offset:512
	v_mov_b32_e32 v22, 0x180
	v_mad_u64_u32 v[8:9], s[20:21], s24, v22, v[8:9]
	v_add_u32_e32 v22, 0x2100, v24
	v_add_u32_e32 v9, s29, v9
	s_waitcnt vmcnt(0) lgkmcnt(0)
	ds_write2_b64 v22, v[18:19], v[20:21] offset1:1
	flat_load_dwordx4 v[18:21], v[8:9] offset:512
	v_add_u32_e32 v8, 0x3180, v24
	s_waitcnt vmcnt(0) lgkmcnt(0)
	ds_write2_b64 v8, v[18:19], v[20:21] offset1:1
	s_cbranch_execz .LBB60_63
	s_branch .LBB60_80
.LBB60_62:
.LBB60_63:
	v_or_b32_e32 v18, 32, v4
	v_lshlrev_b32_e32 v8, 4, v18
	v_sub_co_u32_e32 v8, vcc, v6, v8
	s_ashr_i32 s29, s28, 31
	s_nop 0
	v_subbrev_co_u32_e32 v9, vcc, 0, v7, vcc
	v_lshl_add_u64 v[8:9], s[28:29], 4, v[8:9]
	v_lshl_add_u64 v[8:9], v[8:9], 0, -16
	v_cmp_gt_i32_e32 vcc, s28, v18
	s_sub_i32 s38, s28, 32
	v_mul_u32_u24_e32 v18, 33, v10
	v_cndmask_b32_e32 v9, v9, v7, vcc
	v_cndmask_b32_e32 v8, v8, v6, vcc
	v_cmp_le_i32_e64 s[20:21], s38, v10
	v_add_lshl_u32 v18, v18, v4, 4
	s_and_saveexec_b64 s[40:41], s[20:21]
	s_xor_b64 s[20:21], exec, s[40:41]
	s_cbranch_execz .LBB60_65
; %bb.64:
	v_mov_b32_e32 v20, 0
	v_mov_b32_e32 v21, v20
	;; [unrolled: 1-line block ×4, first 2 shown]
	ds_write_b128 v18, v[20:23]
.LBB60_65:
	s_andn2_saveexec_b64 s[20:21], s[20:21]
	s_cbranch_execz .LBB60_67
; %bb.66:
	flat_load_dwordx4 v[20:23], v[8:9]
	s_waitcnt vmcnt(0) lgkmcnt(0)
	ds_write2_b64 v18, v[20:21], v[22:23] offset1:1
.LBB60_67:
	s_or_b64 exec, exec, s[20:21]
	v_add_u32_e32 v19, 8, v10
	v_cmp_le_i32_e64 s[20:21], s38, v19
	s_and_saveexec_b64 s[40:41], s[20:21]
	s_xor_b64 s[20:21], exec, s[40:41]
	s_cbranch_execz .LBB60_69
; %bb.68:
	v_mul_u32_u24_e32 v19, 33, v19
	v_mov_b32_e32 v20, 0
	v_add_lshl_u32 v19, v19, v4, 4
	v_mov_b32_e32 v21, v20
	v_mov_b32_e32 v22, v20
	;; [unrolled: 1-line block ×3, first 2 shown]
	ds_write_b128 v19, v[20:23]
.LBB60_69:
	s_andn2_saveexec_b64 s[20:21], s[20:21]
	s_cbranch_execz .LBB60_71
; %bb.70:
	s_lshl_b64 s[40:41], s[24:25], 7
	v_lshl_add_u64 v[20:21], v[8:9], 0, s[40:41]
	flat_load_dwordx4 v[20:23], v[20:21]
	v_add_u32_e32 v19, 0x1080, v18
	s_waitcnt vmcnt(0) lgkmcnt(0)
	ds_write2_b64 v19, v[20:21], v[22:23] offset1:1
.LBB60_71:
	s_or_b64 exec, exec, s[20:21]
	v_add_u32_e32 v19, 16, v10
	v_cmp_le_i32_e64 s[20:21], s38, v19
	s_and_saveexec_b64 s[40:41], s[20:21]
	s_xor_b64 s[20:21], exec, s[40:41]
	s_cbranch_execz .LBB60_73
; %bb.72:
	v_mov_b32_e32 v20, 0
	v_mov_b32_e32 v21, v20
	;; [unrolled: 1-line block ×4, first 2 shown]
	ds_write_b128 v18, v[20:23] offset:8448
.LBB60_73:
	s_andn2_saveexec_b64 s[20:21], s[20:21]
	s_cbranch_execz .LBB60_75
; %bb.74:
	s_lshl_b64 s[40:41], s[24:25], 8
	v_lshl_add_u64 v[20:21], v[8:9], 0, s[40:41]
	flat_load_dwordx4 v[20:23], v[20:21]
	v_add_u32_e32 v19, 0x2100, v18
	s_waitcnt vmcnt(0) lgkmcnt(0)
	ds_write2_b64 v19, v[20:21], v[22:23] offset1:1
.LBB60_75:
	s_or_b64 exec, exec, s[20:21]
	v_add_u32_e32 v19, 24, v10
	v_cmp_le_i32_e64 s[20:21], s38, v19
	s_and_saveexec_b64 s[38:39], s[20:21]
	s_xor_b64 s[20:21], exec, s[38:39]
	s_cbranch_execz .LBB60_77
; %bb.76:
	v_mov_b32_e32 v20, 0
	v_mov_b32_e32 v21, v20
	;; [unrolled: 1-line block ×4, first 2 shown]
	ds_write_b128 v18, v[20:23] offset:12672
                                        ; implicit-def: $vgpr18
.LBB60_77:
	s_andn2_saveexec_b64 s[20:21], s[20:21]
	s_cbranch_execz .LBB60_79
; %bb.78:
	v_mov_b32_e32 v19, 0x180
	v_mad_u64_u32 v[20:21], s[38:39], s24, v19, v[8:9]
	s_mul_i32 s38, s25, 0x180
	s_nop 0
	v_add_u32_e32 v21, s38, v21
	flat_load_dwordx4 v[20:23], v[20:21]
	v_add_u32_e32 v18, 0x3180, v18
	s_waitcnt vmcnt(0) lgkmcnt(0)
	ds_write2_b64 v18, v[20:21], v[22:23] offset1:1
.LBB60_79:
	s_or_b64 exec, exec, s[20:21]
	v_lshlrev_b32_e32 v18, 4, v4
	v_mov_b32_e32 v19, 0
	v_lshl_add_u64 v[8:9], v[8:9], 0, v[18:19]
	s_lshl_b64 s[20:21], s[28:29], 4
	v_mov_b32_e32 v18, s21
	v_subrev_co_u32_e64 v8, s[20:21], s20, v8
	s_nop 1
	v_subb_co_u32_e64 v9, s[20:21], v9, v18, s[20:21]
	s_mov_b64 s[20:21], 0x210
	s_nop 0
	v_lshl_add_u64 v[8:9], v[8:9], 0, s[20:21]
	v_cndmask_b32_e32 v7, v9, v7, vcc
	v_cndmask_b32_e32 v6, v8, v6, vcc
.LBB60_80:
	v_add_u32_e32 v8, 0x4700, v17
	s_lshl_b64 s[20:21], s[24:25], 5
	s_waitcnt lgkmcnt(0)
	s_barrier
	s_and_saveexec_b64 s[38:39], s[8:9]
	s_xor_b64 s[8:9], exec, s[38:39]
	s_cbranch_execnz .LBB60_93
; %bb.81:
	s_andn2_saveexec_b64 s[8:9], s[8:9]
	s_cbranch_execnz .LBB60_96
.LBB60_82:
	s_or_b64 exec, exec, s[8:9]
	s_and_saveexec_b64 s[8:9], s[10:11]
	s_xor_b64 s[8:9], exec, s[8:9]
	s_cbranch_execnz .LBB60_97
.LBB60_83:
	s_andn2_saveexec_b64 s[8:9], s[8:9]
	s_cbranch_execnz .LBB60_100
.LBB60_84:
	s_or_b64 exec, exec, s[8:9]
	s_and_saveexec_b64 s[8:9], s[12:13]
	s_xor_b64 s[8:9], exec, s[8:9]
	s_cbranch_execnz .LBB60_101
.LBB60_85:
	s_andn2_saveexec_b64 s[8:9], s[8:9]
	s_cbranch_execnz .LBB60_104
.LBB60_86:
	s_or_b64 exec, exec, s[8:9]
	s_and_saveexec_b64 s[8:9], s[14:15]
	s_xor_b64 s[8:9], exec, s[8:9]
	s_cbranch_execnz .LBB60_105
.LBB60_87:
	s_andn2_saveexec_b64 s[8:9], s[8:9]
	s_cbranch_execz .LBB60_89
.LBB60_88:
	ds_read_b128 v[12:15], v11 offset:1056
	s_waitcnt lgkmcnt(0)
	v_xor_b32_e32 v15, 0x80000000, v15
	ds_write_b128 v5, v[12:15] offset:48
.LBB60_89:
	s_or_b64 exec, exec, s[8:9]
	s_waitcnt lgkmcnt(0)
	s_barrier
	ds_read_b128 v[12:15], v8 offset:512
	ds_read_b128 v[16:19], v16
	ds_read_b128 v[20:23], v8 offset:528
	ds_read_b128 v[24:27], v8 offset:544
	v_cmp_eq_u32_e64 s[8:9], 1, v10
	s_waitcnt lgkmcnt(2)
	v_mul_f64 v[28:29], v[14:15], v[18:19]
	v_fma_f64 v[40:41], v[12:13], v[16:17], -v[28:29]
	ds_read_b128 v[28:31], v8 offset:560
	ds_read_b128 v[32:35], v11
	v_mul_f64 v[12:13], v[12:13], v[18:19]
	v_fmac_f64_e32 v[12:13], v[14:15], v[16:17]
	v_add_f64 v[18:19], v[12:13], 0
	v_add_f64 v[16:17], v[40:41], 0
	s_waitcnt lgkmcnt(0)
	v_mul_f64 v[12:13], v[22:23], v[34:35]
	v_fma_f64 v[40:41], v[20:21], v[32:33], -v[12:13]
	v_mul_f64 v[20:21], v[20:21], v[34:35]
	ds_read_b128 v[12:15], v11 offset:528
	v_fmac_f64_e32 v[20:21], v[22:23], v[32:33]
	v_add_f64 v[22:23], v[16:17], v[40:41]
	v_add_f64 v[20:21], v[18:19], v[20:21]
	ds_read_b128 v[16:19], v11 offset:1056
	s_waitcnt lgkmcnt(1)
	v_mul_f64 v[32:33], v[26:27], v[14:15]
	v_mul_f64 v[14:15], v[24:25], v[14:15]
	v_fmac_f64_e32 v[14:15], v[26:27], v[12:13]
	v_fma_f64 v[32:33], v[24:25], v[12:13], -v[32:33]
	v_add_f64 v[14:15], v[20:21], v[14:15]
	s_waitcnt lgkmcnt(0)
	v_mul_f64 v[20:21], v[30:31], v[18:19]
	v_mul_f64 v[18:19], v[28:29], v[18:19]
	v_add_f64 v[12:13], v[22:23], v[32:33]
	v_fma_f64 v[20:21], v[28:29], v[16:17], -v[20:21]
	v_fmac_f64_e32 v[18:19], v[30:31], v[16:17]
	v_add_f64 v[12:13], v[12:13], v[20:21]
	v_add_f64 v[14:15], v[14:15], v[18:19]
	s_barrier
	ds_write_b128 v45, v[12:15]
	s_waitcnt lgkmcnt(0)
	s_barrier
	s_and_saveexec_b64 s[10:11], s[8:9]
	s_cbranch_execz .LBB60_91
; %bb.90:
	v_lshlrev_b32_e32 v9, 4, v44
	ds_read_b128 v[0:3], v9
	ds_read_b128 v[12:15], v9 offset:16
	ds_read_b128 v[16:19], v9 offset:32
	;; [unrolled: 1-line block ×3, first 2 shown]
	s_waitcnt lgkmcnt(2)
	v_add_f64 v[0:1], v[12:13], v[0:1]
	v_add_f64 v[12:13], v[14:15], v[2:3]
	s_waitcnt lgkmcnt(1)
	v_add_f64 v[14:15], v[0:1], v[16:17]
	ds_read_b128 v[0:3], v9 offset:64
	v_add_f64 v[12:13], v[12:13], v[18:19]
	s_waitcnt lgkmcnt(1)
	v_add_f64 v[16:17], v[14:15], v[20:21]
	v_add_f64 v[20:21], v[12:13], v[22:23]
	ds_read_b128 v[12:15], v9 offset:80
	s_waitcnt lgkmcnt(1)
	v_add_f64 v[22:23], v[16:17], v[0:1]
	ds_read_b128 v[16:19], v9 offset:96
	v_add_f64 v[20:21], v[20:21], v[2:3]
	ds_read_b128 v[0:3], v9 offset:112
	s_waitcnt lgkmcnt(2)
	v_add_f64 v[12:13], v[22:23], v[12:13]
	v_add_f64 v[14:15], v[20:21], v[14:15]
	s_waitcnt lgkmcnt(1)
	v_add_f64 v[12:13], v[12:13], v[16:17]
	v_add_f64 v[14:15], v[14:15], v[18:19]
	;; [unrolled: 3-line block ×3, first 2 shown]
.LBB60_91:
	s_or_b64 exec, exec, s[10:11]
	s_lshl_b64 s[10:11], s[20:21], 4
	v_mov_b32_e32 v9, s11
	v_subrev_co_u32_e64 v40, s[10:11], s10, v6
	s_and_b64 vcc, exec, s[16:17]
	s_nop 0
	v_subb_co_u32_e64 v41, s[10:11], v7, v9, s[10:11]
	s_barrier
	s_cbranch_vccnz .LBB60_108
; %bb.92:
	flat_load_dwordx4 v[12:15], v[40:41]
	v_mad_u32_u24 v9, v10, 33, v4
	s_lshl_b64 s[10:11], s[24:25], 7
	v_lshlrev_b32_e32 v20, 4, v9
	v_lshl_add_u64 v[6:7], v[40:41], 0, s[10:11]
	v_add_u32_e32 v11, 0x1080, v20
	s_mul_i32 s12, s25, 0x180
	s_waitcnt vmcnt(0) lgkmcnt(0)
	ds_write2_b64 v20, v[12:13], v[14:15] offset1:1
	flat_load_dwordx4 v[12:15], v[6:7]
	v_lshl_add_u64 v[6:7], v[6:7], 0, s[10:11]
	s_waitcnt vmcnt(0) lgkmcnt(0)
	ds_write2_b64 v11, v[12:13], v[14:15] offset1:1
	flat_load_dwordx4 v[12:15], v[6:7]
	v_mov_b32_e32 v6, 0x180
	v_mad_u64_u32 v[6:7], s[10:11], s24, v6, v[40:41]
	v_add_u32_e32 v11, 0x2100, v20
	v_add_u32_e32 v7, s12, v7
	s_waitcnt vmcnt(0) lgkmcnt(0)
	ds_write2_b64 v11, v[12:13], v[14:15] offset1:1
	flat_load_dwordx4 v[16:19], v[6:7]
	v_add_u32_e32 v11, 8, v10
	v_add_u32_e32 v12, 16, v10
	;; [unrolled: 1-line block ×7, first 2 shown]
	s_waitcnt vmcnt(0) lgkmcnt(0)
	ds_write2_b64 v15, v[16:17], v[18:19] offset1:1
	s_cbranch_execz .LBB60_109
	s_branch .LBB60_126
.LBB60_93:
	v_cmp_eq_u32_e32 vcc, v12, v4
	s_and_saveexec_b64 s[38:39], vcc
	s_cbranch_execz .LBB60_95
; %bb.94:
	v_mul_u32_u24_e32 v9, 34, v4
	v_mov_b32_e32 v18, 0
	v_lshlrev_b32_e32 v9, 4, v9
	v_mov_b32_e32 v19, v18
	ds_write_b64 v9, v[18:19] offset:8
.LBB60_95:
	s_or_b64 exec, exec, s[38:39]
	s_andn2_saveexec_b64 s[8:9], s[8:9]
	s_cbranch_execz .LBB60_82
.LBB60_96:
	ds_read_b128 v[18:21], v16
	s_waitcnt lgkmcnt(0)
	v_xor_b32_e32 v21, 0x80000000, v21
	ds_write_b128 v5, v[18:21]
	s_or_b64 exec, exec, s[8:9]
	s_and_saveexec_b64 s[8:9], s[10:11]
	s_xor_b64 s[8:9], exec, s[8:9]
	s_cbranch_execz .LBB60_83
.LBB60_97:
	v_cmp_eq_u32_e32 vcc, v13, v4
	s_and_saveexec_b64 s[10:11], vcc
	s_cbranch_execz .LBB60_99
; %bb.98:
	v_mul_u32_u24_e32 v9, 34, v4
	v_mov_b32_e32 v12, 0
	v_lshlrev_b32_e32 v9, 4, v9
	v_mov_b32_e32 v13, v12
	ds_write_b64 v9, v[12:13] offset:8
.LBB60_99:
	s_or_b64 exec, exec, s[10:11]
	s_andn2_saveexec_b64 s[8:9], s[8:9]
	s_cbranch_execz .LBB60_84
.LBB60_100:
	ds_read_b128 v[18:21], v11
	s_waitcnt lgkmcnt(0)
	v_xor_b32_e32 v21, 0x80000000, v21
	ds_write_b128 v5, v[18:21] offset:16
	s_or_b64 exec, exec, s[8:9]
	s_and_saveexec_b64 s[8:9], s[12:13]
	s_xor_b64 s[8:9], exec, s[8:9]
	s_cbranch_execz .LBB60_85
.LBB60_101:
	v_cmp_eq_u32_e32 vcc, v14, v4
	s_and_saveexec_b64 s[10:11], vcc
	s_cbranch_execz .LBB60_103
; %bb.102:
	v_mul_u32_u24_e32 v9, 34, v4
	v_mov_b32_e32 v12, 0
	v_lshlrev_b32_e32 v9, 4, v9
	v_mov_b32_e32 v13, v12
	ds_write_b64 v9, v[12:13] offset:8
.LBB60_103:
	s_or_b64 exec, exec, s[10:11]
	s_andn2_saveexec_b64 s[8:9], s[8:9]
	s_cbranch_execz .LBB60_86
.LBB60_104:
	ds_read_b128 v[18:21], v11 offset:528
	s_waitcnt lgkmcnt(0)
	v_xor_b32_e32 v21, 0x80000000, v21
	ds_write_b128 v5, v[18:21] offset:32
	s_or_b64 exec, exec, s[8:9]
	s_and_saveexec_b64 s[8:9], s[14:15]
	s_xor_b64 s[8:9], exec, s[8:9]
	s_cbranch_execz .LBB60_87
.LBB60_105:
	v_cmp_eq_u32_e32 vcc, v15, v4
	s_and_saveexec_b64 s[10:11], vcc
	s_cbranch_execz .LBB60_107
; %bb.106:
	v_mul_u32_u24_e32 v9, 34, v4
	v_mov_b32_e32 v12, 0
	v_lshlrev_b32_e32 v9, 4, v9
	v_mov_b32_e32 v13, v12
	ds_write_b64 v9, v[12:13] offset:8
.LBB60_107:
	s_or_b64 exec, exec, s[10:11]
	s_andn2_saveexec_b64 s[8:9], s[8:9]
	s_cbranch_execnz .LBB60_88
	s_branch .LBB60_89
.LBB60_108:
                                        ; implicit-def: $vgpr9
                                        ; implicit-def: $vgpr11
                                        ; implicit-def: $vgpr7
                                        ; implicit-def: $vgpr12
                                        ; implicit-def: $vgpr6
                                        ; implicit-def: $vgpr13
                                        ; implicit-def: $vgpr14
.LBB60_109:
	v_or_b32_e32 v9, 32, v4
	v_lshlrev_b32_e32 v6, 4, v9
	v_sub_co_u32_e32 v6, vcc, v40, v6
	s_ashr_i32 s29, s28, 31
	s_nop 0
	v_subbrev_co_u32_e32 v7, vcc, 0, v41, vcc
	v_lshl_add_u64 v[6:7], s[28:29], 4, v[6:7]
	v_lshl_add_u64 v[6:7], v[6:7], 0, -16
	v_cmp_gt_i32_e32 vcc, s28, v9
	v_mad_u32_u24 v9, v10, 33, v4
	v_cmp_le_i32_e64 s[10:11], s28, v10
	v_cndmask_b32_e32 v7, v7, v41, vcc
	v_cndmask_b32_e32 v6, v6, v40, vcc
	v_lshlrev_b32_e32 v15, 4, v9
	s_and_saveexec_b64 s[12:13], s[10:11]
	s_xor_b64 s[10:11], exec, s[12:13]
	s_cbranch_execz .LBB60_111
; %bb.110:
	v_mov_b32_e32 v16, 0
	v_mov_b32_e32 v17, v16
	;; [unrolled: 1-line block ×4, first 2 shown]
	ds_write_b128 v15, v[16:19]
.LBB60_111:
	s_andn2_saveexec_b64 s[10:11], s[10:11]
	s_cbranch_execz .LBB60_113
; %bb.112:
	flat_load_dwordx4 v[16:19], v[6:7]
	s_waitcnt vmcnt(0) lgkmcnt(0)
	ds_write2_b64 v15, v[16:17], v[18:19] offset1:1
.LBB60_113:
	s_or_b64 exec, exec, s[10:11]
	v_add_u32_e32 v11, 8, v10
	v_cmp_le_i32_e64 s[10:11], s28, v11
	s_and_saveexec_b64 s[12:13], s[10:11]
	s_xor_b64 s[10:11], exec, s[12:13]
	s_cbranch_execz .LBB60_115
; %bb.114:
	v_mul_u32_u24_e32 v12, 33, v11
	v_mov_b32_e32 v16, 0
	v_add_lshl_u32 v12, v12, v4, 4
	v_mov_b32_e32 v17, v16
	v_mov_b32_e32 v18, v16
	;; [unrolled: 1-line block ×3, first 2 shown]
	ds_write_b128 v12, v[16:19]
.LBB60_115:
	s_andn2_saveexec_b64 s[10:11], s[10:11]
	s_cbranch_execz .LBB60_117
; %bb.116:
	s_lshl_b64 s[12:13], s[24:25], 7
	v_lshl_add_u64 v[12:13], v[6:7], 0, s[12:13]
	flat_load_dwordx4 v[16:19], v[12:13]
	v_add_u32_e32 v12, 0x1080, v15
	s_waitcnt vmcnt(0) lgkmcnt(0)
	ds_write2_b64 v12, v[16:17], v[18:19] offset1:1
.LBB60_117:
	s_or_b64 exec, exec, s[10:11]
	v_add_u32_e32 v12, 16, v10
	v_cmp_le_i32_e64 s[10:11], s28, v12
	s_and_saveexec_b64 s[12:13], s[10:11]
	s_xor_b64 s[10:11], exec, s[12:13]
	s_cbranch_execz .LBB60_119
; %bb.118:
	v_mul_u32_u24_e32 v13, 33, v12
	v_mov_b32_e32 v16, 0
	v_add_lshl_u32 v13, v13, v4, 4
	v_mov_b32_e32 v17, v16
	v_mov_b32_e32 v18, v16
	;; [unrolled: 1-line block ×3, first 2 shown]
	ds_write_b128 v13, v[16:19]
.LBB60_119:
	s_andn2_saveexec_b64 s[10:11], s[10:11]
	s_cbranch_execz .LBB60_121
; %bb.120:
	s_lshl_b64 s[12:13], s[24:25], 8
	v_lshl_add_u64 v[16:17], v[6:7], 0, s[12:13]
	flat_load_dwordx4 v[16:19], v[16:17]
	v_add_u32_e32 v13, 0x2100, v15
	s_waitcnt vmcnt(0) lgkmcnt(0)
	ds_write2_b64 v13, v[16:17], v[18:19] offset1:1
.LBB60_121:
	s_or_b64 exec, exec, s[10:11]
	v_add_u32_e32 v13, 24, v10
	v_cmp_le_i32_e64 s[10:11], s28, v13
                                        ; implicit-def: $vgpr14
	s_and_saveexec_b64 s[12:13], s[10:11]
	s_xor_b64 s[10:11], exec, s[12:13]
	s_cbranch_execz .LBB60_123
; %bb.122:
	v_mov_b32_e32 v16, 0
	v_add_u32_e32 v14, 0x318, v9
	v_mov_b32_e32 v17, v16
	v_mov_b32_e32 v18, v16
	;; [unrolled: 1-line block ×3, first 2 shown]
	ds_write_b128 v15, v[16:19] offset:12672
                                        ; implicit-def: $vgpr15
.LBB60_123:
	s_andn2_saveexec_b64 s[10:11], s[10:11]
	s_cbranch_execz .LBB60_125
; %bb.124:
	v_mov_b32_e32 v14, 0x180
	v_mad_u64_u32 v[16:17], s[12:13], s24, v14, v[6:7]
	s_mul_i32 s12, s25, 0x180
	s_nop 0
	v_add_u32_e32 v17, s12, v17
	flat_load_dwordx4 v[16:19], v[16:17]
	v_add_u32_e32 v14, 0x318, v9
	v_add_u32_e32 v15, 0x3180, v15
	s_waitcnt vmcnt(0) lgkmcnt(0)
	ds_write2_b64 v15, v[16:17], v[18:19] offset1:1
.LBB60_125:
	s_or_b64 exec, exec, s[10:11]
	v_lshlrev_b32_e32 v16, 4, v4
	v_mov_b32_e32 v17, 0
	v_lshl_add_u64 v[6:7], v[6:7], 0, v[16:17]
	s_lshl_b64 s[10:11], s[28:29], 4
	v_mov_b32_e32 v4, s11
	v_subrev_co_u32_e64 v6, s[10:11], s10, v6
	s_nop 1
	v_subb_co_u32_e64 v7, s[10:11], v7, v4, s[10:11]
	s_mov_b64 s[10:11], 0x210
	s_nop 0
	v_lshl_add_u64 v[6:7], v[6:7], 0, s[10:11]
	v_cndmask_b32_e32 v41, v7, v41, vcc
	v_cndmask_b32_e32 v40, v6, v40, vcc
	v_add_u32_e32 v7, 0x108, v9
	v_add_u32_e32 v6, 0x210, v9
.LBB60_126:
	v_lshlrev_b32_e32 v4, 4, v9
	v_lshlrev_b32_e32 v9, 4, v10
	s_waitcnt lgkmcnt(0)
	s_barrier
	ds_read_b128 v[46:49], v9 offset:18176
	ds_read_b128 v[50:53], v4
	v_lshlrev_b32_e32 v4, 4, v7
	v_lshlrev_b32_e32 v7, 4, v11
	ds_read_b128 v[54:57], v7 offset:18176
	ds_read_b128 v[58:61], v4
	v_lshlrev_b32_e32 v4, 4, v6
	v_lshlrev_b32_e32 v6, 4, v12
	ds_read_b128 v[62:65], v6 offset:18176
	ds_read_b128 v[66:69], v4
	v_lshlrev_b32_e32 v6, 4, v13
	s_waitcnt lgkmcnt(4)
	v_mul_f64 v[10:11], v[48:49], v[52:53]
	v_lshlrev_b32_e32 v4, 4, v14
	ds_read_b128 v[70:73], v6 offset:18176
	ds_read_b128 v[74:77], v4
	v_fma_f64 v[10:11], v[46:47], v[50:51], -v[10:11]
	s_waitcnt lgkmcnt(4)
	v_mul_f64 v[16:17], v[56:57], v[60:61]
	v_add_f64 v[10:11], v[10:11], 0
	v_fma_f64 v[16:17], v[54:55], v[58:59], -v[16:17]
	v_add_f64 v[6:7], v[10:11], v[16:17]
	s_waitcnt lgkmcnt(2)
	v_mul_f64 v[10:11], v[64:65], v[68:69]
	v_fma_f64 v[10:11], v[62:63], v[66:67], -v[10:11]
	v_add_f64 v[6:7], v[6:7], v[10:11]
	s_waitcnt lgkmcnt(0)
	v_mul_f64 v[10:11], v[72:73], v[76:77]
	v_fma_f64 v[10:11], v[70:71], v[74:75], -v[10:11]
	v_add_f64 v[78:79], v[6:7], v[10:11]
	ds_read_b128 v[28:31], v5
	ds_read_b128 v[20:23], v5 offset:16
	ds_read_b128 v[12:15], v5 offset:32
	;; [unrolled: 1-line block ×7, first 2 shown]
	v_mul_f64 v[46:47], v[46:47], v[52:53]
	v_fmac_f64_e32 v[46:47], v[48:49], v[50:51]
	v_mul_f64 v[48:49], v[54:55], v[60:61]
	v_add_f64 v[46:47], v[46:47], 0
	v_fmac_f64_e32 v[48:49], v[56:57], v[58:59]
	v_add_f64 v[46:47], v[46:47], v[48:49]
	v_mul_f64 v[48:49], v[62:63], v[68:69]
	v_fmac_f64_e32 v[48:49], v[64:65], v[66:67]
	v_add_f64 v[46:47], v[46:47], v[48:49]
	v_mul_f64 v[48:49], v[70:71], v[76:77]
	v_fmac_f64_e32 v[48:49], v[72:73], v[74:75]
	v_add_f64 v[80:81], v[46:47], v[48:49]
	s_waitcnt lgkmcnt(0)
	s_barrier
	ds_write_b128 v45, v[78:81]
	s_waitcnt lgkmcnt(0)
	s_barrier
	s_and_saveexec_b64 s[10:11], s[8:9]
	s_cbranch_execz .LBB60_128
; %bb.127:
	v_lshlrev_b32_e32 v62, 4, v44
	ds_read_b128 v[46:49], v62
	ds_read_b128 v[50:53], v62 offset:16
	ds_read_b128 v[54:57], v62 offset:32
	;; [unrolled: 1-line block ×3, first 2 shown]
	s_waitcnt lgkmcnt(3)
	v_add_f64 v[0:1], v[0:1], v[46:47]
	v_add_f64 v[2:3], v[2:3], v[48:49]
	s_waitcnt lgkmcnt(2)
	v_add_f64 v[0:1], v[0:1], v[50:51]
	v_add_f64 v[46:47], v[2:3], v[52:53]
	s_waitcnt lgkmcnt(1)
	v_add_f64 v[48:49], v[0:1], v[54:55]
	ds_read_b128 v[0:3], v62 offset:64
	v_add_f64 v[46:47], v[46:47], v[56:57]
	s_waitcnt lgkmcnt(1)
	v_add_f64 v[50:51], v[48:49], v[58:59]
	v_add_f64 v[54:55], v[46:47], v[60:61]
	ds_read_b128 v[46:49], v62 offset:80
	s_waitcnt lgkmcnt(1)
	v_add_f64 v[56:57], v[50:51], v[0:1]
	ds_read_b128 v[50:53], v62 offset:96
	v_add_f64 v[54:55], v[54:55], v[2:3]
	ds_read_b128 v[0:3], v62 offset:112
	s_waitcnt lgkmcnt(2)
	v_add_f64 v[46:47], v[56:57], v[46:47]
	v_add_f64 v[48:49], v[54:55], v[48:49]
	s_waitcnt lgkmcnt(1)
	v_add_f64 v[46:47], v[46:47], v[50:51]
	v_add_f64 v[48:49], v[48:49], v[52:53]
	;; [unrolled: 3-line block ×3, first 2 shown]
.LBB60_128:
	s_or_b64 exec, exec, s[10:11]
	v_mul_f64 v[46:47], v[30:31], v[34:35]
	v_mul_f64 v[30:31], v[30:31], v[32:33]
	v_fmac_f64_e32 v[46:47], v[28:29], v[32:33]
	v_fma_f64 v[28:29], v[28:29], v[34:35], -v[30:31]
	v_mul_f64 v[32:33], v[22:23], v[26:27]
	v_mul_f64 v[22:23], v[22:23], v[24:25]
	v_add_f64 v[30:31], v[46:47], 0
	v_add_f64 v[28:29], v[28:29], 0
	v_fmac_f64_e32 v[32:33], v[20:21], v[24:25]
	v_fma_f64 v[20:21], v[20:21], v[26:27], -v[22:23]
	v_mul_f64 v[24:25], v[14:15], v[18:19]
	v_mul_f64 v[14:15], v[14:15], v[16:17]
	v_add_f64 v[22:23], v[30:31], v[32:33]
	v_add_f64 v[20:21], v[28:29], v[20:21]
	;; [unrolled: 6-line block ×3, first 2 shown]
	v_fmac_f64_e32 v[16:17], v[4:5], v[8:9]
	v_fma_f64 v[6:7], v[4:5], v[10:11], -v[6:7]
	v_add_f64 v[4:5], v[14:15], v[16:17]
	v_add_f64 v[6:7], v[12:13], v[6:7]
	s_barrier
	ds_write_b128 v45, v[4:7]
	s_waitcnt lgkmcnt(0)
	s_barrier
	s_and_saveexec_b64 s[8:9], s[6:7]
	s_cbranch_execz .LBB60_130
; %bb.129:
	v_lshlrev_b32_e32 v20, 4, v44
	ds_read_b128 v[4:7], v20
	ds_read_b128 v[8:11], v20 offset:16
	ds_read_b128 v[12:15], v20 offset:32
	;; [unrolled: 1-line block ×3, first 2 shown]
	s_waitcnt lgkmcnt(3)
	v_add_f64 v[0:1], v[0:1], v[4:5]
	v_add_f64 v[2:3], v[2:3], v[6:7]
	s_waitcnt lgkmcnt(2)
	v_add_f64 v[0:1], v[0:1], v[8:9]
	v_add_f64 v[4:5], v[2:3], v[10:11]
	s_waitcnt lgkmcnt(1)
	v_add_f64 v[6:7], v[0:1], v[12:13]
	ds_read_b128 v[0:3], v20 offset:64
	v_add_f64 v[4:5], v[4:5], v[14:15]
	s_waitcnt lgkmcnt(1)
	v_add_f64 v[8:9], v[6:7], v[16:17]
	v_add_f64 v[12:13], v[4:5], v[18:19]
	ds_read_b128 v[4:7], v20 offset:80
	s_waitcnt lgkmcnt(1)
	v_add_f64 v[14:15], v[8:9], v[0:1]
	ds_read_b128 v[8:11], v20 offset:96
	v_add_f64 v[12:13], v[12:13], v[2:3]
	ds_read_b128 v[0:3], v20 offset:112
	s_waitcnt lgkmcnt(2)
	v_add_f64 v[4:5], v[14:15], v[4:5]
	v_add_f64 v[6:7], v[12:13], v[6:7]
	s_waitcnt lgkmcnt(1)
	v_add_f64 v[4:5], v[4:5], v[8:9]
	v_add_f64 v[6:7], v[6:7], v[10:11]
	;; [unrolled: 3-line block ×3, first 2 shown]
.LBB60_130:
	s_or_b64 exec, exec, s[8:9]
	s_load_dwordx2 s[0:1], s[0:1], 0x78
	s_mul_hi_u32 s6, s3, s26
	s_mul_i32 s33, s33, s26
	s_add_i32 s6, s6, s33
	s_mul_i32 s8, s3, s26
	s_mul_i32 s6, s6, s27
	s_mul_hi_u32 s7, s8, s27
	s_add_i32 s7, s7, s6
	s_mul_i32 s6, s8, s27
	s_lshl_b64 s[6:7], s[6:7], 4
	s_waitcnt lgkmcnt(0)
	s_add_u32 s6, s0, s6
	s_mul_i32 s0, s2, s3
	s_addc_u32 s7, s1, s7
	s_ashr_i32 s1, s0, 31
	s_lshl_b64 s[0:1], s[0:1], 4
	s_add_u32 s6, s6, s0
	v_cmp_le_i32_e32 vcc, s28, v42
	s_addc_u32 s7, s7, s1
	s_and_b64 vcc, s[36:37], vcc
	s_cmp_lt_i32 s2, 1
	v_lshlrev_b32_e32 v134, 4, v42
	s_barrier
	s_cbranch_scc1 .LBB60_137
; %bb.131:
	s_mul_i32 s0, s30, s23
	s_mul_hi_u32 s1, s30, s22
	s_add_i32 s0, s1, s0
	s_mul_i32 s1, s31, s22
	s_add_i32 s1, s0, s1
	s_mul_i32 s0, s30, s22
	s_lshl_b64 s[0:1], s[0:1], 4
	v_mov_b32_e32 v4, s1
	v_subrev_co_u32_e64 v136, s[0:1], s0, v36
	v_lshlrev_b32_e32 v9, 2, v142
	s_nop 0
	v_subb_co_u32_e64 v137, s[0:1], v37, v4, s[0:1]
	v_mov_b32_e32 v4, s35
	v_subrev_co_u32_e64 v6, s[0:1], s34, v40
	s_ashr_i32 s29, s28, 31
	s_nop 0
	v_subb_co_u32_e64 v7, s[0:1], v41, v4, s[0:1]
	v_lshlrev_b64 v[4:5], 4, v[38:39]
	v_sub_co_u32_e64 v4, s[0:1], v6, v4
	v_mov_b32_e32 v139, 0
	s_nop 0
	v_subb_co_u32_e64 v5, s[0:1], v7, v5, s[0:1]
	v_mad_u64_u32 v[6:7], s[0:1], v9, s24, 0
	v_mov_b32_e32 v8, v7
	v_mad_u64_u32 v[8:9], s[0:1], v9, s25, v[8:9]
	v_mov_b32_e32 v7, v8
	s_movk_i32 s0, 0xfe00
	v_lshl_add_u64 v[4:5], v[6:7], 4, v[4:5]
	s_mov_b32 s1, -1
	v_lshl_add_u64 v[4:5], v[4:5], 0, s[0:1]
	v_lshl_add_u64 v[6:7], s[28:29], 4, v[4:5]
	v_mov_b32_e32 v135, v139
	v_lshl_add_u64 v[6:7], v[6:7], 0, -16
	v_lshl_add_u64 v[4:5], v[4:5], 0, v[134:135]
	v_cndmask_b32_e32 v8, v4, v6, vcc
	v_and_b32_e32 v4, 48, v42
	v_and_b32_e32 v10, 15, v42
	v_cndmask_b32_e32 v9, v5, v7, vcc
	v_lshlrev_b32_e32 v5, 4, v4
	s_movk_i32 s3, 0x430
	v_mad_u32_u24 v144, v10, s3, v5
	v_or_b32_e32 v5, 0xf0, v134
	v_mad_u32_u24 v145, v10, s3, v5
	v_lshlrev_b32_e32 v5, 2, v43
	v_and_b32_e32 v5, 0x7ffc0, v5
	v_mad_u32_u24 v146, v10, s3, v5
	v_mov_b32_e32 v5, 0x4300
	v_lshl_add_u32 v147, v142, 6, v5
	v_and_b32_e32 v5, 0x1fff0, v43
	s_movk_i32 s8, 0x10c0
	v_mad_u32_u24 v149, v10, s3, v5
	s_mul_i32 s3, s25, 0xd0
	s_mul_hi_u32 s10, s24, 0xd0
	v_add_u32_e32 v135, 0x4300, v134
	v_add_u32_e32 v143, 0x4700, v134
	v_cmp_gt_u32_e64 s[0:1], 64, v43
	v_mad_u32_u24 v148, v142, s8, v134
	s_lshl_b64 s[8:9], s[24:25], 4
	s_add_i32 s11, s10, s3
	s_mul_i32 s10, s24, 0xd0
	v_or_b32_e32 v150, v4, v10
	s_mov_b32 s3, 0
	s_branch .LBB60_133
.LBB60_132:                             ;   in Loop: Header=BB60_133 Depth=1
	s_or_b64 exec, exec, s[12:13]
	v_mul_f64 v[152:153], v[6:7], v[22:23]
	v_fma_f64 v[152:153], v[4:5], v[20:21], -v[152:153]
	v_mul_f64 v[4:5], v[4:5], v[22:23]
	v_mul_f64 v[22:23], v[10:11], v[42:43]
	v_add_f64 v[0:1], v[0:1], v[152:153]
	v_fma_f64 v[22:23], v[8:9], v[40:41], -v[22:23]
	v_add_f64 v[0:1], v[0:1], v[22:23]
	v_mul_f64 v[22:23], v[14:15], v[46:47]
	v_fma_f64 v[22:23], v[12:13], v[44:45], -v[22:23]
	v_add_f64 v[0:1], v[0:1], v[22:23]
	v_mul_f64 v[22:23], v[18:19], v[50:51]
	v_fmac_f64_e32 v[4:5], v[6:7], v[20:21]
	v_fma_f64 v[22:23], v[16:17], v[48:49], -v[22:23]
	v_add_f64 v[2:3], v[2:3], v[4:5]
	v_mul_f64 v[4:5], v[26:27], v[70:71]
	v_add_f64 v[0:1], v[0:1], v[22:23]
	v_fma_f64 v[4:5], v[24:25], v[68:69], -v[4:5]
	v_add_f64 v[0:1], v[0:1], v[4:5]
	v_mul_f64 v[4:5], v[30:31], v[82:83]
	v_fma_f64 v[4:5], v[28:29], v[80:81], -v[4:5]
	v_add_f64 v[0:1], v[0:1], v[4:5]
	v_mul_f64 v[4:5], v[38:39], v[78:79]
	v_fma_f64 v[4:5], v[36:37], v[76:77], -v[4:5]
	v_add_f64 v[0:1], v[0:1], v[4:5]
	v_mul_f64 v[4:5], v[34:35], v[74:75]
	v_fma_f64 v[4:5], v[32:33], v[72:73], -v[4:5]
	v_mul_f64 v[8:9], v[8:9], v[42:43]
	v_add_f64 v[0:1], v[0:1], v[4:5]
	v_mul_f64 v[4:5], v[66:67], v[102:103]
	v_mul_f64 v[12:13], v[12:13], v[46:47]
	v_fmac_f64_e32 v[8:9], v[10:11], v[40:41]
	v_fma_f64 v[4:5], v[64:65], v[100:101], -v[4:5]
	v_mul_f64 v[16:17], v[16:17], v[50:51]
	v_add_f64 v[2:3], v[2:3], v[8:9]
	v_fmac_f64_e32 v[12:13], v[14:15], v[44:45]
	v_add_f64 v[0:1], v[0:1], v[4:5]
	v_mul_f64 v[4:5], v[62:63], v[118:119]
	v_add_f64 v[2:3], v[2:3], v[12:13]
	v_fmac_f64_e32 v[16:17], v[18:19], v[48:49]
	v_mul_f64 v[6:7], v[24:25], v[70:71]
	v_fma_f64 v[4:5], v[60:61], v[116:117], -v[4:5]
	v_add_f64 v[2:3], v[2:3], v[16:17]
	v_mul_f64 v[8:9], v[28:29], v[82:83]
	v_fmac_f64_e32 v[6:7], v[26:27], v[68:69]
	v_add_f64 v[0:1], v[0:1], v[4:5]
	v_mul_f64 v[4:5], v[58:59], v[114:115]
	v_mul_f64 v[10:11], v[36:37], v[78:79]
	v_add_f64 v[2:3], v[2:3], v[6:7]
	v_fmac_f64_e32 v[8:9], v[30:31], v[80:81]
	v_fma_f64 v[4:5], v[56:57], v[112:113], -v[4:5]
	v_mul_f64 v[12:13], v[32:33], v[74:75]
	v_add_f64 v[2:3], v[2:3], v[8:9]
	v_fmac_f64_e32 v[10:11], v[38:39], v[76:77]
	v_add_f64 v[0:1], v[0:1], v[4:5]
	v_mul_f64 v[4:5], v[54:55], v[110:111]
	v_add_f64 v[2:3], v[2:3], v[10:11]
	v_fmac_f64_e32 v[12:13], v[34:35], v[72:73]
	v_mul_f64 v[6:7], v[64:65], v[102:103]
	v_fma_f64 v[4:5], v[52:53], v[108:109], -v[4:5]
	v_add_f64 v[2:3], v[2:3], v[12:13]
	v_mul_f64 v[8:9], v[60:61], v[118:119]
	v_add_f64 v[0:1], v[0:1], v[4:5]
	v_fmac_f64_e32 v[6:7], v[66:67], v[100:101]
	v_mul_f64 v[4:5], v[86:87], v[106:107]
	v_mul_f64 v[10:11], v[56:57], v[114:115]
	v_add_f64 v[2:3], v[2:3], v[6:7]
	v_fmac_f64_e32 v[8:9], v[62:63], v[116:117]
	v_fma_f64 v[4:5], v[84:85], v[104:105], -v[4:5]
	v_mul_f64 v[12:13], v[52:53], v[110:111]
	v_add_f64 v[2:3], v[2:3], v[8:9]
	v_fmac_f64_e32 v[10:11], v[58:59], v[112:113]
	v_add_f64 v[0:1], v[0:1], v[4:5]
	v_mul_f64 v[4:5], v[90:91], v[122:123]
	v_add_f64 v[2:3], v[2:3], v[10:11]
	v_fmac_f64_e32 v[12:13], v[54:55], v[108:109]
	v_mul_f64 v[6:7], v[84:85], v[106:107]
	v_fma_f64 v[4:5], v[88:89], v[120:121], -v[4:5]
	v_add_f64 v[2:3], v[2:3], v[12:13]
	v_mul_f64 v[8:9], v[88:89], v[122:123]
	v_add_f64 v[0:1], v[0:1], v[4:5]
	v_mul_f64 v[4:5], v[94:95], v[126:127]
	v_fmac_f64_e32 v[6:7], v[86:87], v[104:105]
	v_fma_f64 v[4:5], v[92:93], v[124:125], -v[4:5]
	v_mul_f64 v[10:11], v[92:93], v[126:127]
	v_fmac_f64_e32 v[8:9], v[90:91], v[120:121]
	v_add_f64 v[2:3], v[2:3], v[6:7]
	v_add_f64 v[0:1], v[0:1], v[4:5]
	v_mul_f64 v[4:5], v[98:99], v[130:131]
	v_mul_f64 v[12:13], v[96:97], v[130:131]
	v_fmac_f64_e32 v[10:11], v[94:95], v[124:125]
	v_add_f64 v[2:3], v[2:3], v[8:9]
	v_fma_f64 v[4:5], v[96:97], v[128:129], -v[4:5]
	v_fmac_f64_e32 v[12:13], v[98:99], v[128:129]
	v_add_f64 v[2:3], v[2:3], v[10:11]
	s_add_i32 s3, s3, 64
	s_add_i32 s2, s2, -1
	v_add_f64 v[0:1], v[0:1], v[4:5]
	v_add_f64 v[2:3], v[2:3], v[12:13]
	s_cmp_eq_u32 s2, 0
	v_lshl_add_u64 v[8:9], v[140:141], 0, s[10:11]
	s_barrier
	s_cbranch_scc1 .LBB60_137
.LBB60_133:                             ; =>This Inner Loop Header: Depth=1
	s_and_saveexec_b64 s[12:13], s[18:19]
	s_cbranch_execz .LBB60_135
; %bb.134:                              ;   in Loop: Header=BB60_133 Depth=1
	s_mul_i32 s14, s3, s23
	s_mul_hi_u32 s15, s3, s22
	s_add_i32 s15, s15, s14
	s_mul_i32 s14, s3, s22
	v_lshl_add_u64 v[4:5], s[14:15], 4, v[136:137]
	flat_load_dwordx4 v[4:7], v[4:5]
	s_waitcnt vmcnt(0) lgkmcnt(0)
	ds_write2_b64 v135, v[4:5], v[6:7] offset1:1
.LBB60_135:                             ;   in Loop: Header=BB60_133 Depth=1
	s_or_b64 exec, exec, s[12:13]
	s_waitcnt lgkmcnt(0)
	s_barrier
	flat_load_dwordx4 v[4:7], v[8:9]
	v_lshl_add_u64 v[12:13], v[8:9], 0, s[8:9]
	flat_load_dwordx4 v[8:11], v[12:13]
	v_lshl_add_u64 v[16:17], v[12:13], 0, s[8:9]
	;; [unrolled: 2-line block ×3, first 2 shown]
	flat_load_dwordx4 v[16:19], v[28:29]
	ds_read_b128 v[24:27], v143
	ds_read_b128 v[20:23], v147
	v_lshl_add_u64 v[36:37], v[28:29], 0, s[10:11]
	s_waitcnt vmcnt(0) lgkmcnt(0)
	v_mul_f64 v[28:29], v[6:7], v[26:27]
	v_mul_f64 v[30:31], v[6:7], v[24:25]
	v_fmac_f64_e32 v[28:29], v[4:5], v[24:25]
	v_fma_f64 v[30:31], v[4:5], v[26:27], -v[30:31]
	v_mul_f64 v[32:33], v[10:11], v[26:27]
	v_mul_f64 v[34:35], v[10:11], v[24:25]
	ds_write_b128 v148, v[28:31]
	v_fmac_f64_e32 v[32:33], v[8:9], v[24:25]
	v_fma_f64 v[34:35], v[8:9], v[26:27], -v[34:35]
	v_mul_f64 v[28:29], v[14:15], v[26:27]
	v_mul_f64 v[30:31], v[14:15], v[24:25]
	ds_read_b128 v[40:43], v147 offset:16
	ds_write_b128 v148, v[32:35] offset:1072
	v_fmac_f64_e32 v[28:29], v[12:13], v[24:25]
	v_fma_f64 v[30:31], v[12:13], v[26:27], -v[30:31]
	v_mul_f64 v[32:33], v[18:19], v[26:27]
	v_mul_f64 v[34:35], v[18:19], v[24:25]
	ds_read_b128 v[44:47], v147 offset:32
	ds_write_b128 v148, v[28:31] offset:2144
	v_fmac_f64_e32 v[32:33], v[16:17], v[24:25]
	v_fma_f64 v[34:35], v[16:17], v[26:27], -v[34:35]
	ds_read_b128 v[48:51], v147 offset:48
	ds_write_b128 v148, v[32:35] offset:3216
	s_waitcnt lgkmcnt(0)
	s_barrier
	ds_read_b128 v[128:131], v146
	ds_read_b128 v[124:127], v146 offset:16
	ds_read_b128 v[120:123], v146 offset:32
	;; [unrolled: 1-line block ×3, first 2 shown]
	s_waitcnt lgkmcnt(0)
	s_barrier
	flat_load_dwordx4 v[24:27], v[36:37]
	v_lshl_add_u64 v[32:33], v[36:37], 0, s[8:9]
	flat_load_dwordx4 v[28:31], v[32:33]
	v_lshl_add_u64 v[32:33], v[32:33], 0, s[8:9]
	;; [unrolled: 2-line block ×3, first 2 shown]
	flat_load_dwordx4 v[32:35], v[56:57]
	ds_read_b128 v[52:55], v143
	ds_read_b128 v[68:71], v147 offset:256
	v_lshl_add_u64 v[88:89], v[56:57], 0, s[10:11]
	v_add_f64 v[128:129], v[128:129], 0
	v_add_f64 v[130:131], v[130:131], 0
	;; [unrolled: 1-line block ×8, first 2 shown]
	s_waitcnt vmcnt(0) lgkmcnt(0)
	v_mul_f64 v[56:57], v[26:27], v[54:55]
	v_mul_f64 v[58:59], v[26:27], v[52:53]
	;; [unrolled: 1-line block ×4, first 2 shown]
	v_fmac_f64_e32 v[56:57], v[24:25], v[52:53]
	v_fma_f64 v[58:59], v[24:25], v[54:55], -v[58:59]
	v_mul_f64 v[64:65], v[38:39], v[54:55]
	v_mul_f64 v[66:67], v[38:39], v[52:53]
	v_fmac_f64_e32 v[60:61], v[28:29], v[52:53]
	v_fma_f64 v[62:63], v[28:29], v[54:55], -v[62:63]
	ds_write_b128 v148, v[56:59]
	v_mul_f64 v[84:85], v[34:35], v[54:55]
	v_mul_f64 v[72:73], v[34:35], v[52:53]
	v_fmac_f64_e32 v[64:65], v[36:37], v[52:53]
	v_fma_f64 v[66:67], v[36:37], v[54:55], -v[66:67]
	ds_read_b128 v[80:83], v147 offset:272
	ds_write_b128 v148, v[60:63] offset:1072
	v_fmac_f64_e32 v[84:85], v[32:33], v[52:53]
	v_fma_f64 v[86:87], v[32:33], v[54:55], -v[72:73]
	ds_read_b128 v[76:79], v147 offset:288
	ds_write_b128 v148, v[64:67] offset:2144
	ds_read_b128 v[72:75], v147 offset:304
	ds_write_b128 v148, v[84:87] offset:3216
	s_waitcnt lgkmcnt(0)
	s_barrier
	ds_read_b128 v[152:155], v146
	ds_read_b128 v[156:159], v146 offset:16
	ds_read_b128 v[160:163], v146 offset:32
	;; [unrolled: 1-line block ×3, first 2 shown]
	s_waitcnt lgkmcnt(0)
	s_barrier
	flat_load_dwordx4 v[64:67], v[88:89]
	v_lshl_add_u64 v[52:53], v[88:89], 0, s[8:9]
	flat_load_dwordx4 v[60:63], v[52:53]
	v_lshl_add_u64 v[52:53], v[52:53], 0, s[8:9]
	;; [unrolled: 2-line block ×3, first 2 shown]
	flat_load_dwordx4 v[52:55], v[88:89]
	ds_read_b128 v[84:87], v143
	ds_read_b128 v[100:103], v147 offset:512
	v_lshl_add_u64 v[140:141], v[88:89], 0, s[10:11]
	v_add_f64 v[104:105], v[152:153], 0
	v_add_f64 v[106:107], v[154:155], 0
	;; [unrolled: 1-line block ×8, first 2 shown]
	s_waitcnt vmcnt(0) lgkmcnt(0)
	v_mul_f64 v[88:89], v[66:67], v[86:87]
	v_mul_f64 v[90:91], v[66:67], v[84:85]
	;; [unrolled: 1-line block ×4, first 2 shown]
	v_fmac_f64_e32 v[88:89], v[64:65], v[84:85]
	v_fma_f64 v[90:91], v[64:65], v[86:87], -v[90:91]
	v_mul_f64 v[96:97], v[58:59], v[86:87]
	v_mul_f64 v[98:99], v[58:59], v[84:85]
	v_fmac_f64_e32 v[92:93], v[60:61], v[84:85]
	v_fma_f64 v[94:95], v[60:61], v[86:87], -v[94:95]
	ds_write_b128 v148, v[88:91]
	v_mul_f64 v[168:169], v[54:55], v[86:87]
	v_mul_f64 v[108:109], v[54:55], v[84:85]
	v_fmac_f64_e32 v[96:97], v[56:57], v[84:85]
	v_fma_f64 v[98:99], v[56:57], v[86:87], -v[98:99]
	ds_read_b128 v[116:119], v147 offset:528
	ds_write_b128 v148, v[92:95] offset:1072
	v_fmac_f64_e32 v[168:169], v[52:53], v[84:85]
	v_fma_f64 v[170:171], v[52:53], v[86:87], -v[108:109]
	ds_read_b128 v[112:115], v147 offset:544
	ds_write_b128 v148, v[96:99] offset:2144
	v_lshl_add_u64 v[92:93], v[140:141], 0, s[8:9]
	ds_read_b128 v[108:111], v147 offset:560
	ds_write_b128 v148, v[168:171] offset:3216
	s_waitcnt lgkmcnt(0)
	s_barrier
	ds_read_b128 v[168:171], v146
	ds_read_b128 v[172:175], v146 offset:16
	ds_read_b128 v[176:179], v146 offset:32
	;; [unrolled: 1-line block ×3, first 2 shown]
	s_waitcnt lgkmcnt(0)
	s_barrier
	flat_load_dwordx4 v[84:87], v[140:141]
	v_lshl_add_u64 v[96:97], v[92:93], 0, s[8:9]
	flat_load_dwordx4 v[88:91], v[92:93]
	v_lshl_add_u64 v[140:141], v[96:97], 0, s[8:9]
	flat_load_dwordx4 v[92:95], v[96:97]
	v_add_f64 v[124:125], v[168:169], 0
	flat_load_dwordx4 v[96:99], v[140:141]
	ds_read_b128 v[120:123], v143
	ds_read_b128 v[104:107], v147 offset:768
	v_add_f64 v[126:127], v[170:171], 0
	v_add_f64 v[124:125], v[124:125], v[172:173]
	;; [unrolled: 1-line block ×7, first 2 shown]
	s_waitcnt vmcnt(0) lgkmcnt(0)
	v_mul_f64 v[124:125], v[86:87], v[122:123]
	v_mul_f64 v[126:127], v[86:87], v[120:121]
	;; [unrolled: 1-line block ×4, first 2 shown]
	v_fma_f64 v[126:127], v[84:85], v[122:123], -v[126:127]
	v_fmac_f64_e32 v[124:125], v[84:85], v[120:121]
	v_mul_f64 v[160:161], v[94:95], v[122:123]
	v_mul_f64 v[162:163], v[94:95], v[120:121]
	;; [unrolled: 1-line block ×4, first 2 shown]
	v_fma_f64 v[130:131], v[88:89], v[122:123], -v[130:131]
	v_fmac_f64_e32 v[128:129], v[88:89], v[120:121]
	ds_write_b128 v148, v[124:127]
	v_fma_f64 v[162:163], v[92:93], v[122:123], -v[162:163]
	v_fmac_f64_e32 v[160:161], v[92:93], v[120:121]
	v_fmac_f64_e32 v[164:165], v[96:97], v[120:121]
	v_fma_f64 v[166:167], v[96:97], v[122:123], -v[166:167]
	ds_read_b128 v[120:123], v147 offset:784
	ds_write_b128 v148, v[128:131] offset:1072
	ds_read_b128 v[124:127], v147 offset:800
	ds_write_b128 v148, v[160:163] offset:2144
	ds_read_b128 v[128:131], v147 offset:816
	ds_write_b128 v148, v[164:167] offset:3216
	s_waitcnt lgkmcnt(0)
	s_barrier
	ds_read_b128 v[160:163], v146
	ds_read_b128 v[164:167], v146 offset:16
	ds_read_b128 v[168:171], v146 offset:32
	;; [unrolled: 1-line block ×3, first 2 shown]
	s_waitcnt lgkmcnt(0)
	s_barrier
	ds_write_b128 v149, v[184:187]
	ds_write_b128 v149, v[152:155] offset:256
	ds_write_b128 v149, v[156:159] offset:512
	v_add_f64 v[152:153], v[160:161], 0
	v_add_f64 v[154:155], v[162:163], 0
	v_add_f64 v[152:153], v[152:153], v[164:165]
	v_add_f64 v[154:155], v[154:155], v[166:167]
	v_add_f64 v[152:153], v[152:153], v[168:169]
	v_add_f64 v[154:155], v[154:155], v[170:171]
	v_add_f64 v[152:153], v[152:153], v[172:173]
	v_add_f64 v[154:155], v[154:155], v[174:175]
	ds_write_b128 v149, v[152:155] offset:768
	s_waitcnt lgkmcnt(0)
	s_barrier
	s_and_saveexec_b64 s[12:13], s[0:1]
	s_cbranch_execz .LBB60_132
; %bb.136:                              ;   in Loop: Header=BB60_133 Depth=1
	ds_read_b128 v[152:155], v144
	ds_read_b128 v[156:159], v144 offset:16
	ds_read_b128 v[160:163], v144 offset:32
	;; [unrolled: 1-line block ×3, first 2 shown]
	v_add_u32_e32 v138, s3, v150
	s_waitcnt lgkmcnt(2)
	v_add_f64 v[152:153], v[156:157], v[152:153]
	v_add_f64 v[156:157], v[158:159], v[154:155]
	s_waitcnt lgkmcnt(1)
	v_add_f64 v[158:159], v[152:153], v[160:161]
	ds_read_b128 v[152:155], v144 offset:64
	v_add_f64 v[160:161], v[156:157], v[162:163]
	s_waitcnt lgkmcnt(1)
	v_add_f64 v[162:163], v[158:159], v[164:165]
	ds_read_b128 v[156:159], v144 offset:80
	;; [unrolled: 4-line block ×9, first 2 shown]
	v_add_f64 v[154:155], v[164:165], v[154:155]
	s_waitcnt lgkmcnt(1)
	v_add_f64 v[156:157], v[152:153], v[156:157]
	v_add_f64 v[164:165], v[154:155], v[158:159]
	ds_read_b128 v[152:155], v144 offset:208
	s_waitcnt lgkmcnt(1)
	v_add_f64 v[166:167], v[156:157], v[160:161]
	ds_read_b128 v[156:159], v144 offset:224
	v_add_f64 v[164:165], v[164:165], v[162:163]
	ds_read_b128 v[160:163], v145
	s_waitcnt lgkmcnt(2)
	v_add_f64 v[152:153], v[166:167], v[152:153]
	v_add_f64 v[154:155], v[164:165], v[154:155]
	s_waitcnt lgkmcnt(1)
	v_add_f64 v[152:153], v[152:153], v[156:157]
	v_add_f64 v[154:155], v[154:155], v[158:159]
	;; [unrolled: 3-line block ×3, first 2 shown]
	v_lshl_add_u64 v[156:157], v[138:139], 4, s[6:7]
	global_store_dwordx4 v[156:157], v[152:155], off
	s_branch .LBB60_132
.LBB60_137:
	s_movk_i32 s0, 0x430
	v_mad_u32_u24 v4, v142, s0, v134
	s_or_b64 s[0:1], s[4:5], vcc
	s_xor_b64 s[0:1], s[0:1], -1
	ds_write_b128 v4, v[0:3]
	s_waitcnt lgkmcnt(0)
	s_barrier
	s_and_saveexec_b64 s[2:3], s[0:1]
	s_cbranch_execz .LBB60_139
; %bb.138:
	ds_read_b128 v[0:3], v134 offset:1072
	ds_read_b128 v[4:7], v134
	ds_read_b128 v[8:11], v134 offset:2144
	ds_read_b128 v[12:15], v134 offset:3216
	s_waitcnt lgkmcnt(2)
	v_add_f64 v[0:1], v[0:1], v[4:5]
	v_add_f64 v[2:3], v[2:3], v[6:7]
	s_waitcnt lgkmcnt(1)
	v_add_f64 v[0:1], v[0:1], v[8:9]
	v_add_f64 v[2:3], v[2:3], v[10:11]
	;; [unrolled: 3-line block ×3, first 2 shown]
	v_lshl_add_u64 v[4:5], v[132:133], 4, s[6:7]
	global_store_dwordx4 v[4:5], v[0:3], off
.LBB60_139:
	s_endpgm
	.section	.rodata,"a",@progbits
	.p2align	6, 0x0
	.amdhsa_kernel _ZL26rocblas_hemvn_kernel_lowerILb1ELi64ELi4ELi33ELi32ELi16El19rocblas_complex_numIdEPKPKS1_PS1_EviT6_lT7_lT5_lS8_lS9_lS7_lT8_i
		.amdhsa_group_segment_fixed_size 19200
		.amdhsa_private_segment_fixed_size 0
		.amdhsa_kernarg_size 392
		.amdhsa_user_sgpr_count 2
		.amdhsa_user_sgpr_dispatch_ptr 0
		.amdhsa_user_sgpr_queue_ptr 0
		.amdhsa_user_sgpr_kernarg_segment_ptr 1
		.amdhsa_user_sgpr_dispatch_id 0
		.amdhsa_user_sgpr_kernarg_preload_length 0
		.amdhsa_user_sgpr_kernarg_preload_offset 0
		.amdhsa_user_sgpr_private_segment_size 0
		.amdhsa_uses_dynamic_stack 0
		.amdhsa_enable_private_segment 0
		.amdhsa_system_sgpr_workgroup_id_x 1
		.amdhsa_system_sgpr_workgroup_id_y 0
		.amdhsa_system_sgpr_workgroup_id_z 1
		.amdhsa_system_sgpr_workgroup_info 0
		.amdhsa_system_vgpr_workitem_id 1
		.amdhsa_next_free_vgpr 188
		.amdhsa_next_free_sgpr 42
		.amdhsa_accum_offset 188
		.amdhsa_reserve_vcc 1
		.amdhsa_float_round_mode_32 0
		.amdhsa_float_round_mode_16_64 0
		.amdhsa_float_denorm_mode_32 3
		.amdhsa_float_denorm_mode_16_64 3
		.amdhsa_dx10_clamp 1
		.amdhsa_ieee_mode 1
		.amdhsa_fp16_overflow 0
		.amdhsa_tg_split 0
		.amdhsa_exception_fp_ieee_invalid_op 0
		.amdhsa_exception_fp_denorm_src 0
		.amdhsa_exception_fp_ieee_div_zero 0
		.amdhsa_exception_fp_ieee_overflow 0
		.amdhsa_exception_fp_ieee_underflow 0
		.amdhsa_exception_fp_ieee_inexact 0
		.amdhsa_exception_int_div_zero 0
	.end_amdhsa_kernel
	.section	.text._ZL26rocblas_hemvn_kernel_lowerILb1ELi64ELi4ELi33ELi32ELi16El19rocblas_complex_numIdEPKPKS1_PS1_EviT6_lT7_lT5_lS8_lS9_lS7_lT8_i,"axG",@progbits,_ZL26rocblas_hemvn_kernel_lowerILb1ELi64ELi4ELi33ELi32ELi16El19rocblas_complex_numIdEPKPKS1_PS1_EviT6_lT7_lT5_lS8_lS9_lS7_lT8_i,comdat
.Lfunc_end60:
	.size	_ZL26rocblas_hemvn_kernel_lowerILb1ELi64ELi4ELi33ELi32ELi16El19rocblas_complex_numIdEPKPKS1_PS1_EviT6_lT7_lT5_lS8_lS9_lS7_lT8_i, .Lfunc_end60-_ZL26rocblas_hemvn_kernel_lowerILb1ELi64ELi4ELi33ELi32ELi16El19rocblas_complex_numIdEPKPKS1_PS1_EviT6_lT7_lT5_lS8_lS9_lS7_lT8_i
                                        ; -- End function
	.section	.AMDGPU.csdata,"",@progbits
; Kernel info:
; codeLenInByte = 9472
; NumSgprs: 48
; NumVgprs: 188
; NumAgprs: 0
; TotalNumVgprs: 188
; ScratchSize: 0
; MemoryBound: 0
; FloatMode: 240
; IeeeMode: 1
; LDSByteSize: 19200 bytes/workgroup (compile time only)
; SGPRBlocks: 5
; VGPRBlocks: 23
; NumSGPRsForWavesPerEU: 48
; NumVGPRsForWavesPerEU: 188
; AccumOffset: 188
; Occupancy: 2
; WaveLimiterHint : 0
; COMPUTE_PGM_RSRC2:SCRATCH_EN: 0
; COMPUTE_PGM_RSRC2:USER_SGPR: 2
; COMPUTE_PGM_RSRC2:TRAP_HANDLER: 0
; COMPUTE_PGM_RSRC2:TGID_X_EN: 1
; COMPUTE_PGM_RSRC2:TGID_Y_EN: 0
; COMPUTE_PGM_RSRC2:TGID_Z_EN: 1
; COMPUTE_PGM_RSRC2:TIDIG_COMP_CNT: 1
; COMPUTE_PGM_RSRC3_GFX90A:ACCUM_OFFSET: 46
; COMPUTE_PGM_RSRC3_GFX90A:TG_SPLIT: 0
	.section	.text._ZL36rocblas_hemvn_kernel_lower_block_sumILi64El19rocblas_complex_numIdEPKPS1_S1_EviT1_lS5_lT2_lT0_lPT3_i,"axG",@progbits,_ZL36rocblas_hemvn_kernel_lower_block_sumILi64El19rocblas_complex_numIdEPKPS1_S1_EviT1_lS5_lT2_lT0_lPT3_i,comdat
	.globl	_ZL36rocblas_hemvn_kernel_lower_block_sumILi64El19rocblas_complex_numIdEPKPS1_S1_EviT1_lS5_lT2_lT0_lPT3_i ; -- Begin function _ZL36rocblas_hemvn_kernel_lower_block_sumILi64El19rocblas_complex_numIdEPKPS1_S1_EviT1_lS5_lT2_lT0_lPT3_i
	.p2align	8
	.type	_ZL36rocblas_hemvn_kernel_lower_block_sumILi64El19rocblas_complex_numIdEPKPS1_S1_EviT1_lS5_lT2_lT0_lPT3_i,@function
_ZL36rocblas_hemvn_kernel_lower_block_sumILi64El19rocblas_complex_numIdEPKPS1_S1_EviT1_lS5_lT2_lT0_lPT3_i: ; @_ZL36rocblas_hemvn_kernel_lower_block_sumILi64El19rocblas_complex_numIdEPKPS1_S1_EviT1_lS5_lT2_lT0_lPT3_i
; %bb.0:
	s_load_dwordx4 s[12:15], s[0:1], 0x8
	s_load_dwordx4 s[8:11], s[0:1], 0x20
	s_mov_b32 s20, s3
	s_waitcnt lgkmcnt(0)
	v_cmp_neq_f64_e64 s[4:5], s[12:13], 0
	v_cmp_neq_f64_e64 s[6:7], s[14:15], 0
	s_or_b64 s[16:17], s[4:5], s[6:7]
	s_mov_b64 s[4:5], -1
	s_and_b64 vcc, exec, s[16:17]
	s_cbranch_vccnz .LBB61_2
; %bb.1:
	v_cmp_neq_f64_e64 s[4:5], s[8:9], 1.0
	v_cmp_neq_f64_e64 s[6:7], s[10:11], 0
	s_or_b64 s[4:5], s[4:5], s[6:7]
.LBB61_2:
	s_andn2_b64 vcc, exec, s[4:5]
	s_cbranch_vccnz .LBB61_22
; %bb.3:
	s_load_dwordx2 s[18:19], s[0:1], 0x38
	s_load_dword s22, s[0:1], 0x0
	s_load_dwordx4 s[4:7], s[0:1], 0x40
	s_mov_b32 s21, 0
	s_lshl_b64 s[24:25], s[20:21], 3
	s_xor_b64 s[26:27], s[16:17], -1
	s_waitcnt lgkmcnt(0)
	s_add_u32 s16, s18, s24
	s_addc_u32 s17, s19, s25
	s_load_dwordx2 s[16:17], s[16:17], 0x0
	s_lshl_b64 s[4:5], s[4:5], 4
	v_lshl_or_b32 v6, s2, 6, v0
	s_waitcnt lgkmcnt(0)
	s_add_u32 s16, s16, s4
	s_addc_u32 s17, s17, s5
	s_andn2_b64 vcc, exec, s[26:27]
	v_cmp_gt_i32_e64 s[4:5], s22, v6
	s_cbranch_vccnz .LBB61_8
; %bb.4:
	s_mov_b64 s[24:25], 0
	s_mov_b64 s[18:19], 0
                                        ; implicit-def: $vgpr2_vgpr3
                                        ; implicit-def: $vgpr4_vgpr5
	s_and_saveexec_b64 s[26:27], s[4:5]
	s_cbranch_execz .LBB61_9
; %bb.5:
	v_cmp_neq_f64_e64 s[4:5], s[8:9], 0
	v_cmp_neq_f64_e64 s[18:19], s[10:11], 0
	v_ashrrev_i32_e32 v0, 31, v6
	v_mov_b64_e32 v[2:3], 0
	v_mul_lo_u32 v1, v6, s7
	v_mul_lo_u32 v0, v0, s6
	v_mad_u64_u32 v[4:5], s[28:29], v6, s6, 0
	s_or_b64 s[4:5], s[4:5], s[18:19]
	v_add3_u32 v5, v5, v1, v0
	s_andn2_b64 vcc, exec, s[4:5]
	v_mov_b64_e32 v[0:1], v[2:3]
	s_cbranch_vccnz .LBB61_7
; %bb.6:
	v_lshl_add_u64 v[0:1], v[4:5], 4, s[16:17]
	global_load_dwordx4 v[8:11], v[0:1], off
	s_waitcnt vmcnt(0)
	v_mul_f64 v[0:1], s[10:11], v[10:11]
	v_mul_f64 v[2:3], s[8:9], v[10:11]
	v_fma_f64 v[0:1], s[8:9], v[8:9], -v[0:1]
	v_fmac_f64_e32 v[2:3], s[10:11], v[8:9]
.LBB61_7:
	s_mov_b64 s[18:19], exec
	s_or_b64 exec, exec, s[26:27]
	s_and_b64 vcc, exec, s[24:25]
	s_cbranch_vccnz .LBB61_10
	s_branch .LBB61_20
.LBB61_8:
	s_mov_b64 s[18:19], 0
                                        ; implicit-def: $vgpr2_vgpr3
                                        ; implicit-def: $vgpr4_vgpr5
	s_cbranch_execnz .LBB61_10
	s_branch .LBB61_20
.LBB61_9:
	s_or_b64 exec, exec, s[26:27]
	s_and_b64 vcc, exec, s[24:25]
	s_cbranch_vccz .LBB61_20
.LBB61_10:
	v_cmp_gt_i32_e32 vcc, s22, v6
                                        ; implicit-def: $vgpr2_vgpr3
                                        ; implicit-def: $vgpr4_vgpr5
	s_and_saveexec_b64 s[4:5], vcc
	s_cbranch_execz .LBB61_19
; %bb.11:
	s_load_dword s3, s[0:1], 0x68
	v_mov_b64_e32 v[0:1], 0
	v_mov_b64_e32 v[4:5], v[0:1]
	s_waitcnt lgkmcnt(0)
	s_cmp_ge_i32 s2, s3
	s_cbranch_scc1 .LBB61_14
; %bb.12:
	s_ashr_i32 s23, s22, 31
	s_mul_i32 s21, s2, s22
	s_load_dwordx2 s[0:1], s[0:1], 0x58
	v_add_u32_e32 v0, s21, v6
	s_mul_hi_u32 s21, s22, s20
	s_mul_i32 s24, s23, s20
	s_add_i32 s21, s21, s24
	s_mul_i32 s20, s22, s20
	s_mul_i32 s21, s21, s3
	s_mul_hi_u32 s24, s20, s3
	s_add_i32 s21, s24, s21
	s_mul_i32 s20, s20, s3
	s_lshl_b64 s[20:21], s[20:21], 4
	s_waitcnt lgkmcnt(0)
	s_add_u32 s0, s0, s20
	v_ashrrev_i32_e32 v1, 31, v0
	s_addc_u32 s1, s1, s21
	v_lshl_add_u64 v[0:1], v[0:1], 4, s[0:1]
	v_lshl_add_u64 v[2:3], v[0:1], 0, 8
	v_mov_b64_e32 v[0:1], 0
	s_lshl_b64 s[0:1], s[22:23], 4
	v_mov_b64_e32 v[4:5], v[0:1]
.LBB61_13:                              ; =>This Inner Loop Header: Depth=1
	global_load_dwordx4 v[8:11], v[2:3], off offset:-8
	s_add_i32 s2, s2, 1
	v_lshl_add_u64 v[2:3], v[2:3], 0, s[0:1]
	s_cmp_ge_i32 s2, s3
	s_waitcnt vmcnt(0)
	v_add_f64 v[4:5], v[4:5], v[8:9]
	v_add_f64 v[0:1], v[0:1], v[10:11]
	s_cbranch_scc0 .LBB61_13
.LBB61_14:
	v_cmp_neq_f64_e64 s[2:3], s[8:9], 0
	v_cmp_neq_f64_e64 s[20:21], s[10:11], 0
	s_or_b64 s[2:3], s[2:3], s[20:21]
	v_mul_f64 v[8:9], s[14:15], v[0:1]
	v_mul_f64 v[2:3], s[12:13], v[0:1]
	v_ashrrev_i32_e32 v10, 31, v6
	s_mov_b64 s[0:1], 0
	s_andn2_b64 vcc, exec, s[2:3]
	v_fma_f64 v[0:1], s[12:13], v[4:5], -v[8:9]
	v_fmac_f64_e32 v[2:3], s[14:15], v[4:5]
	v_mul_lo_u32 v7, v6, s7
	v_mul_lo_u32 v8, v10, s6
	s_cbranch_vccz .LBB61_16
; %bb.15:
	v_mad_u64_u32 v[4:5], s[2:3], v6, s6, 0
	v_add3_u32 v5, v5, v7, v8
	s_andn2_b64 vcc, exec, s[0:1]
	s_cbranch_vccz .LBB61_17
	s_branch .LBB61_18
.LBB61_16:
                                        ; implicit-def: $vgpr4_vgpr5
.LBB61_17:
	v_mad_u64_u32 v[4:5], s[0:1], v6, s6, 0
	v_add3_u32 v5, v5, v7, v8
	v_lshl_add_u64 v[6:7], v[4:5], 4, s[16:17]
	global_load_dwordx4 v[6:9], v[6:7], off
	s_waitcnt vmcnt(0)
	v_mul_f64 v[10:11], s[10:11], v[8:9]
	v_mul_f64 v[8:9], s[8:9], v[8:9]
	v_fma_f64 v[10:11], s[8:9], v[6:7], -v[10:11]
	v_fmac_f64_e32 v[8:9], s[10:11], v[6:7]
	v_add_f64 v[0:1], v[0:1], v[10:11]
	v_add_f64 v[2:3], v[2:3], v[8:9]
.LBB61_18:
	s_or_b64 s[18:19], s[18:19], exec
.LBB61_19:
	s_or_b64 exec, exec, s[4:5]
.LBB61_20:
	s_and_saveexec_b64 s[0:1], s[18:19]
	s_cbranch_execz .LBB61_22
; %bb.21:
	v_lshl_add_u64 v[4:5], v[4:5], 4, s[16:17]
	global_store_dwordx4 v[4:5], v[0:3], off
.LBB61_22:
	s_endpgm
	.section	.rodata,"a",@progbits
	.p2align	6, 0x0
	.amdhsa_kernel _ZL36rocblas_hemvn_kernel_lower_block_sumILi64El19rocblas_complex_numIdEPKPS1_S1_EviT1_lS5_lT2_lT0_lPT3_i
		.amdhsa_group_segment_fixed_size 0
		.amdhsa_private_segment_fixed_size 0
		.amdhsa_kernarg_size 360
		.amdhsa_user_sgpr_count 2
		.amdhsa_user_sgpr_dispatch_ptr 0
		.amdhsa_user_sgpr_queue_ptr 0
		.amdhsa_user_sgpr_kernarg_segment_ptr 1
		.amdhsa_user_sgpr_dispatch_id 0
		.amdhsa_user_sgpr_kernarg_preload_length 0
		.amdhsa_user_sgpr_kernarg_preload_offset 0
		.amdhsa_user_sgpr_private_segment_size 0
		.amdhsa_uses_dynamic_stack 0
		.amdhsa_enable_private_segment 0
		.amdhsa_system_sgpr_workgroup_id_x 1
		.amdhsa_system_sgpr_workgroup_id_y 0
		.amdhsa_system_sgpr_workgroup_id_z 1
		.amdhsa_system_sgpr_workgroup_info 0
		.amdhsa_system_vgpr_workitem_id 0
		.amdhsa_next_free_vgpr 12
		.amdhsa_next_free_sgpr 30
		.amdhsa_accum_offset 12
		.amdhsa_reserve_vcc 1
		.amdhsa_float_round_mode_32 0
		.amdhsa_float_round_mode_16_64 0
		.amdhsa_float_denorm_mode_32 3
		.amdhsa_float_denorm_mode_16_64 3
		.amdhsa_dx10_clamp 1
		.amdhsa_ieee_mode 1
		.amdhsa_fp16_overflow 0
		.amdhsa_tg_split 0
		.amdhsa_exception_fp_ieee_invalid_op 0
		.amdhsa_exception_fp_denorm_src 0
		.amdhsa_exception_fp_ieee_div_zero 0
		.amdhsa_exception_fp_ieee_overflow 0
		.amdhsa_exception_fp_ieee_underflow 0
		.amdhsa_exception_fp_ieee_inexact 0
		.amdhsa_exception_int_div_zero 0
	.end_amdhsa_kernel
	.section	.text._ZL36rocblas_hemvn_kernel_lower_block_sumILi64El19rocblas_complex_numIdEPKPS1_S1_EviT1_lS5_lT2_lT0_lPT3_i,"axG",@progbits,_ZL36rocblas_hemvn_kernel_lower_block_sumILi64El19rocblas_complex_numIdEPKPS1_S1_EviT1_lS5_lT2_lT0_lPT3_i,comdat
.Lfunc_end61:
	.size	_ZL36rocblas_hemvn_kernel_lower_block_sumILi64El19rocblas_complex_numIdEPKPS1_S1_EviT1_lS5_lT2_lT0_lPT3_i, .Lfunc_end61-_ZL36rocblas_hemvn_kernel_lower_block_sumILi64El19rocblas_complex_numIdEPKPS1_S1_EviT1_lS5_lT2_lT0_lPT3_i
                                        ; -- End function
	.section	.AMDGPU.csdata,"",@progbits
; Kernel info:
; codeLenInByte = 772
; NumSgprs: 36
; NumVgprs: 12
; NumAgprs: 0
; TotalNumVgprs: 12
; ScratchSize: 0
; MemoryBound: 0
; FloatMode: 240
; IeeeMode: 1
; LDSByteSize: 0 bytes/workgroup (compile time only)
; SGPRBlocks: 4
; VGPRBlocks: 1
; NumSGPRsForWavesPerEU: 36
; NumVGPRsForWavesPerEU: 12
; AccumOffset: 12
; Occupancy: 8
; WaveLimiterHint : 1
; COMPUTE_PGM_RSRC2:SCRATCH_EN: 0
; COMPUTE_PGM_RSRC2:USER_SGPR: 2
; COMPUTE_PGM_RSRC2:TRAP_HANDLER: 0
; COMPUTE_PGM_RSRC2:TGID_X_EN: 1
; COMPUTE_PGM_RSRC2:TGID_Y_EN: 0
; COMPUTE_PGM_RSRC2:TGID_Z_EN: 1
; COMPUTE_PGM_RSRC2:TIDIG_COMP_CNT: 0
; COMPUTE_PGM_RSRC3_GFX90A:ACCUM_OFFSET: 2
; COMPUTE_PGM_RSRC3_GFX90A:TG_SPLIT: 0
	.section	.text._ZL26rocblas_hemvn_kernel_lowerILb1ELi64ELi4ELi33ELi32ELi16Ei19rocblas_complex_numIdEPKPKS1_PS1_EviT6_lT7_lT5_lS8_lS9_lS7_lT8_i,"axG",@progbits,_ZL26rocblas_hemvn_kernel_lowerILb1ELi64ELi4ELi33ELi32ELi16Ei19rocblas_complex_numIdEPKPKS1_PS1_EviT6_lT7_lT5_lS8_lS9_lS7_lT8_i,comdat
	.globl	_ZL26rocblas_hemvn_kernel_lowerILb1ELi64ELi4ELi33ELi32ELi16Ei19rocblas_complex_numIdEPKPKS1_PS1_EviT6_lT7_lT5_lS8_lS9_lS7_lT8_i ; -- Begin function _ZL26rocblas_hemvn_kernel_lowerILb1ELi64ELi4ELi33ELi32ELi16Ei19rocblas_complex_numIdEPKPKS1_PS1_EviT6_lT7_lT5_lS8_lS9_lS7_lT8_i
	.p2align	8
	.type	_ZL26rocblas_hemvn_kernel_lowerILb1ELi64ELi4ELi33ELi32ELi16Ei19rocblas_complex_numIdEPKPKS1_PS1_EviT6_lT7_lT5_lS8_lS9_lS7_lT8_i,@function
_ZL26rocblas_hemvn_kernel_lowerILb1ELi64ELi4ELi33ELi32ELi16Ei19rocblas_complex_numIdEPKPKS1_PS1_EviT6_lT7_lT5_lS8_lS9_lS7_lT8_i: ; @_ZL26rocblas_hemvn_kernel_lowerILb1ELi64ELi4ELi33ELi32ELi16Ei19rocblas_complex_numIdEPKPKS1_PS1_EviT6_lT7_lT5_lS8_lS9_lS7_lT8_i
; %bb.0:
	s_load_dwordx2 s[4:5], s[0:1], 0x94
	s_add_u32 s8, s0, 0x88
	s_mov_b32 s22, s3
	s_addc_u32 s9, s1, 0
	s_waitcnt lgkmcnt(0)
	s_and_b32 s3, s5, 0xffff
	s_lshr_b32 s5, s4, 16
	s_and_b32 s4, s4, 0xffff
	s_mul_i32 s4, s5, s4
	s_mul_i32 s4, s4, s3
	s_cmpk_lg_i32 s4, 0x100
	s_cbranch_scc1 .LBB62_139
; %bb.1:
	s_load_dwordx4 s[12:15], s[0:1], 0x8
	s_mov_b64 s[4:5], 0
	s_waitcnt lgkmcnt(0)
	v_cmp_neq_f64_e64 s[6:7], s[12:13], 0
	v_cmp_neq_f64_e64 s[10:11], s[14:15], 0
	s_or_b64 s[10:11], s[6:7], s[10:11]
	s_and_b64 vcc, exec, s[10:11]
	s_cbranch_vccnz .LBB62_3
; %bb.2:
	s_load_dwordx4 s[12:15], s[0:1], 0x60
	s_mov_b64 s[6:7], 0
	s_waitcnt lgkmcnt(0)
	v_cmp_neq_f64_e64 s[4:5], s[12:13], 1.0
	v_cmp_neq_f64_e64 s[12:13], s[14:15], 0
	s_or_b64 s[4:5], s[4:5], s[12:13]
	s_cbranch_execz .LBB62_4
	s_branch .LBB62_5
.LBB62_3:
	s_mov_b64 s[6:7], -1
.LBB62_4:
	s_load_dwordx4 s[4:7], s[0:1], 0x20
	s_mov_b32 s23, 0
	s_lshl_b64 s[12:13], s[22:23], 3
	s_waitcnt lgkmcnt(0)
	s_add_u32 s4, s4, s12
	s_addc_u32 s5, s5, s13
	s_load_dwordx2 s[4:5], s[4:5], 0x0
	s_lshl_b64 s[6:7], s[6:7], 4
	s_waitcnt lgkmcnt(0)
	s_add_u32 s6, s4, s6
	s_addc_u32 s7, s5, s7
	s_mov_b64 s[4:5], -1
.LBB62_5:
	s_andn2_b64 vcc, exec, s[4:5]
	s_cbranch_vccnz .LBB62_139
; %bb.6:
	v_cndmask_b32_e64 v1, 0, 1, s[10:11]
	v_cmp_ne_u32_e64 s[4:5], 1, v1
	s_andn2_b64 vcc, exec, s[10:11]
	s_mov_b64 s[10:11], 0
	s_cbranch_vccnz .LBB62_8
; %bb.7:
	s_load_dwordx4 s[12:15], s[0:1], 0x40
	s_mov_b32 s23, 0
	s_lshl_b64 s[10:11], s[22:23], 3
	s_waitcnt lgkmcnt(0)
	s_add_u32 s10, s12, s10
	s_addc_u32 s11, s13, s11
	s_load_dwordx2 s[10:11], s[10:11], 0x0
	s_lshl_b64 s[12:13], s[14:15], 4
	s_waitcnt lgkmcnt(0)
	s_add_u32 s10, s10, s12
	s_addc_u32 s11, s11, s13
.LBB62_8:
	s_and_b64 vcc, exec, s[4:5]
	s_cbranch_vccnz .LBB62_139
; %bb.9:
	s_load_dword s33, s[8:9], 0x0
	s_load_dword s23, s[0:1], 0x0
	;; [unrolled: 1-line block ×3, first 2 shown]
	v_and_b32_e32 v42, 0x3ff, v0
	s_lshl_b32 s28, s2, 6
	v_add_u32_e32 v132, s28, v42
	s_waitcnt lgkmcnt(0)
	s_ashr_i32 s38, s23, 31
	s_lshr_b32 s5, s38, 26
	s_add_i32 s5, s23, s5
	s_andn2_b32 s5, s5, 63
	v_bfe_u32 v133, v0, 10, 10
	s_add_i32 s4, s33, -1
	s_sub_i32 s5, s23, s5
	v_mul_lo_u32 v0, v132, s3
	s_cmp_eq_u32 s2, s4
	v_ashrrev_i32_e32 v1, 31, v0
	s_cselect_b32 s24, s5, 0
	v_lshl_add_u64 v[36:37], v[0:1], 4, s[10:11]
	v_cmp_ne_u32_e64 s[4:5], 0, v133
	v_cmp_eq_u32_e64 s[18:19], 0, v133
	s_and_saveexec_b64 s[8:9], s[18:19]
	s_cbranch_execz .LBB62_14
; %bb.10:
	s_cmp_lg_u32 s24, 0
	s_cselect_b64 s[10:11], -1, 0
	v_cmp_le_i32_e32 vcc, s24, v42
	v_mov_b32_e32 v0, 0x4700
	s_and_b64 s[10:11], s[10:11], vcc
	v_lshl_add_u32 v0, v42, 4, v0
	s_and_saveexec_b64 s[12:13], s[10:11]
	s_xor_b64 s[10:11], exec, s[12:13]
	s_cbranch_execz .LBB62_12
; %bb.11:
	v_mov_b32_e32 v2, 0
	v_mov_b32_e32 v3, v2
	v_mov_b32_e32 v4, v2
	v_mov_b32_e32 v5, v2
	ds_write_b128 v0, v[2:5]
                                        ; implicit-def: $vgpr0
.LBB62_12:
	s_andn2_saveexec_b64 s[10:11], s[10:11]
	s_cbranch_execz .LBB62_14
; %bb.13:
	flat_load_dwordx4 v[2:5], v[36:37]
	s_waitcnt vmcnt(0) lgkmcnt(0)
	ds_write2_b64 v0, v[2:3], v[4:5] offset1:1
.LBB62_14:
	s_or_b64 exec, exec, s[8:9]
	s_load_dword s26, s[0:1], 0x30
	s_ashr_i32 s29, s28, 31
	v_lshl_add_u32 v43, v133, 6, v42
	s_lshl_b64 s[8:9], s[28:29], 4
	v_and_b32_e32 v4, 31, v42
	v_lshrrev_b32_e32 v5, 5, v43
	s_add_u32 s8, s6, s8
	s_addc_u32 s9, s7, s9
	s_waitcnt lgkmcnt(0)
	v_mad_u64_u32 v[38:39], s[6:7], v5, s26, v[4:5]
	s_mul_i32 s6, s28, s26
	s_ashr_i32 s7, s6, 31
	s_lshl_b64 s[30:31], s[6:7], 4
	s_add_u32 s6, s30, s8
	s_addc_u32 s7, s31, s9
	s_cmp_lg_u32 s24, 0
	v_ashrrev_i32_e32 v39, 31, v38
	s_cselect_b64 s[34:35], -1, 0
	s_cmp_eq_u32 s24, 0
	v_lshl_add_u64 v[6:7], v[38:39], 4, s[6:7]
	s_cselect_b64 s[20:21], -1, 0
	s_and_b64 vcc, exec, s[34:35]
	s_cbranch_vccnz .LBB62_16
; %bb.15:
	flat_load_dwordx4 v[0:3], v[6:7]
	v_mul_u32_u24_e32 v8, 33, v5
	s_lshl_b32 s6, s26, 3
	v_add_lshl_u32 v10, v8, v4, 4
	s_ashr_i32 s7, s6, 31
	v_lshl_add_u64 v[8:9], s[6:7], 4, v[6:7]
	s_ashr_i32 s27, s26, 31
	s_lshl_b64 s[6:7], s[26:27], 7
	v_add_u32_e32 v11, 0x1080, v10
	s_waitcnt vmcnt(0) lgkmcnt(0)
	ds_write2_b64 v10, v[0:1], v[2:3] offset1:1
	flat_load_dwordx4 v[0:3], v[8:9]
	v_lshl_add_u64 v[8:9], v[8:9], 0, s[6:7]
	s_waitcnt vmcnt(0) lgkmcnt(0)
	ds_write2_b64 v11, v[0:1], v[2:3] offset1:1
	flat_load_dwordx4 v[0:3], v[8:9]
	v_add_u32_e32 v11, 0x2100, v10
	v_lshl_add_u64 v[8:9], v[8:9], 0, s[6:7]
	s_waitcnt vmcnt(0) lgkmcnt(0)
	ds_write2_b64 v11, v[0:1], v[2:3] offset1:1
	flat_load_dwordx4 v[0:3], v[8:9]
	v_add_u32_e32 v8, 0x3180, v10
	s_waitcnt vmcnt(0) lgkmcnt(0)
	ds_write2_b64 v8, v[0:1], v[2:3] offset1:1
	s_cbranch_execz .LBB62_17
	s_branch .LBB62_34
.LBB62_16:
.LBB62_17:
	v_lshlrev_b32_e32 v0, 4, v4
	v_sub_co_u32_e32 v2, vcc, v6, v0
	s_ashr_i32 s25, s24, 31
	s_nop 0
	v_subbrev_co_u32_e32 v3, vcc, 0, v7, vcc
	v_lshl_add_u64 v[2:3], s[24:25], 4, v[2:3]
	v_lshl_add_u64 v[2:3], v[2:3], 0, -16
	v_cmp_gt_i32_e32 vcc, s24, v4
	v_mul_u32_u24_e32 v1, 33, v5
	v_cmp_le_i32_e64 s[6:7], s24, v5
	v_cndmask_b32_e32 v3, v3, v7, vcc
	v_cndmask_b32_e32 v2, v2, v6, vcc
	v_add_lshl_u32 v1, v1, v4, 4
	s_and_saveexec_b64 s[8:9], s[6:7]
	s_xor_b64 s[6:7], exec, s[8:9]
	s_cbranch_execz .LBB62_19
; %bb.18:
	v_mov_b32_e32 v8, 0
	v_mov_b32_e32 v9, v8
	;; [unrolled: 1-line block ×4, first 2 shown]
	ds_write_b128 v1, v[8:11]
.LBB62_19:
	s_andn2_saveexec_b64 s[6:7], s[6:7]
	s_cbranch_execz .LBB62_21
; %bb.20:
	flat_load_dwordx4 v[8:11], v[2:3]
	s_waitcnt vmcnt(0) lgkmcnt(0)
	ds_write2_b64 v1, v[8:9], v[10:11] offset1:1
.LBB62_21:
	s_or_b64 exec, exec, s[6:7]
	v_add_u32_e32 v8, 8, v5
	v_cmp_le_i32_e64 s[6:7], s24, v8
	s_and_saveexec_b64 s[8:9], s[6:7]
	s_xor_b64 s[6:7], exec, s[8:9]
	s_cbranch_execz .LBB62_23
; %bb.22:
	v_mul_u32_u24_e32 v8, 33, v8
	v_add_lshl_u32 v12, v8, v4, 4
	v_mov_b32_e32 v8, 0
	v_mov_b32_e32 v9, v8
	;; [unrolled: 1-line block ×4, first 2 shown]
	ds_write_b128 v12, v[8:11]
.LBB62_23:
	s_andn2_saveexec_b64 s[6:7], s[6:7]
	s_cbranch_execz .LBB62_25
; %bb.24:
	s_lshl_b32 s8, s26, 3
	s_ashr_i32 s9, s8, 31
	v_lshl_add_u64 v[8:9], s[8:9], 4, v[2:3]
	flat_load_dwordx4 v[8:11], v[8:9]
	v_add_u32_e32 v12, 0x1080, v1
	s_waitcnt vmcnt(0) lgkmcnt(0)
	ds_write2_b64 v12, v[8:9], v[10:11] offset1:1
.LBB62_25:
	s_or_b64 exec, exec, s[6:7]
	v_add_u32_e32 v8, 16, v5
	v_cmp_le_i32_e64 s[6:7], s24, v8
	s_and_saveexec_b64 s[8:9], s[6:7]
	s_xor_b64 s[6:7], exec, s[8:9]
	s_cbranch_execz .LBB62_27
; %bb.26:
	v_mul_u32_u24_e32 v8, 33, v8
	v_add_lshl_u32 v12, v8, v4, 4
	v_mov_b32_e32 v8, 0
	v_mov_b32_e32 v9, v8
	;; [unrolled: 1-line block ×4, first 2 shown]
	ds_write_b128 v12, v[8:11]
.LBB62_27:
	s_andn2_saveexec_b64 s[6:7], s[6:7]
	s_cbranch_execz .LBB62_29
; %bb.28:
	s_lshl_b32 s8, s26, 4
	s_ashr_i32 s9, s8, 31
	v_lshl_add_u64 v[8:9], s[8:9], 4, v[2:3]
	flat_load_dwordx4 v[8:11], v[8:9]
	v_add_u32_e32 v12, 0x2100, v1
	s_waitcnt vmcnt(0) lgkmcnt(0)
	ds_write2_b64 v12, v[8:9], v[10:11] offset1:1
.LBB62_29:
	s_or_b64 exec, exec, s[6:7]
	v_add_u32_e32 v8, 24, v5
	v_cmp_le_i32_e64 s[6:7], s24, v8
	s_and_saveexec_b64 s[8:9], s[6:7]
	s_xor_b64 s[6:7], exec, s[8:9]
	s_cbranch_execz .LBB62_31
; %bb.30:
	v_mov_b32_e32 v8, 0
	v_mov_b32_e32 v9, v8
	;; [unrolled: 1-line block ×4, first 2 shown]
	ds_write_b128 v1, v[8:11] offset:12672
                                        ; implicit-def: $vgpr1
.LBB62_31:
	s_andn2_saveexec_b64 s[6:7], s[6:7]
	s_cbranch_execz .LBB62_33
; %bb.32:
	s_mul_i32 s8, s26, 24
	s_ashr_i32 s9, s8, 31
	v_lshl_add_u64 v[8:9], s[8:9], 4, v[2:3]
	flat_load_dwordx4 v[8:11], v[8:9]
	v_add_u32_e32 v1, 0x3180, v1
	s_waitcnt vmcnt(0) lgkmcnt(0)
	ds_write2_b64 v1, v[8:9], v[10:11] offset1:1
.LBB62_33:
	s_or_b64 exec, exec, s[6:7]
	v_mov_b32_e32 v1, 0
	v_lshl_add_u64 v[0:1], v[2:3], 0, v[0:1]
	s_lshl_b64 s[6:7], s[24:25], 4
	v_mov_b32_e32 v2, s7
	v_subrev_co_u32_e64 v0, s[6:7], s6, v0
	s_nop 1
	v_subb_co_u32_e64 v1, s[6:7], v1, v2, s[6:7]
	v_lshl_add_u64 v[0:1], v[0:1], 0, 16
	v_cndmask_b32_e32 v7, v1, v7, vcc
	v_cndmask_b32_e32 v6, v0, v6, vcc
.LBB62_34:
	v_lshlrev_b32_e32 v12, 2, v5
	v_cmp_ge_u32_e64 s[8:9], v12, v4
	s_waitcnt lgkmcnt(0)
	s_barrier
	s_and_saveexec_b64 s[6:7], s[8:9]
	s_xor_b64 s[6:7], exec, s[6:7]
	s_cbranch_execz .LBB62_38
; %bb.35:
	v_cmp_eq_u32_e32 vcc, v12, v4
	s_and_saveexec_b64 s[10:11], vcc
	s_cbranch_execz .LBB62_37
; %bb.36:
	v_mul_u32_u24_e32 v0, 34, v4
	v_lshlrev_b32_e32 v2, 4, v0
	v_mov_b32_e32 v0, 0
	v_mov_b32_e32 v1, v0
	ds_write_b64 v2, v[0:1] offset:8
.LBB62_37:
	s_or_b64 exec, exec, s[10:11]
.LBB62_38:
	s_or_saveexec_b64 s[6:7], s[6:7]
	v_mul_u32_u24_e32 v44, 33, v4
	v_add_lshl_u32 v10, v12, v44, 4
	s_xor_b64 exec, exec, s[6:7]
	s_cbranch_execz .LBB62_40
; %bb.39:
	v_mul_u32_u24_e32 v0, 0x84, v5
	v_add_lshl_u32 v0, v0, v4, 4
	ds_read_b128 v[0:3], v0
	s_waitcnt lgkmcnt(0)
	v_xor_b32_e32 v3, 0x80000000, v3
	ds_write_b128 v10, v[0:3]
.LBB62_40:
	s_or_b64 exec, exec, s[6:7]
	v_or_b32_e32 v13, 1, v12
	v_cmp_ge_u32_e64 s[10:11], v13, v4
	s_and_saveexec_b64 s[6:7], s[10:11]
	s_xor_b64 s[6:7], exec, s[6:7]
	s_cbranch_execz .LBB62_44
; %bb.41:
	v_cmp_eq_u32_e32 vcc, v13, v4
	s_and_saveexec_b64 s[12:13], vcc
	s_cbranch_execz .LBB62_43
; %bb.42:
	v_mul_u32_u24_e32 v0, 34, v4
	v_lshlrev_b32_e32 v2, 4, v0
	v_mov_b32_e32 v0, 0
	v_mov_b32_e32 v1, v0
	ds_write_b64 v2, v[0:1] offset:8
.LBB62_43:
	s_or_b64 exec, exec, s[12:13]
.LBB62_44:
	s_or_saveexec_b64 s[6:7], s[6:7]
	v_mul_u32_u24_e32 v0, 33, v13
	s_xor_b64 exec, exec, s[6:7]
	s_cbranch_execz .LBB62_46
; %bb.45:
	v_add_lshl_u32 v1, v0, v4, 4
	ds_read_b128 v[14:17], v1
	s_waitcnt lgkmcnt(0)
	v_xor_b32_e32 v17, 0x80000000, v17
	ds_write_b128 v10, v[14:17] offset:16
.LBB62_46:
	s_or_b64 exec, exec, s[6:7]
	v_or_b32_e32 v14, 2, v12
	v_cmp_ge_u32_e64 s[12:13], v14, v4
	s_and_saveexec_b64 s[6:7], s[12:13]
	s_xor_b64 s[6:7], exec, s[6:7]
	s_cbranch_execz .LBB62_50
; %bb.47:
	v_cmp_eq_u32_e32 vcc, v14, v4
	s_and_saveexec_b64 s[14:15], vcc
	s_cbranch_execz .LBB62_49
; %bb.48:
	v_mul_u32_u24_e32 v1, 34, v4
	v_mov_b32_e32 v2, 0
	v_lshlrev_b32_e32 v1, 4, v1
	v_mov_b32_e32 v3, v2
	ds_write_b64 v1, v[2:3] offset:8
.LBB62_49:
	s_or_b64 exec, exec, s[14:15]
.LBB62_50:
	s_andn2_saveexec_b64 s[6:7], s[6:7]
	s_cbranch_execz .LBB62_52
; %bb.51:
	v_mul_u32_u24_e32 v1, 33, v14
	v_add_lshl_u32 v1, v1, v4, 4
	ds_read_b128 v[16:19], v1
	s_waitcnt lgkmcnt(0)
	v_xor_b32_e32 v19, 0x80000000, v19
	ds_write_b128 v10, v[16:19] offset:32
.LBB62_52:
	s_or_b64 exec, exec, s[6:7]
	v_or_b32_e32 v15, 3, v12
	v_cmp_ge_u32_e64 s[14:15], v15, v4
	s_and_saveexec_b64 s[6:7], s[14:15]
	s_xor_b64 s[6:7], exec, s[6:7]
	s_cbranch_execz .LBB62_56
; %bb.53:
	v_cmp_eq_u32_e32 vcc, v15, v4
	s_and_saveexec_b64 s[16:17], vcc
	s_cbranch_execz .LBB62_55
; %bb.54:
	v_mul_u32_u24_e32 v1, 34, v4
	v_mov_b32_e32 v2, 0
	v_lshlrev_b32_e32 v1, 4, v1
	v_mov_b32_e32 v3, v2
	ds_write_b64 v1, v[2:3] offset:8
.LBB62_55:
	s_or_b64 exec, exec, s[16:17]
.LBB62_56:
	s_andn2_saveexec_b64 s[6:7], s[6:7]
	s_cbranch_execz .LBB62_58
; %bb.57:
	v_mul_u32_u24_e32 v1, 33, v15
	v_add_lshl_u32 v1, v1, v4, 4
	ds_read_b128 v[16:19], v1
	s_waitcnt lgkmcnt(0)
	v_xor_b32_e32 v19, 0x80000000, v19
	ds_write_b128 v10, v[16:19] offset:48
.LBB62_58:
	s_or_b64 exec, exec, s[6:7]
	v_mul_u32_u24_e32 v1, 0x84, v5
	v_lshlrev_b32_e32 v17, 4, v12
	s_waitcnt lgkmcnt(0)
	s_barrier
	v_add_lshl_u32 v16, v1, v4, 4
	ds_read_b128 v[18:21], v17 offset:18176
	ds_read_b128 v[22:25], v17 offset:18192
	ds_read_b128 v[26:29], v16
	ds_read_b128 v[30:33], v17 offset:18208
	ds_read_b128 v[46:49], v17 offset:18224
	v_add_lshl_u32 v11, v0, v4, 4
	ds_read_b128 v[0:3], v11
	s_waitcnt lgkmcnt(3)
	v_mul_f64 v[8:9], v[20:21], v[28:29]
	v_fma_f64 v[8:9], v[18:19], v[26:27], -v[8:9]
	v_mul_f64 v[18:19], v[18:19], v[28:29]
	v_fmac_f64_e32 v[18:19], v[20:21], v[26:27]
	v_add_f64 v[26:27], v[18:19], 0
	s_waitcnt lgkmcnt(0)
	v_mul_f64 v[18:19], v[24:25], v[2:3]
	v_fma_f64 v[28:29], v[22:23], v[0:1], -v[18:19]
	v_mul_f64 v[2:3], v[22:23], v[2:3]
	ds_read_b128 v[18:21], v11 offset:528
	v_fmac_f64_e32 v[2:3], v[24:25], v[0:1]
	v_add_f64 v[22:23], v[26:27], v[2:3]
	ds_read_b128 v[0:3], v11 offset:1056
	v_add_f64 v[8:9], v[8:9], 0
	s_waitcnt lgkmcnt(1)
	v_mul_f64 v[24:25], v[32:33], v[20:21]
	v_mul_f64 v[20:21], v[30:31], v[20:21]
	v_fmac_f64_e32 v[20:21], v[32:33], v[18:19]
	v_add_f64 v[8:9], v[8:9], v[28:29]
	v_fma_f64 v[24:25], v[30:31], v[18:19], -v[24:25]
	v_add_f64 v[18:19], v[22:23], v[20:21]
	s_waitcnt lgkmcnt(0)
	v_mul_f64 v[20:21], v[48:49], v[2:3]
	v_mul_f64 v[2:3], v[46:47], v[2:3]
	v_add_f64 v[8:9], v[8:9], v[24:25]
	v_fma_f64 v[20:21], v[46:47], v[0:1], -v[20:21]
	v_fmac_f64_e32 v[2:3], v[48:49], v[0:1]
	v_add_f64 v[0:1], v[8:9], v[20:21]
	v_add_f64 v[2:3], v[18:19], v[2:3]
	v_add_lshl_u32 v45, v5, v44, 4
	s_barrier
	ds_write_b128 v45, v[0:3]
	v_mov_b64_e32 v[0:1], 0
	v_cmp_gt_u32_e64 s[6:7], 32, v43
	v_mov_b64_e32 v[2:3], v[0:1]
	s_waitcnt lgkmcnt(0)
	s_barrier
	s_and_saveexec_b64 s[16:17], s[6:7]
	s_cbranch_execz .LBB62_60
; %bb.59:
	v_lshlrev_b32_e32 v30, 4, v44
	ds_read_b128 v[0:3], v30
	ds_read_b128 v[18:21], v30 offset:16
	ds_read_b128 v[22:25], v30 offset:32
	;; [unrolled: 1-line block ×3, first 2 shown]
	s_waitcnt lgkmcnt(2)
	v_add_f64 v[0:1], v[18:19], v[0:1]
	v_add_f64 v[8:9], v[20:21], v[2:3]
	s_waitcnt lgkmcnt(1)
	v_add_f64 v[18:19], v[0:1], v[22:23]
	ds_read_b128 v[0:3], v30 offset:64
	v_add_f64 v[8:9], v[8:9], v[24:25]
	s_waitcnt lgkmcnt(1)
	v_add_f64 v[22:23], v[18:19], v[26:27]
	ds_read_b128 v[18:21], v30 offset:80
	;; [unrolled: 4-line block ×3, first 2 shown]
	v_add_f64 v[8:9], v[8:9], v[2:3]
	ds_read_b128 v[0:3], v30 offset:112
	s_waitcnt lgkmcnt(2)
	v_add_f64 v[18:19], v[26:27], v[18:19]
	v_add_f64 v[8:9], v[8:9], v[20:21]
	s_waitcnt lgkmcnt(1)
	v_add_f64 v[18:19], v[18:19], v[22:23]
	v_add_f64 v[8:9], v[8:9], v[24:25]
	;; [unrolled: 3-line block ×3, first 2 shown]
.LBB62_60:
	s_or_b64 exec, exec, s[16:17]
	s_lshl_b32 s36, s26, 5
	s_ashr_i32 s37, s36, 31
	v_lshl_add_u64 v[8:9], s[36:37], 4, v[6:7]
	s_mov_b64 s[40:41], 0x200
	v_cndmask_b32_e64 v6, 0, 1, s[20:21]
	v_cmp_ne_u32_e64 s[16:17], 1, v6
	s_andn2_b64 vcc, exec, s[20:21]
	v_lshl_add_u64 v[6:7], v[8:9], 0, s[40:41]
	s_barrier
	s_cbranch_vccnz .LBB62_62
; %bb.61:
	flat_load_dwordx4 v[18:21], v[6:7]
	v_mul_u32_u24_e32 v22, 33, v5
	s_lshl_b32 s20, s26, 3
	v_add_lshl_u32 v22, v22, v4, 4
	s_ashr_i32 s21, s20, 31
	v_lshl_add_u64 v[8:9], s[20:21], 4, v[8:9]
	s_ashr_i32 s27, s26, 31
	s_lshl_b64 s[20:21], s[26:27], 7
	v_add_u32_e32 v23, 0x1080, v22
	s_waitcnt vmcnt(0) lgkmcnt(0)
	ds_write2_b64 v22, v[18:19], v[20:21] offset1:1
	flat_load_dwordx4 v[18:21], v[8:9] offset:512
	v_lshl_add_u64 v[8:9], v[8:9], 0, s[20:21]
	s_waitcnt vmcnt(0) lgkmcnt(0)
	ds_write2_b64 v23, v[18:19], v[20:21] offset1:1
	flat_load_dwordx4 v[18:21], v[8:9] offset:512
	v_add_u32_e32 v23, 0x2100, v22
	v_lshl_add_u64 v[8:9], v[8:9], 0, s[20:21]
	s_waitcnt vmcnt(0) lgkmcnt(0)
	ds_write2_b64 v23, v[18:19], v[20:21] offset1:1
	flat_load_dwordx4 v[18:21], v[8:9] offset:512
	v_add_u32_e32 v8, 0x3180, v22
	s_waitcnt vmcnt(0) lgkmcnt(0)
	ds_write2_b64 v8, v[18:19], v[20:21] offset1:1
	s_cbranch_execz .LBB62_63
	s_branch .LBB62_80
.LBB62_62:
.LBB62_63:
	v_or_b32_e32 v18, 32, v4
	v_lshlrev_b32_e32 v8, 4, v18
	v_sub_co_u32_e32 v8, vcc, v6, v8
	s_ashr_i32 s25, s24, 31
	s_nop 0
	v_subbrev_co_u32_e32 v9, vcc, 0, v7, vcc
	v_lshl_add_u64 v[8:9], s[24:25], 4, v[8:9]
	v_lshl_add_u64 v[8:9], v[8:9], 0, -16
	v_cmp_gt_i32_e32 vcc, s24, v18
	s_sub_i32 s27, s24, 32
	v_mul_u32_u24_e32 v18, 33, v5
	v_cndmask_b32_e32 v9, v9, v7, vcc
	v_cndmask_b32_e32 v8, v8, v6, vcc
	v_cmp_le_i32_e64 s[20:21], s27, v5
	v_add_lshl_u32 v18, v18, v4, 4
	s_and_saveexec_b64 s[40:41], s[20:21]
	s_xor_b64 s[20:21], exec, s[40:41]
	s_cbranch_execz .LBB62_65
; %bb.64:
	v_mov_b32_e32 v20, 0
	v_mov_b32_e32 v21, v20
	;; [unrolled: 1-line block ×4, first 2 shown]
	ds_write_b128 v18, v[20:23]
.LBB62_65:
	s_andn2_saveexec_b64 s[20:21], s[20:21]
	s_cbranch_execz .LBB62_67
; %bb.66:
	flat_load_dwordx4 v[20:23], v[8:9]
	s_waitcnt vmcnt(0) lgkmcnt(0)
	ds_write2_b64 v18, v[20:21], v[22:23] offset1:1
.LBB62_67:
	s_or_b64 exec, exec, s[20:21]
	v_add_u32_e32 v19, 8, v5
	v_cmp_le_i32_e64 s[20:21], s27, v19
	s_and_saveexec_b64 s[40:41], s[20:21]
	s_xor_b64 s[20:21], exec, s[40:41]
	s_cbranch_execz .LBB62_69
; %bb.68:
	v_mul_u32_u24_e32 v19, 33, v19
	v_mov_b32_e32 v20, 0
	v_add_lshl_u32 v19, v19, v4, 4
	v_mov_b32_e32 v21, v20
	v_mov_b32_e32 v22, v20
	;; [unrolled: 1-line block ×3, first 2 shown]
	ds_write_b128 v19, v[20:23]
.LBB62_69:
	s_andn2_saveexec_b64 s[20:21], s[20:21]
	s_cbranch_execz .LBB62_71
; %bb.70:
	s_lshl_b32 s40, s26, 3
	s_ashr_i32 s41, s40, 31
	v_lshl_add_u64 v[20:21], s[40:41], 4, v[8:9]
	flat_load_dwordx4 v[20:23], v[20:21]
	v_add_u32_e32 v19, 0x1080, v18
	s_waitcnt vmcnt(0) lgkmcnt(0)
	ds_write2_b64 v19, v[20:21], v[22:23] offset1:1
.LBB62_71:
	s_or_b64 exec, exec, s[20:21]
	v_add_u32_e32 v19, 16, v5
	v_cmp_le_i32_e64 s[20:21], s27, v19
	s_and_saveexec_b64 s[40:41], s[20:21]
	s_xor_b64 s[20:21], exec, s[40:41]
	s_cbranch_execz .LBB62_73
; %bb.72:
	v_mul_u32_u24_e32 v19, 33, v19
	v_mov_b32_e32 v20, 0
	v_add_lshl_u32 v19, v19, v4, 4
	v_mov_b32_e32 v21, v20
	v_mov_b32_e32 v22, v20
	;; [unrolled: 1-line block ×3, first 2 shown]
	ds_write_b128 v19, v[20:23]
.LBB62_73:
	s_andn2_saveexec_b64 s[20:21], s[20:21]
	s_cbranch_execz .LBB62_75
; %bb.74:
	s_lshl_b32 s40, s26, 4
	s_ashr_i32 s41, s40, 31
	v_lshl_add_u64 v[20:21], s[40:41], 4, v[8:9]
	flat_load_dwordx4 v[20:23], v[20:21]
	v_add_u32_e32 v19, 0x2100, v18
	s_waitcnt vmcnt(0) lgkmcnt(0)
	ds_write2_b64 v19, v[20:21], v[22:23] offset1:1
.LBB62_75:
	s_or_b64 exec, exec, s[20:21]
	v_add_u32_e32 v19, 24, v5
	v_cmp_le_i32_e64 s[20:21], s27, v19
	s_and_saveexec_b64 s[40:41], s[20:21]
	s_xor_b64 s[20:21], exec, s[40:41]
	s_cbranch_execz .LBB62_77
; %bb.76:
	v_mov_b32_e32 v20, 0
	v_mov_b32_e32 v21, v20
	;; [unrolled: 1-line block ×4, first 2 shown]
	ds_write_b128 v18, v[20:23] offset:12672
                                        ; implicit-def: $vgpr18
.LBB62_77:
	s_andn2_saveexec_b64 s[20:21], s[20:21]
	s_cbranch_execz .LBB62_79
; %bb.78:
	s_mul_i32 s40, s26, 24
	s_ashr_i32 s41, s40, 31
	v_lshl_add_u64 v[20:21], s[40:41], 4, v[8:9]
	flat_load_dwordx4 v[20:23], v[20:21]
	v_add_u32_e32 v18, 0x3180, v18
	s_waitcnt vmcnt(0) lgkmcnt(0)
	ds_write2_b64 v18, v[20:21], v[22:23] offset1:1
.LBB62_79:
	s_or_b64 exec, exec, s[20:21]
	v_lshlrev_b32_e32 v18, 4, v4
	v_mov_b32_e32 v19, 0
	v_lshl_add_u64 v[8:9], v[8:9], 0, v[18:19]
	s_lshl_b64 s[20:21], s[24:25], 4
	v_mov_b32_e32 v18, s21
	v_subrev_co_u32_e64 v8, s[20:21], s20, v8
	s_nop 1
	v_subb_co_u32_e64 v9, s[20:21], v9, v18, s[20:21]
	s_mov_b64 s[20:21], 0x210
	s_nop 0
	v_lshl_add_u64 v[8:9], v[8:9], 0, s[20:21]
	v_cndmask_b32_e32 v7, v9, v7, vcc
	v_cndmask_b32_e32 v6, v8, v6, vcc
.LBB62_80:
	v_add_u32_e32 v8, 0x4700, v17
	s_waitcnt lgkmcnt(0)
	s_barrier
	s_and_saveexec_b64 s[20:21], s[8:9]
	s_xor_b64 s[8:9], exec, s[20:21]
	s_cbranch_execnz .LBB62_93
; %bb.81:
	s_andn2_saveexec_b64 s[8:9], s[8:9]
	s_cbranch_execnz .LBB62_96
.LBB62_82:
	s_or_b64 exec, exec, s[8:9]
	s_and_saveexec_b64 s[8:9], s[10:11]
	s_xor_b64 s[8:9], exec, s[8:9]
	s_cbranch_execnz .LBB62_97
.LBB62_83:
	s_andn2_saveexec_b64 s[8:9], s[8:9]
	s_cbranch_execnz .LBB62_100
.LBB62_84:
	s_or_b64 exec, exec, s[8:9]
	s_and_saveexec_b64 s[8:9], s[12:13]
	s_xor_b64 s[8:9], exec, s[8:9]
	s_cbranch_execnz .LBB62_101
.LBB62_85:
	s_andn2_saveexec_b64 s[8:9], s[8:9]
	s_cbranch_execnz .LBB62_104
.LBB62_86:
	s_or_b64 exec, exec, s[8:9]
	s_and_saveexec_b64 s[8:9], s[14:15]
	s_xor_b64 s[8:9], exec, s[8:9]
	s_cbranch_execnz .LBB62_105
.LBB62_87:
	s_andn2_saveexec_b64 s[8:9], s[8:9]
	s_cbranch_execz .LBB62_89
.LBB62_88:
	ds_read_b128 v[12:15], v11 offset:1056
	s_waitcnt lgkmcnt(0)
	v_xor_b32_e32 v15, 0x80000000, v15
	ds_write_b128 v10, v[12:15] offset:48
.LBB62_89:
	s_or_b64 exec, exec, s[8:9]
	s_waitcnt lgkmcnt(0)
	s_barrier
	ds_read_b128 v[12:15], v8 offset:512
	ds_read_b128 v[16:19], v16
	ds_read_b128 v[20:23], v8 offset:528
	ds_read_b128 v[24:27], v8 offset:544
	v_cmp_eq_u32_e64 s[8:9], 1, v5
	s_waitcnt lgkmcnt(2)
	v_mul_f64 v[28:29], v[14:15], v[18:19]
	v_fma_f64 v[40:41], v[12:13], v[16:17], -v[28:29]
	ds_read_b128 v[28:31], v8 offset:560
	ds_read_b128 v[32:35], v11
	v_mul_f64 v[12:13], v[12:13], v[18:19]
	v_fmac_f64_e32 v[12:13], v[14:15], v[16:17]
	v_add_f64 v[18:19], v[12:13], 0
	v_add_f64 v[16:17], v[40:41], 0
	s_waitcnt lgkmcnt(0)
	v_mul_f64 v[12:13], v[22:23], v[34:35]
	v_fma_f64 v[40:41], v[20:21], v[32:33], -v[12:13]
	v_mul_f64 v[20:21], v[20:21], v[34:35]
	ds_read_b128 v[12:15], v11 offset:528
	v_fmac_f64_e32 v[20:21], v[22:23], v[32:33]
	v_add_f64 v[22:23], v[16:17], v[40:41]
	v_add_f64 v[20:21], v[18:19], v[20:21]
	ds_read_b128 v[16:19], v11 offset:1056
	s_waitcnt lgkmcnt(1)
	v_mul_f64 v[32:33], v[26:27], v[14:15]
	v_mul_f64 v[14:15], v[24:25], v[14:15]
	v_fmac_f64_e32 v[14:15], v[26:27], v[12:13]
	v_fma_f64 v[32:33], v[24:25], v[12:13], -v[32:33]
	v_add_f64 v[14:15], v[20:21], v[14:15]
	s_waitcnt lgkmcnt(0)
	v_mul_f64 v[20:21], v[30:31], v[18:19]
	v_mul_f64 v[18:19], v[28:29], v[18:19]
	v_add_f64 v[12:13], v[22:23], v[32:33]
	v_fma_f64 v[20:21], v[28:29], v[16:17], -v[20:21]
	v_fmac_f64_e32 v[18:19], v[30:31], v[16:17]
	v_add_f64 v[12:13], v[12:13], v[20:21]
	v_add_f64 v[14:15], v[14:15], v[18:19]
	s_barrier
	ds_write_b128 v45, v[12:15]
	s_waitcnt lgkmcnt(0)
	s_barrier
	s_and_saveexec_b64 s[10:11], s[8:9]
	s_cbranch_execz .LBB62_91
; %bb.90:
	v_lshlrev_b32_e32 v9, 4, v44
	ds_read_b128 v[0:3], v9
	ds_read_b128 v[12:15], v9 offset:16
	ds_read_b128 v[16:19], v9 offset:32
	;; [unrolled: 1-line block ×3, first 2 shown]
	s_waitcnt lgkmcnt(2)
	v_add_f64 v[0:1], v[12:13], v[0:1]
	v_add_f64 v[12:13], v[14:15], v[2:3]
	s_waitcnt lgkmcnt(1)
	v_add_f64 v[14:15], v[0:1], v[16:17]
	ds_read_b128 v[0:3], v9 offset:64
	v_add_f64 v[12:13], v[12:13], v[18:19]
	s_waitcnt lgkmcnt(1)
	v_add_f64 v[16:17], v[14:15], v[20:21]
	v_add_f64 v[20:21], v[12:13], v[22:23]
	ds_read_b128 v[12:15], v9 offset:80
	s_waitcnt lgkmcnt(1)
	v_add_f64 v[22:23], v[16:17], v[0:1]
	ds_read_b128 v[16:19], v9 offset:96
	v_add_f64 v[20:21], v[20:21], v[2:3]
	ds_read_b128 v[0:3], v9 offset:112
	s_waitcnt lgkmcnt(2)
	v_add_f64 v[12:13], v[22:23], v[12:13]
	v_add_f64 v[14:15], v[20:21], v[14:15]
	s_waitcnt lgkmcnt(1)
	v_add_f64 v[12:13], v[12:13], v[16:17]
	v_add_f64 v[14:15], v[14:15], v[18:19]
	;; [unrolled: 3-line block ×3, first 2 shown]
.LBB62_91:
	s_or_b64 exec, exec, s[10:11]
	s_lshl_b64 s[10:11], s[36:37], 4
	v_mov_b32_e32 v9, s11
	v_subrev_co_u32_e64 v40, s[10:11], s10, v6
	s_and_b64 vcc, exec, s[16:17]
	s_nop 0
	v_subb_co_u32_e64 v41, s[10:11], v7, v9, s[10:11]
	s_barrier
	s_cbranch_vccnz .LBB62_108
; %bb.92:
	flat_load_dwordx4 v[12:15], v[40:41]
	v_mad_u32_u24 v9, v5, 33, v4
	s_lshl_b32 s10, s26, 3
	v_lshlrev_b32_e32 v20, 4, v9
	s_ashr_i32 s11, s10, 31
	v_lshl_add_u64 v[6:7], s[10:11], 4, v[40:41]
	s_ashr_i32 s27, s26, 31
	s_lshl_b64 s[10:11], s[26:27], 7
	v_add_u32_e32 v11, 0x1080, v20
	s_waitcnt vmcnt(0) lgkmcnt(0)
	ds_write2_b64 v20, v[12:13], v[14:15] offset1:1
	flat_load_dwordx4 v[12:15], v[6:7]
	v_lshl_add_u64 v[6:7], v[6:7], 0, s[10:11]
	s_waitcnt vmcnt(0) lgkmcnt(0)
	ds_write2_b64 v11, v[12:13], v[14:15] offset1:1
	flat_load_dwordx4 v[12:15], v[6:7]
	v_add_u32_e32 v11, 0x2100, v20
	v_lshl_add_u64 v[6:7], v[6:7], 0, s[10:11]
	s_waitcnt vmcnt(0) lgkmcnt(0)
	ds_write2_b64 v11, v[12:13], v[14:15] offset1:1
	flat_load_dwordx4 v[16:19], v[6:7]
	v_add_u32_e32 v11, 8, v5
	v_add_u32_e32 v12, 16, v5
	;; [unrolled: 1-line block ×7, first 2 shown]
	s_waitcnt vmcnt(0) lgkmcnt(0)
	ds_write2_b64 v15, v[16:17], v[18:19] offset1:1
	s_cbranch_execz .LBB62_109
	s_branch .LBB62_126
.LBB62_93:
	v_cmp_eq_u32_e32 vcc, v12, v4
	s_and_saveexec_b64 s[20:21], vcc
	s_cbranch_execz .LBB62_95
; %bb.94:
	v_mul_u32_u24_e32 v9, 34, v4
	v_mov_b32_e32 v18, 0
	v_lshlrev_b32_e32 v9, 4, v9
	v_mov_b32_e32 v19, v18
	ds_write_b64 v9, v[18:19] offset:8
.LBB62_95:
	s_or_b64 exec, exec, s[20:21]
	s_andn2_saveexec_b64 s[8:9], s[8:9]
	s_cbranch_execz .LBB62_82
.LBB62_96:
	ds_read_b128 v[18:21], v16
	s_waitcnt lgkmcnt(0)
	v_xor_b32_e32 v21, 0x80000000, v21
	ds_write_b128 v10, v[18:21]
	s_or_b64 exec, exec, s[8:9]
	s_and_saveexec_b64 s[8:9], s[10:11]
	s_xor_b64 s[8:9], exec, s[8:9]
	s_cbranch_execz .LBB62_83
.LBB62_97:
	v_cmp_eq_u32_e32 vcc, v13, v4
	s_and_saveexec_b64 s[10:11], vcc
	s_cbranch_execz .LBB62_99
; %bb.98:
	v_mul_u32_u24_e32 v9, 34, v4
	v_mov_b32_e32 v12, 0
	v_lshlrev_b32_e32 v9, 4, v9
	v_mov_b32_e32 v13, v12
	ds_write_b64 v9, v[12:13] offset:8
.LBB62_99:
	s_or_b64 exec, exec, s[10:11]
	s_andn2_saveexec_b64 s[8:9], s[8:9]
	s_cbranch_execz .LBB62_84
.LBB62_100:
	ds_read_b128 v[18:21], v11
	s_waitcnt lgkmcnt(0)
	v_xor_b32_e32 v21, 0x80000000, v21
	ds_write_b128 v10, v[18:21] offset:16
	s_or_b64 exec, exec, s[8:9]
	s_and_saveexec_b64 s[8:9], s[12:13]
	s_xor_b64 s[8:9], exec, s[8:9]
	s_cbranch_execz .LBB62_85
.LBB62_101:
	v_cmp_eq_u32_e32 vcc, v14, v4
	s_and_saveexec_b64 s[10:11], vcc
	s_cbranch_execz .LBB62_103
; %bb.102:
	v_mul_u32_u24_e32 v9, 34, v4
	v_mov_b32_e32 v12, 0
	v_lshlrev_b32_e32 v9, 4, v9
	v_mov_b32_e32 v13, v12
	ds_write_b64 v9, v[12:13] offset:8
.LBB62_103:
	s_or_b64 exec, exec, s[10:11]
	s_andn2_saveexec_b64 s[8:9], s[8:9]
	s_cbranch_execz .LBB62_86
.LBB62_104:
	ds_read_b128 v[18:21], v11 offset:528
	s_waitcnt lgkmcnt(0)
	v_xor_b32_e32 v21, 0x80000000, v21
	ds_write_b128 v10, v[18:21] offset:32
	s_or_b64 exec, exec, s[8:9]
	s_and_saveexec_b64 s[8:9], s[14:15]
	s_xor_b64 s[8:9], exec, s[8:9]
	s_cbranch_execz .LBB62_87
.LBB62_105:
	v_cmp_eq_u32_e32 vcc, v15, v4
	s_and_saveexec_b64 s[10:11], vcc
	s_cbranch_execz .LBB62_107
; %bb.106:
	v_mul_u32_u24_e32 v9, 34, v4
	v_mov_b32_e32 v12, 0
	v_lshlrev_b32_e32 v9, 4, v9
	v_mov_b32_e32 v13, v12
	ds_write_b64 v9, v[12:13] offset:8
.LBB62_107:
	s_or_b64 exec, exec, s[10:11]
	s_andn2_saveexec_b64 s[8:9], s[8:9]
	s_cbranch_execnz .LBB62_88
	s_branch .LBB62_89
.LBB62_108:
                                        ; implicit-def: $vgpr9
                                        ; implicit-def: $vgpr11
                                        ; implicit-def: $vgpr7
                                        ; implicit-def: $vgpr12
                                        ; implicit-def: $vgpr6
                                        ; implicit-def: $vgpr13
                                        ; implicit-def: $vgpr14
.LBB62_109:
	v_or_b32_e32 v9, 32, v4
	v_lshlrev_b32_e32 v6, 4, v9
	v_sub_co_u32_e32 v6, vcc, v40, v6
	s_ashr_i32 s25, s24, 31
	s_nop 0
	v_subbrev_co_u32_e32 v7, vcc, 0, v41, vcc
	v_lshl_add_u64 v[6:7], s[24:25], 4, v[6:7]
	v_lshl_add_u64 v[6:7], v[6:7], 0, -16
	v_cmp_gt_i32_e32 vcc, s24, v9
	v_mad_u32_u24 v9, v5, 33, v4
	v_cmp_le_i32_e64 s[10:11], s24, v5
	v_cndmask_b32_e32 v7, v7, v41, vcc
	v_cndmask_b32_e32 v6, v6, v40, vcc
	v_lshlrev_b32_e32 v15, 4, v9
	s_and_saveexec_b64 s[12:13], s[10:11]
	s_xor_b64 s[10:11], exec, s[12:13]
	s_cbranch_execz .LBB62_111
; %bb.110:
	v_mov_b32_e32 v16, 0
	v_mov_b32_e32 v17, v16
	;; [unrolled: 1-line block ×4, first 2 shown]
	ds_write_b128 v15, v[16:19]
.LBB62_111:
	s_andn2_saveexec_b64 s[10:11], s[10:11]
	s_cbranch_execz .LBB62_113
; %bb.112:
	flat_load_dwordx4 v[16:19], v[6:7]
	s_waitcnt vmcnt(0) lgkmcnt(0)
	ds_write2_b64 v15, v[16:17], v[18:19] offset1:1
.LBB62_113:
	s_or_b64 exec, exec, s[10:11]
	v_add_u32_e32 v11, 8, v5
	v_cmp_le_i32_e64 s[10:11], s24, v11
	s_and_saveexec_b64 s[12:13], s[10:11]
	s_xor_b64 s[10:11], exec, s[12:13]
	s_cbranch_execz .LBB62_115
; %bb.114:
	v_mul_u32_u24_e32 v12, 33, v11
	v_mov_b32_e32 v16, 0
	v_add_lshl_u32 v12, v12, v4, 4
	v_mov_b32_e32 v17, v16
	v_mov_b32_e32 v18, v16
	;; [unrolled: 1-line block ×3, first 2 shown]
	ds_write_b128 v12, v[16:19]
.LBB62_115:
	s_andn2_saveexec_b64 s[10:11], s[10:11]
	s_cbranch_execz .LBB62_117
; %bb.116:
	s_lshl_b32 s12, s26, 3
	s_ashr_i32 s13, s12, 31
	v_lshl_add_u64 v[12:13], s[12:13], 4, v[6:7]
	flat_load_dwordx4 v[16:19], v[12:13]
	v_add_u32_e32 v12, 0x1080, v15
	s_waitcnt vmcnt(0) lgkmcnt(0)
	ds_write2_b64 v12, v[16:17], v[18:19] offset1:1
.LBB62_117:
	s_or_b64 exec, exec, s[10:11]
	v_add_u32_e32 v12, 16, v5
	v_cmp_le_i32_e64 s[10:11], s24, v12
	s_and_saveexec_b64 s[12:13], s[10:11]
	s_xor_b64 s[10:11], exec, s[12:13]
	s_cbranch_execz .LBB62_119
; %bb.118:
	v_mul_u32_u24_e32 v13, 33, v12
	v_mov_b32_e32 v16, 0
	v_add_lshl_u32 v13, v13, v4, 4
	v_mov_b32_e32 v17, v16
	v_mov_b32_e32 v18, v16
	;; [unrolled: 1-line block ×3, first 2 shown]
	ds_write_b128 v13, v[16:19]
.LBB62_119:
	s_andn2_saveexec_b64 s[10:11], s[10:11]
	s_cbranch_execz .LBB62_121
; %bb.120:
	s_lshl_b32 s12, s26, 4
	s_ashr_i32 s13, s12, 31
	v_lshl_add_u64 v[16:17], s[12:13], 4, v[6:7]
	flat_load_dwordx4 v[16:19], v[16:17]
	v_add_u32_e32 v13, 0x2100, v15
	s_waitcnt vmcnt(0) lgkmcnt(0)
	ds_write2_b64 v13, v[16:17], v[18:19] offset1:1
.LBB62_121:
	s_or_b64 exec, exec, s[10:11]
	v_add_u32_e32 v13, 24, v5
	v_cmp_le_i32_e64 s[10:11], s24, v13
                                        ; implicit-def: $vgpr14
	s_and_saveexec_b64 s[12:13], s[10:11]
	s_xor_b64 s[10:11], exec, s[12:13]
	s_cbranch_execz .LBB62_123
; %bb.122:
	v_mad_u32_u24 v14, v13, 33, v4
	v_mov_b32_e32 v16, 0
	v_lshlrev_b32_e32 v15, 4, v14
	v_mov_b32_e32 v17, v16
	v_mov_b32_e32 v18, v16
	;; [unrolled: 1-line block ×3, first 2 shown]
	ds_write_b128 v15, v[16:19]
                                        ; implicit-def: $vgpr15
.LBB62_123:
	s_andn2_saveexec_b64 s[10:11], s[10:11]
	s_cbranch_execz .LBB62_125
; %bb.124:
	s_mul_i32 s12, s26, 24
	s_ashr_i32 s13, s12, 31
	v_lshl_add_u64 v[16:17], s[12:13], 4, v[6:7]
	flat_load_dwordx4 v[16:19], v[16:17]
	v_add_u32_e32 v14, 0x318, v9
	v_add_u32_e32 v15, 0x3180, v15
	s_waitcnt vmcnt(0) lgkmcnt(0)
	ds_write2_b64 v15, v[16:17], v[18:19] offset1:1
.LBB62_125:
	s_or_b64 exec, exec, s[10:11]
	v_lshlrev_b32_e32 v16, 4, v4
	v_mov_b32_e32 v17, 0
	v_lshl_add_u64 v[6:7], v[6:7], 0, v[16:17]
	s_lshl_b64 s[10:11], s[24:25], 4
	v_mov_b32_e32 v4, s11
	v_subrev_co_u32_e64 v6, s[10:11], s10, v6
	s_nop 1
	v_subb_co_u32_e64 v7, s[10:11], v7, v4, s[10:11]
	s_mov_b64 s[10:11], 0x210
	s_nop 0
	v_lshl_add_u64 v[6:7], v[6:7], 0, s[10:11]
	v_cndmask_b32_e32 v41, v7, v41, vcc
	v_cndmask_b32_e32 v40, v6, v40, vcc
	v_add_u32_e32 v7, 0x108, v9
	v_add_u32_e32 v6, 0x210, v9
.LBB62_126:
	v_lshlrev_b32_e32 v5, 4, v5
	s_waitcnt lgkmcnt(0)
	s_barrier
	v_lshlrev_b32_e32 v4, 4, v9
	ds_read_b128 v[46:49], v5 offset:18176
	ds_read_b128 v[50:53], v4
	v_lshlrev_b32_e32 v5, 4, v11
	v_lshlrev_b32_e32 v4, 4, v7
	ds_read_b128 v[54:57], v5 offset:18176
	ds_read_b128 v[58:61], v4
	v_lshlrev_b32_e32 v7, 4, v12
	;; [unrolled: 4-line block ×3, first 2 shown]
	v_lshlrev_b32_e32 v6, 4, v14
	ds_read_b128 v[70:73], v7 offset:18176
	ds_read_b128 v[74:77], v6
	s_waitcnt lgkmcnt(6)
	v_mul_f64 v[4:5], v[48:49], v[52:53]
	v_fma_f64 v[4:5], v[46:47], v[50:51], -v[4:5]
	s_waitcnt lgkmcnt(4)
	v_mul_f64 v[16:17], v[56:57], v[60:61]
	v_add_f64 v[4:5], v[4:5], 0
	v_fma_f64 v[16:17], v[54:55], v[58:59], -v[16:17]
	s_waitcnt lgkmcnt(2)
	v_mul_f64 v[6:7], v[64:65], v[68:69]
	v_add_f64 v[4:5], v[4:5], v[16:17]
	v_fma_f64 v[6:7], v[62:63], v[66:67], -v[6:7]
	v_add_f64 v[4:5], v[4:5], v[6:7]
	s_waitcnt lgkmcnt(0)
	v_mul_f64 v[6:7], v[72:73], v[76:77]
	v_fma_f64 v[6:7], v[70:71], v[74:75], -v[6:7]
	v_add_f64 v[78:79], v[4:5], v[6:7]
	ds_read_b128 v[28:31], v10
	ds_read_b128 v[20:23], v10 offset:16
	ds_read_b128 v[12:15], v10 offset:32
	;; [unrolled: 1-line block ×7, first 2 shown]
	v_mul_f64 v[46:47], v[46:47], v[52:53]
	v_fmac_f64_e32 v[46:47], v[48:49], v[50:51]
	v_mul_f64 v[48:49], v[54:55], v[60:61]
	v_add_f64 v[46:47], v[46:47], 0
	v_fmac_f64_e32 v[48:49], v[56:57], v[58:59]
	v_add_f64 v[46:47], v[46:47], v[48:49]
	v_mul_f64 v[48:49], v[62:63], v[68:69]
	v_fmac_f64_e32 v[48:49], v[64:65], v[66:67]
	v_add_f64 v[46:47], v[46:47], v[48:49]
	v_mul_f64 v[48:49], v[70:71], v[76:77]
	v_fmac_f64_e32 v[48:49], v[72:73], v[74:75]
	v_add_f64 v[80:81], v[46:47], v[48:49]
	s_waitcnt lgkmcnt(0)
	s_barrier
	ds_write_b128 v45, v[78:81]
	s_waitcnt lgkmcnt(0)
	s_barrier
	s_and_saveexec_b64 s[10:11], s[8:9]
	s_cbranch_execz .LBB62_128
; %bb.127:
	v_lshlrev_b32_e32 v62, 4, v44
	ds_read_b128 v[46:49], v62
	ds_read_b128 v[50:53], v62 offset:16
	ds_read_b128 v[54:57], v62 offset:32
	;; [unrolled: 1-line block ×3, first 2 shown]
	s_waitcnt lgkmcnt(3)
	v_add_f64 v[0:1], v[0:1], v[46:47]
	v_add_f64 v[2:3], v[2:3], v[48:49]
	s_waitcnt lgkmcnt(2)
	v_add_f64 v[0:1], v[0:1], v[50:51]
	v_add_f64 v[46:47], v[2:3], v[52:53]
	s_waitcnt lgkmcnt(1)
	v_add_f64 v[48:49], v[0:1], v[54:55]
	ds_read_b128 v[0:3], v62 offset:64
	v_add_f64 v[46:47], v[46:47], v[56:57]
	s_waitcnt lgkmcnt(1)
	v_add_f64 v[50:51], v[48:49], v[58:59]
	v_add_f64 v[54:55], v[46:47], v[60:61]
	ds_read_b128 v[46:49], v62 offset:80
	s_waitcnt lgkmcnt(1)
	v_add_f64 v[56:57], v[50:51], v[0:1]
	ds_read_b128 v[50:53], v62 offset:96
	v_add_f64 v[54:55], v[54:55], v[2:3]
	ds_read_b128 v[0:3], v62 offset:112
	s_waitcnt lgkmcnt(2)
	v_add_f64 v[46:47], v[56:57], v[46:47]
	v_add_f64 v[48:49], v[54:55], v[48:49]
	s_waitcnt lgkmcnt(1)
	v_add_f64 v[46:47], v[46:47], v[50:51]
	v_add_f64 v[48:49], v[48:49], v[52:53]
	s_waitcnt lgkmcnt(0)
	v_add_f64 v[0:1], v[46:47], v[0:1]
	v_add_f64 v[2:3], v[48:49], v[2:3]
.LBB62_128:
	s_or_b64 exec, exec, s[10:11]
	v_mul_f64 v[46:47], v[30:31], v[34:35]
	v_mul_f64 v[30:31], v[30:31], v[32:33]
	v_fmac_f64_e32 v[46:47], v[28:29], v[32:33]
	v_fma_f64 v[28:29], v[28:29], v[34:35], -v[30:31]
	v_mul_f64 v[32:33], v[22:23], v[26:27]
	v_mul_f64 v[22:23], v[22:23], v[24:25]
	v_add_f64 v[30:31], v[46:47], 0
	v_add_f64 v[28:29], v[28:29], 0
	v_fmac_f64_e32 v[32:33], v[20:21], v[24:25]
	v_fma_f64 v[20:21], v[20:21], v[26:27], -v[22:23]
	v_mul_f64 v[24:25], v[14:15], v[18:19]
	v_mul_f64 v[14:15], v[14:15], v[16:17]
	v_add_f64 v[22:23], v[30:31], v[32:33]
	v_add_f64 v[20:21], v[28:29], v[20:21]
	;; [unrolled: 6-line block ×3, first 2 shown]
	v_fmac_f64_e32 v[16:17], v[4:5], v[8:9]
	v_fma_f64 v[6:7], v[4:5], v[10:11], -v[6:7]
	v_add_f64 v[4:5], v[14:15], v[16:17]
	v_add_f64 v[6:7], v[12:13], v[6:7]
	s_barrier
	ds_write_b128 v45, v[4:7]
	s_waitcnt lgkmcnt(0)
	s_barrier
	s_and_saveexec_b64 s[8:9], s[6:7]
	s_cbranch_execz .LBB62_130
; %bb.129:
	v_lshlrev_b32_e32 v20, 4, v44
	ds_read_b128 v[4:7], v20
	ds_read_b128 v[8:11], v20 offset:16
	ds_read_b128 v[12:15], v20 offset:32
	;; [unrolled: 1-line block ×3, first 2 shown]
	s_waitcnt lgkmcnt(3)
	v_add_f64 v[0:1], v[0:1], v[4:5]
	v_add_f64 v[2:3], v[2:3], v[6:7]
	s_waitcnt lgkmcnt(2)
	v_add_f64 v[0:1], v[0:1], v[8:9]
	v_add_f64 v[4:5], v[2:3], v[10:11]
	s_waitcnt lgkmcnt(1)
	v_add_f64 v[6:7], v[0:1], v[12:13]
	ds_read_b128 v[0:3], v20 offset:64
	v_add_f64 v[4:5], v[4:5], v[14:15]
	s_waitcnt lgkmcnt(1)
	v_add_f64 v[8:9], v[6:7], v[16:17]
	v_add_f64 v[12:13], v[4:5], v[18:19]
	ds_read_b128 v[4:7], v20 offset:80
	s_waitcnt lgkmcnt(1)
	v_add_f64 v[14:15], v[8:9], v[0:1]
	ds_read_b128 v[8:11], v20 offset:96
	v_add_f64 v[12:13], v[12:13], v[2:3]
	ds_read_b128 v[0:3], v20 offset:112
	s_waitcnt lgkmcnt(2)
	v_add_f64 v[4:5], v[14:15], v[4:5]
	v_add_f64 v[6:7], v[12:13], v[6:7]
	s_waitcnt lgkmcnt(1)
	v_add_f64 v[4:5], v[4:5], v[8:9]
	v_add_f64 v[6:7], v[6:7], v[10:11]
	;; [unrolled: 3-line block ×3, first 2 shown]
.LBB62_130:
	s_or_b64 exec, exec, s[8:9]
	s_load_dwordx2 s[0:1], s[0:1], 0x78
	s_mul_hi_u32 s6, s23, s22
	s_mul_i32 s38, s38, s22
	s_add_i32 s6, s6, s38
	s_mul_i32 s8, s23, s22
	s_mul_i32 s6, s6, s33
	s_mul_hi_u32 s7, s8, s33
	s_add_i32 s7, s7, s6
	s_mul_i32 s6, s8, s33
	s_lshl_b64 s[6:7], s[6:7], 4
	s_waitcnt lgkmcnt(0)
	s_add_u32 s6, s0, s6
	s_mul_i32 s0, s2, s23
	s_addc_u32 s7, s1, s7
	s_ashr_i32 s1, s0, 31
	s_lshl_b64 s[0:1], s[0:1], 4
	s_add_u32 s6, s6, s0
	v_cmp_le_i32_e32 vcc, s24, v42
	s_addc_u32 s7, s7, s1
	s_and_b64 vcc, s[34:35], vcc
	s_cmp_lt_i32 s2, 1
	v_lshlrev_b32_e32 v140, 4, v42
	s_barrier
	s_cbranch_scc1 .LBB62_137
; %bb.131:
	s_mul_i32 s0, s28, s3
	s_ashr_i32 s1, s0, 31
	s_lshl_b64 s[0:1], s[0:1], 4
	v_mov_b32_e32 v4, s1
	v_subrev_co_u32_e64 v134, s[0:1], s0, v36
	s_ashr_i32 s25, s24, 31
	s_nop 0
	v_subb_co_u32_e64 v135, s[0:1], v37, v4, s[0:1]
	v_mov_b32_e32 v4, s31
	v_subrev_co_u32_e64 v6, s[0:1], s30, v40
	v_and_b32_e32 v10, 15, v42
	s_nop 0
	v_subb_co_u32_e64 v7, s[0:1], v41, v4, s[0:1]
	v_lshlrev_b64 v[4:5], 4, v[38:39]
	v_sub_co_u32_e64 v4, s[0:1], v6, v4
	v_mul_lo_u32 v6, v133, s26
	s_nop 0
	v_subb_co_u32_e64 v5, s[0:1], v7, v5, s[0:1]
	v_lshl_add_u32 v6, v6, 2, v42
	v_ashrrev_i32_e32 v7, 31, v6
	s_movk_i32 s0, 0xfe00
	v_lshl_add_u64 v[4:5], v[6:7], 4, v[4:5]
	s_mov_b32 s1, -1
	v_lshl_add_u64 v[4:5], v[4:5], 0, s[0:1]
	v_sub_co_u32_e64 v6, s[0:1], v4, v140
	s_movk_i32 s8, 0x430
	s_nop 0
	v_subbrev_co_u32_e64 v7, s[0:1], 0, v5, s[0:1]
	v_lshl_add_u64 v[6:7], s[24:25], 4, v[6:7]
	v_lshl_add_u64 v[6:7], v[6:7], 0, -16
	v_cndmask_b32_e32 v8, v4, v6, vcc
	v_and_b32_e32 v4, 48, v42
	v_cndmask_b32_e32 v9, v5, v7, vcc
	v_lshlrev_b32_e32 v5, 4, v4
	v_mad_u32_u24 v143, v10, s8, v5
	v_or_b32_e32 v5, 0xf0, v140
	v_mad_u32_u24 v144, v10, s8, v5
	v_lshlrev_b32_e32 v5, 2, v43
	v_and_b32_e32 v5, 0x7ffc0, v5
	v_mad_u32_u24 v145, v10, s8, v5
	v_mov_b32_e32 v5, 0x4300
	s_ashr_i32 s27, s26, 31
	v_lshl_add_u32 v146, v133, 6, v5
	s_movk_i32 s9, 0x10c0
	v_and_b32_e32 v5, 0x1fff0, v43
	v_mov_b32_e32 v137, 0
	s_lshl_b32 s3, s3, 6
	v_add_u32_e32 v141, 0x4300, v140
	v_add_u32_e32 v142, 0x4700, v140
	v_cmp_gt_u32_e64 s[0:1], 64, v43
	v_mad_u32_u24 v147, v133, s9, v140
	v_mad_u32_u24 v148, v10, s8, v5
	s_lshl_b64 s[8:9], s[26:27], 4
	s_mul_hi_i32 s11, s26, 0xd0
	s_mul_i32 s10, s26, 0xd0
	v_or_b32_e32 v136, v4, v10
	s_mov_b32 s12, 0
	s_branch .LBB62_133
.LBB62_132:                             ;   in Loop: Header=BB62_133 Depth=1
	s_or_b64 exec, exec, s[14:15]
	v_mul_f64 v[150:151], v[6:7], v[22:23]
	v_fma_f64 v[150:151], v[4:5], v[20:21], -v[150:151]
	v_mul_f64 v[4:5], v[4:5], v[22:23]
	v_mul_f64 v[22:23], v[10:11], v[42:43]
	v_add_f64 v[0:1], v[0:1], v[150:151]
	v_fma_f64 v[22:23], v[8:9], v[40:41], -v[22:23]
	v_add_f64 v[0:1], v[0:1], v[22:23]
	v_mul_f64 v[22:23], v[14:15], v[46:47]
	v_fma_f64 v[22:23], v[12:13], v[44:45], -v[22:23]
	v_add_f64 v[0:1], v[0:1], v[22:23]
	v_mul_f64 v[22:23], v[18:19], v[50:51]
	v_fmac_f64_e32 v[4:5], v[6:7], v[20:21]
	v_fma_f64 v[22:23], v[16:17], v[48:49], -v[22:23]
	v_add_f64 v[2:3], v[2:3], v[4:5]
	v_mul_f64 v[4:5], v[26:27], v[70:71]
	v_add_f64 v[0:1], v[0:1], v[22:23]
	v_fma_f64 v[4:5], v[24:25], v[68:69], -v[4:5]
	v_add_f64 v[0:1], v[0:1], v[4:5]
	v_mul_f64 v[4:5], v[30:31], v[82:83]
	v_fma_f64 v[4:5], v[28:29], v[80:81], -v[4:5]
	v_add_f64 v[0:1], v[0:1], v[4:5]
	v_mul_f64 v[4:5], v[38:39], v[78:79]
	v_fma_f64 v[4:5], v[36:37], v[76:77], -v[4:5]
	v_add_f64 v[0:1], v[0:1], v[4:5]
	v_mul_f64 v[4:5], v[34:35], v[74:75]
	v_fma_f64 v[4:5], v[32:33], v[72:73], -v[4:5]
	v_mul_f64 v[8:9], v[8:9], v[42:43]
	v_add_f64 v[0:1], v[0:1], v[4:5]
	v_mul_f64 v[4:5], v[66:67], v[102:103]
	v_mul_f64 v[12:13], v[12:13], v[46:47]
	v_fmac_f64_e32 v[8:9], v[10:11], v[40:41]
	v_fma_f64 v[4:5], v[64:65], v[100:101], -v[4:5]
	v_mul_f64 v[16:17], v[16:17], v[50:51]
	v_add_f64 v[2:3], v[2:3], v[8:9]
	v_fmac_f64_e32 v[12:13], v[14:15], v[44:45]
	v_add_f64 v[0:1], v[0:1], v[4:5]
	v_mul_f64 v[4:5], v[62:63], v[118:119]
	v_add_f64 v[2:3], v[2:3], v[12:13]
	v_fmac_f64_e32 v[16:17], v[18:19], v[48:49]
	v_mul_f64 v[6:7], v[24:25], v[70:71]
	v_fma_f64 v[4:5], v[60:61], v[116:117], -v[4:5]
	v_add_f64 v[2:3], v[2:3], v[16:17]
	v_mul_f64 v[8:9], v[28:29], v[82:83]
	v_fmac_f64_e32 v[6:7], v[26:27], v[68:69]
	v_add_f64 v[0:1], v[0:1], v[4:5]
	v_mul_f64 v[4:5], v[58:59], v[114:115]
	v_mul_f64 v[10:11], v[36:37], v[78:79]
	v_add_f64 v[2:3], v[2:3], v[6:7]
	v_fmac_f64_e32 v[8:9], v[30:31], v[80:81]
	v_fma_f64 v[4:5], v[56:57], v[112:113], -v[4:5]
	v_mul_f64 v[12:13], v[32:33], v[74:75]
	v_add_f64 v[2:3], v[2:3], v[8:9]
	v_fmac_f64_e32 v[10:11], v[38:39], v[76:77]
	v_add_f64 v[0:1], v[0:1], v[4:5]
	v_mul_f64 v[4:5], v[54:55], v[110:111]
	v_add_f64 v[2:3], v[2:3], v[10:11]
	v_fmac_f64_e32 v[12:13], v[34:35], v[72:73]
	v_mul_f64 v[6:7], v[64:65], v[102:103]
	v_fma_f64 v[4:5], v[52:53], v[108:109], -v[4:5]
	v_add_f64 v[2:3], v[2:3], v[12:13]
	v_mul_f64 v[8:9], v[60:61], v[118:119]
	v_add_f64 v[0:1], v[0:1], v[4:5]
	v_fmac_f64_e32 v[6:7], v[66:67], v[100:101]
	v_mul_f64 v[4:5], v[86:87], v[106:107]
	v_mul_f64 v[10:11], v[56:57], v[114:115]
	v_add_f64 v[2:3], v[2:3], v[6:7]
	v_fmac_f64_e32 v[8:9], v[62:63], v[116:117]
	v_fma_f64 v[4:5], v[84:85], v[104:105], -v[4:5]
	v_mul_f64 v[12:13], v[52:53], v[110:111]
	v_add_f64 v[2:3], v[2:3], v[8:9]
	v_fmac_f64_e32 v[10:11], v[58:59], v[112:113]
	v_add_f64 v[0:1], v[0:1], v[4:5]
	v_mul_f64 v[4:5], v[90:91], v[122:123]
	v_add_f64 v[2:3], v[2:3], v[10:11]
	v_fmac_f64_e32 v[12:13], v[54:55], v[108:109]
	v_mul_f64 v[6:7], v[84:85], v[106:107]
	v_fma_f64 v[4:5], v[88:89], v[120:121], -v[4:5]
	v_add_f64 v[2:3], v[2:3], v[12:13]
	v_mul_f64 v[8:9], v[88:89], v[122:123]
	v_add_f64 v[0:1], v[0:1], v[4:5]
	v_mul_f64 v[4:5], v[94:95], v[126:127]
	v_fmac_f64_e32 v[6:7], v[86:87], v[104:105]
	v_fma_f64 v[4:5], v[92:93], v[124:125], -v[4:5]
	v_mul_f64 v[10:11], v[92:93], v[126:127]
	v_fmac_f64_e32 v[8:9], v[90:91], v[120:121]
	v_add_f64 v[2:3], v[2:3], v[6:7]
	v_add_f64 v[0:1], v[0:1], v[4:5]
	v_mul_f64 v[4:5], v[98:99], v[130:131]
	v_mul_f64 v[12:13], v[96:97], v[130:131]
	v_fmac_f64_e32 v[10:11], v[94:95], v[124:125]
	v_add_f64 v[2:3], v[2:3], v[8:9]
	v_fma_f64 v[4:5], v[96:97], v[128:129], -v[4:5]
	v_fmac_f64_e32 v[12:13], v[98:99], v[128:129]
	v_add_f64 v[2:3], v[2:3], v[10:11]
	s_add_i32 s2, s2, -1
	s_add_i32 s12, s12, s3
	v_add_f64 v[0:1], v[0:1], v[4:5]
	v_add_f64 v[2:3], v[2:3], v[12:13]
	v_add_u32_e32 v136, 64, v136
	s_cmp_eq_u32 s2, 0
	v_lshl_add_u64 v[8:9], v[138:139], 0, s[10:11]
	s_barrier
	s_cbranch_scc1 .LBB62_137
.LBB62_133:                             ; =>This Inner Loop Header: Depth=1
	s_and_saveexec_b64 s[14:15], s[18:19]
	s_cbranch_execz .LBB62_135
; %bb.134:                              ;   in Loop: Header=BB62_133 Depth=1
	s_ashr_i32 s13, s12, 31
	v_lshl_add_u64 v[4:5], s[12:13], 4, v[134:135]
	flat_load_dwordx4 v[4:7], v[4:5]
	s_waitcnt vmcnt(0) lgkmcnt(0)
	ds_write2_b64 v141, v[4:5], v[6:7] offset1:1
.LBB62_135:                             ;   in Loop: Header=BB62_133 Depth=1
	s_or_b64 exec, exec, s[14:15]
	s_waitcnt lgkmcnt(0)
	s_barrier
	flat_load_dwordx4 v[4:7], v[8:9]
	v_lshl_add_u64 v[12:13], v[8:9], 0, s[8:9]
	flat_load_dwordx4 v[8:11], v[12:13]
	v_lshl_add_u64 v[16:17], v[12:13], 0, s[8:9]
	;; [unrolled: 2-line block ×3, first 2 shown]
	flat_load_dwordx4 v[16:19], v[28:29]
	ds_read_b128 v[24:27], v142
	ds_read_b128 v[20:23], v146
	v_lshl_add_u64 v[36:37], v[28:29], 0, s[10:11]
	s_waitcnt vmcnt(0) lgkmcnt(0)
	v_mul_f64 v[28:29], v[6:7], v[26:27]
	v_mul_f64 v[30:31], v[6:7], v[24:25]
	v_fmac_f64_e32 v[28:29], v[4:5], v[24:25]
	v_fma_f64 v[30:31], v[4:5], v[26:27], -v[30:31]
	v_mul_f64 v[32:33], v[10:11], v[26:27]
	v_mul_f64 v[34:35], v[10:11], v[24:25]
	ds_write_b128 v147, v[28:31]
	v_fmac_f64_e32 v[32:33], v[8:9], v[24:25]
	v_fma_f64 v[34:35], v[8:9], v[26:27], -v[34:35]
	v_mul_f64 v[28:29], v[14:15], v[26:27]
	v_mul_f64 v[30:31], v[14:15], v[24:25]
	ds_read_b128 v[40:43], v146 offset:16
	ds_write_b128 v147, v[32:35] offset:1072
	v_fmac_f64_e32 v[28:29], v[12:13], v[24:25]
	v_fma_f64 v[30:31], v[12:13], v[26:27], -v[30:31]
	v_mul_f64 v[32:33], v[18:19], v[26:27]
	v_mul_f64 v[34:35], v[18:19], v[24:25]
	ds_read_b128 v[44:47], v146 offset:32
	ds_write_b128 v147, v[28:31] offset:2144
	v_fmac_f64_e32 v[32:33], v[16:17], v[24:25]
	v_fma_f64 v[34:35], v[16:17], v[26:27], -v[34:35]
	ds_read_b128 v[48:51], v146 offset:48
	ds_write_b128 v147, v[32:35] offset:3216
	s_waitcnt lgkmcnt(0)
	s_barrier
	ds_read_b128 v[128:131], v145
	ds_read_b128 v[124:127], v145 offset:16
	ds_read_b128 v[120:123], v145 offset:32
	;; [unrolled: 1-line block ×3, first 2 shown]
	s_waitcnt lgkmcnt(0)
	s_barrier
	flat_load_dwordx4 v[24:27], v[36:37]
	v_lshl_add_u64 v[32:33], v[36:37], 0, s[8:9]
	flat_load_dwordx4 v[28:31], v[32:33]
	v_lshl_add_u64 v[32:33], v[32:33], 0, s[8:9]
	;; [unrolled: 2-line block ×3, first 2 shown]
	flat_load_dwordx4 v[32:35], v[56:57]
	ds_read_b128 v[52:55], v142
	ds_read_b128 v[68:71], v146 offset:256
	v_lshl_add_u64 v[88:89], v[56:57], 0, s[10:11]
	v_add_f64 v[128:129], v[128:129], 0
	v_add_f64 v[130:131], v[130:131], 0
	;; [unrolled: 1-line block ×8, first 2 shown]
	s_waitcnt vmcnt(0) lgkmcnt(0)
	v_mul_f64 v[56:57], v[26:27], v[54:55]
	v_mul_f64 v[58:59], v[26:27], v[52:53]
	v_mul_f64 v[60:61], v[30:31], v[54:55]
	v_mul_f64 v[62:63], v[30:31], v[52:53]
	v_fmac_f64_e32 v[56:57], v[24:25], v[52:53]
	v_fma_f64 v[58:59], v[24:25], v[54:55], -v[58:59]
	v_mul_f64 v[64:65], v[38:39], v[54:55]
	v_mul_f64 v[66:67], v[38:39], v[52:53]
	v_fmac_f64_e32 v[60:61], v[28:29], v[52:53]
	v_fma_f64 v[62:63], v[28:29], v[54:55], -v[62:63]
	ds_write_b128 v147, v[56:59]
	v_mul_f64 v[84:85], v[34:35], v[54:55]
	v_mul_f64 v[72:73], v[34:35], v[52:53]
	v_fmac_f64_e32 v[64:65], v[36:37], v[52:53]
	v_fma_f64 v[66:67], v[36:37], v[54:55], -v[66:67]
	ds_read_b128 v[80:83], v146 offset:272
	ds_write_b128 v147, v[60:63] offset:1072
	v_fmac_f64_e32 v[84:85], v[32:33], v[52:53]
	v_fma_f64 v[86:87], v[32:33], v[54:55], -v[72:73]
	ds_read_b128 v[76:79], v146 offset:288
	ds_write_b128 v147, v[64:67] offset:2144
	ds_read_b128 v[72:75], v146 offset:304
	ds_write_b128 v147, v[84:87] offset:3216
	s_waitcnt lgkmcnt(0)
	s_barrier
	ds_read_b128 v[150:153], v145
	ds_read_b128 v[154:157], v145 offset:16
	ds_read_b128 v[158:161], v145 offset:32
	;; [unrolled: 1-line block ×3, first 2 shown]
	s_waitcnt lgkmcnt(0)
	s_barrier
	flat_load_dwordx4 v[64:67], v[88:89]
	v_lshl_add_u64 v[52:53], v[88:89], 0, s[8:9]
	flat_load_dwordx4 v[60:63], v[52:53]
	v_lshl_add_u64 v[52:53], v[52:53], 0, s[8:9]
	;; [unrolled: 2-line block ×3, first 2 shown]
	flat_load_dwordx4 v[52:55], v[88:89]
	ds_read_b128 v[84:87], v142
	ds_read_b128 v[100:103], v146 offset:512
	v_lshl_add_u64 v[138:139], v[88:89], 0, s[10:11]
	v_add_f64 v[104:105], v[150:151], 0
	v_add_f64 v[106:107], v[152:153], 0
	;; [unrolled: 1-line block ×8, first 2 shown]
	s_waitcnt vmcnt(0) lgkmcnt(0)
	v_mul_f64 v[88:89], v[66:67], v[86:87]
	v_mul_f64 v[90:91], v[66:67], v[84:85]
	;; [unrolled: 1-line block ×4, first 2 shown]
	v_fmac_f64_e32 v[88:89], v[64:65], v[84:85]
	v_fma_f64 v[90:91], v[64:65], v[86:87], -v[90:91]
	v_mul_f64 v[96:97], v[58:59], v[86:87]
	v_mul_f64 v[98:99], v[58:59], v[84:85]
	v_fmac_f64_e32 v[92:93], v[60:61], v[84:85]
	v_fma_f64 v[94:95], v[60:61], v[86:87], -v[94:95]
	ds_write_b128 v147, v[88:91]
	v_mul_f64 v[166:167], v[54:55], v[86:87]
	v_mul_f64 v[108:109], v[54:55], v[84:85]
	v_fmac_f64_e32 v[96:97], v[56:57], v[84:85]
	v_fma_f64 v[98:99], v[56:57], v[86:87], -v[98:99]
	ds_read_b128 v[116:119], v146 offset:528
	ds_write_b128 v147, v[92:95] offset:1072
	v_fmac_f64_e32 v[166:167], v[52:53], v[84:85]
	v_fma_f64 v[168:169], v[52:53], v[86:87], -v[108:109]
	ds_read_b128 v[112:115], v146 offset:544
	ds_write_b128 v147, v[96:99] offset:2144
	v_lshl_add_u64 v[92:93], v[138:139], 0, s[8:9]
	ds_read_b128 v[108:111], v146 offset:560
	ds_write_b128 v147, v[166:169] offset:3216
	s_waitcnt lgkmcnt(0)
	s_barrier
	ds_read_b128 v[166:169], v145
	ds_read_b128 v[170:173], v145 offset:16
	ds_read_b128 v[174:177], v145 offset:32
	;; [unrolled: 1-line block ×3, first 2 shown]
	s_waitcnt lgkmcnt(0)
	s_barrier
	flat_load_dwordx4 v[84:87], v[138:139]
	v_lshl_add_u64 v[96:97], v[92:93], 0, s[8:9]
	flat_load_dwordx4 v[88:91], v[92:93]
	v_lshl_add_u64 v[138:139], v[96:97], 0, s[8:9]
	flat_load_dwordx4 v[92:95], v[96:97]
	v_add_f64 v[124:125], v[166:167], 0
	flat_load_dwordx4 v[96:99], v[138:139]
	ds_read_b128 v[120:123], v142
	ds_read_b128 v[104:107], v146 offset:768
	v_add_f64 v[126:127], v[168:169], 0
	v_add_f64 v[124:125], v[124:125], v[170:171]
	v_add_f64 v[126:127], v[126:127], v[172:173]
	v_add_f64 v[124:125], v[124:125], v[174:175]
	v_add_f64 v[126:127], v[126:127], v[176:177]
	v_add_f64 v[154:155], v[124:125], v[178:179]
	v_add_f64 v[156:157], v[126:127], v[180:181]
	s_waitcnt vmcnt(0) lgkmcnt(0)
	v_mul_f64 v[124:125], v[86:87], v[122:123]
	v_mul_f64 v[126:127], v[86:87], v[120:121]
	v_mul_f64 v[128:129], v[90:91], v[122:123]
	v_mul_f64 v[130:131], v[90:91], v[120:121]
	v_fma_f64 v[126:127], v[84:85], v[122:123], -v[126:127]
	v_fmac_f64_e32 v[124:125], v[84:85], v[120:121]
	v_mul_f64 v[158:159], v[94:95], v[122:123]
	v_mul_f64 v[160:161], v[94:95], v[120:121]
	;; [unrolled: 1-line block ×4, first 2 shown]
	v_fma_f64 v[130:131], v[88:89], v[122:123], -v[130:131]
	v_fmac_f64_e32 v[128:129], v[88:89], v[120:121]
	ds_write_b128 v147, v[124:127]
	v_fma_f64 v[160:161], v[92:93], v[122:123], -v[160:161]
	v_fmac_f64_e32 v[158:159], v[92:93], v[120:121]
	v_fmac_f64_e32 v[162:163], v[96:97], v[120:121]
	v_fma_f64 v[164:165], v[96:97], v[122:123], -v[164:165]
	ds_read_b128 v[120:123], v146 offset:784
	ds_write_b128 v147, v[128:131] offset:1072
	ds_read_b128 v[124:127], v146 offset:800
	ds_write_b128 v147, v[158:161] offset:2144
	;; [unrolled: 2-line block ×3, first 2 shown]
	s_waitcnt lgkmcnt(0)
	s_barrier
	ds_read_b128 v[158:161], v145
	ds_read_b128 v[162:165], v145 offset:16
	ds_read_b128 v[166:169], v145 offset:32
	;; [unrolled: 1-line block ×3, first 2 shown]
	s_waitcnt lgkmcnt(0)
	s_barrier
	ds_write_b128 v148, v[182:185]
	ds_write_b128 v148, v[150:153] offset:256
	ds_write_b128 v148, v[154:157] offset:512
	v_add_f64 v[150:151], v[158:159], 0
	v_add_f64 v[152:153], v[160:161], 0
	;; [unrolled: 1-line block ×8, first 2 shown]
	ds_write_b128 v148, v[150:153] offset:768
	s_waitcnt lgkmcnt(0)
	s_barrier
	s_and_saveexec_b64 s[14:15], s[0:1]
	s_cbranch_execz .LBB62_132
; %bb.136:                              ;   in Loop: Header=BB62_133 Depth=1
	ds_read_b128 v[150:153], v143
	ds_read_b128 v[154:157], v143 offset:16
	ds_read_b128 v[158:161], v143 offset:32
	;; [unrolled: 1-line block ×3, first 2 shown]
	s_waitcnt lgkmcnt(2)
	v_add_f64 v[150:151], v[154:155], v[150:151]
	v_add_f64 v[154:155], v[156:157], v[152:153]
	s_waitcnt lgkmcnt(1)
	v_add_f64 v[156:157], v[150:151], v[158:159]
	ds_read_b128 v[150:153], v143 offset:64
	v_add_f64 v[158:159], v[154:155], v[160:161]
	s_waitcnt lgkmcnt(1)
	v_add_f64 v[160:161], v[156:157], v[162:163]
	ds_read_b128 v[154:157], v143 offset:80
	;; [unrolled: 4-line block ×9, first 2 shown]
	v_add_f64 v[152:153], v[162:163], v[152:153]
	s_waitcnt lgkmcnt(1)
	v_add_f64 v[154:155], v[150:151], v[154:155]
	v_add_f64 v[162:163], v[152:153], v[156:157]
	ds_read_b128 v[150:153], v143 offset:208
	s_waitcnt lgkmcnt(1)
	v_add_f64 v[164:165], v[154:155], v[158:159]
	ds_read_b128 v[154:157], v143 offset:224
	v_add_f64 v[162:163], v[162:163], v[160:161]
	ds_read_b128 v[158:161], v144
	s_waitcnt lgkmcnt(2)
	v_add_f64 v[150:151], v[164:165], v[150:151]
	v_add_f64 v[152:153], v[162:163], v[152:153]
	s_waitcnt lgkmcnt(1)
	v_add_f64 v[150:151], v[150:151], v[154:155]
	v_add_f64 v[152:153], v[152:153], v[156:157]
	;; [unrolled: 3-line block ×3, first 2 shown]
	v_lshl_add_u64 v[154:155], v[136:137], 4, s[6:7]
	global_store_dwordx4 v[154:155], v[150:153], off
	s_branch .LBB62_132
.LBB62_137:
	s_movk_i32 s0, 0x430
	v_mad_u32_u24 v4, v133, s0, v140
	s_or_b64 s[0:1], s[4:5], vcc
	s_xor_b64 s[0:1], s[0:1], -1
	ds_write_b128 v4, v[0:3]
	s_waitcnt lgkmcnt(0)
	s_barrier
	s_and_saveexec_b64 s[2:3], s[0:1]
	s_cbranch_execz .LBB62_139
; %bb.138:
	ds_read_b128 v[0:3], v140 offset:1072
	ds_read_b128 v[4:7], v140
	ds_read_b128 v[8:11], v140 offset:2144
	ds_read_b128 v[12:15], v140 offset:3216
	v_ashrrev_i32_e32 v133, 31, v132
	s_waitcnt lgkmcnt(2)
	v_add_f64 v[0:1], v[0:1], v[4:5]
	v_add_f64 v[2:3], v[2:3], v[6:7]
	s_waitcnt lgkmcnt(1)
	v_add_f64 v[0:1], v[0:1], v[8:9]
	v_add_f64 v[2:3], v[2:3], v[10:11]
	;; [unrolled: 3-line block ×3, first 2 shown]
	v_lshl_add_u64 v[4:5], v[132:133], 4, s[6:7]
	global_store_dwordx4 v[4:5], v[0:3], off
.LBB62_139:
	s_endpgm
	.section	.rodata,"a",@progbits
	.p2align	6, 0x0
	.amdhsa_kernel _ZL26rocblas_hemvn_kernel_lowerILb1ELi64ELi4ELi33ELi32ELi16Ei19rocblas_complex_numIdEPKPKS1_PS1_EviT6_lT7_lT5_lS8_lS9_lS7_lT8_i
		.amdhsa_group_segment_fixed_size 19200
		.amdhsa_private_segment_fixed_size 0
		.amdhsa_kernarg_size 392
		.amdhsa_user_sgpr_count 2
		.amdhsa_user_sgpr_dispatch_ptr 0
		.amdhsa_user_sgpr_queue_ptr 0
		.amdhsa_user_sgpr_kernarg_segment_ptr 1
		.amdhsa_user_sgpr_dispatch_id 0
		.amdhsa_user_sgpr_kernarg_preload_length 0
		.amdhsa_user_sgpr_kernarg_preload_offset 0
		.amdhsa_user_sgpr_private_segment_size 0
		.amdhsa_uses_dynamic_stack 0
		.amdhsa_enable_private_segment 0
		.amdhsa_system_sgpr_workgroup_id_x 1
		.amdhsa_system_sgpr_workgroup_id_y 0
		.amdhsa_system_sgpr_workgroup_id_z 1
		.amdhsa_system_sgpr_workgroup_info 0
		.amdhsa_system_vgpr_workitem_id 1
		.amdhsa_next_free_vgpr 186
		.amdhsa_next_free_sgpr 42
		.amdhsa_accum_offset 188
		.amdhsa_reserve_vcc 1
		.amdhsa_float_round_mode_32 0
		.amdhsa_float_round_mode_16_64 0
		.amdhsa_float_denorm_mode_32 3
		.amdhsa_float_denorm_mode_16_64 3
		.amdhsa_dx10_clamp 1
		.amdhsa_ieee_mode 1
		.amdhsa_fp16_overflow 0
		.amdhsa_tg_split 0
		.amdhsa_exception_fp_ieee_invalid_op 0
		.amdhsa_exception_fp_denorm_src 0
		.amdhsa_exception_fp_ieee_div_zero 0
		.amdhsa_exception_fp_ieee_overflow 0
		.amdhsa_exception_fp_ieee_underflow 0
		.amdhsa_exception_fp_ieee_inexact 0
		.amdhsa_exception_int_div_zero 0
	.end_amdhsa_kernel
	.section	.text._ZL26rocblas_hemvn_kernel_lowerILb1ELi64ELi4ELi33ELi32ELi16Ei19rocblas_complex_numIdEPKPKS1_PS1_EviT6_lT7_lT5_lS8_lS9_lS7_lT8_i,"axG",@progbits,_ZL26rocblas_hemvn_kernel_lowerILb1ELi64ELi4ELi33ELi32ELi16Ei19rocblas_complex_numIdEPKPKS1_PS1_EviT6_lT7_lT5_lS8_lS9_lS7_lT8_i,comdat
.Lfunc_end62:
	.size	_ZL26rocblas_hemvn_kernel_lowerILb1ELi64ELi4ELi33ELi32ELi16Ei19rocblas_complex_numIdEPKPKS1_PS1_EviT6_lT7_lT5_lS8_lS9_lS7_lT8_i, .Lfunc_end62-_ZL26rocblas_hemvn_kernel_lowerILb1ELi64ELi4ELi33ELi32ELi16Ei19rocblas_complex_numIdEPKPKS1_PS1_EviT6_lT7_lT5_lS8_lS9_lS7_lT8_i
                                        ; -- End function
	.section	.AMDGPU.csdata,"",@progbits
; Kernel info:
; codeLenInByte = 9376
; NumSgprs: 48
; NumVgprs: 186
; NumAgprs: 0
; TotalNumVgprs: 186
; ScratchSize: 0
; MemoryBound: 0
; FloatMode: 240
; IeeeMode: 1
; LDSByteSize: 19200 bytes/workgroup (compile time only)
; SGPRBlocks: 5
; VGPRBlocks: 23
; NumSGPRsForWavesPerEU: 48
; NumVGPRsForWavesPerEU: 186
; AccumOffset: 188
; Occupancy: 2
; WaveLimiterHint : 1
; COMPUTE_PGM_RSRC2:SCRATCH_EN: 0
; COMPUTE_PGM_RSRC2:USER_SGPR: 2
; COMPUTE_PGM_RSRC2:TRAP_HANDLER: 0
; COMPUTE_PGM_RSRC2:TGID_X_EN: 1
; COMPUTE_PGM_RSRC2:TGID_Y_EN: 0
; COMPUTE_PGM_RSRC2:TGID_Z_EN: 1
; COMPUTE_PGM_RSRC2:TIDIG_COMP_CNT: 1
; COMPUTE_PGM_RSRC3_GFX90A:ACCUM_OFFSET: 46
; COMPUTE_PGM_RSRC3_GFX90A:TG_SPLIT: 0
	.section	.text._ZL36rocblas_hemvn_kernel_lower_block_sumILi64Ei19rocblas_complex_numIdEPKPS1_S1_EviT1_lS5_lT2_lT0_lPT3_i,"axG",@progbits,_ZL36rocblas_hemvn_kernel_lower_block_sumILi64Ei19rocblas_complex_numIdEPKPS1_S1_EviT1_lS5_lT2_lT0_lPT3_i,comdat
	.globl	_ZL36rocblas_hemvn_kernel_lower_block_sumILi64Ei19rocblas_complex_numIdEPKPS1_S1_EviT1_lS5_lT2_lT0_lPT3_i ; -- Begin function _ZL36rocblas_hemvn_kernel_lower_block_sumILi64Ei19rocblas_complex_numIdEPKPS1_S1_EviT1_lS5_lT2_lT0_lPT3_i
	.p2align	8
	.type	_ZL36rocblas_hemvn_kernel_lower_block_sumILi64Ei19rocblas_complex_numIdEPKPS1_S1_EviT1_lS5_lT2_lT0_lPT3_i,@function
_ZL36rocblas_hemvn_kernel_lower_block_sumILi64Ei19rocblas_complex_numIdEPKPS1_S1_EviT1_lS5_lT2_lT0_lPT3_i: ; @_ZL36rocblas_hemvn_kernel_lower_block_sumILi64Ei19rocblas_complex_numIdEPKPS1_S1_EviT1_lS5_lT2_lT0_lPT3_i
; %bb.0:
	s_load_dwordx4 s[12:15], s[0:1], 0x8
	s_load_dwordx4 s[8:11], s[0:1], 0x20
	s_mov_b32 s18, s3
	s_waitcnt lgkmcnt(0)
	v_cmp_neq_f64_e64 s[4:5], s[12:13], 0
	v_cmp_neq_f64_e64 s[6:7], s[14:15], 0
	s_or_b64 s[4:5], s[4:5], s[6:7]
	s_mov_b64 s[6:7], -1
	s_and_b64 vcc, exec, s[4:5]
	s_cbranch_vccnz .LBB63_2
; %bb.1:
	v_cmp_neq_f64_e64 s[6:7], s[8:9], 1.0
	v_cmp_neq_f64_e64 s[16:17], s[10:11], 0
	s_or_b64 s[6:7], s[6:7], s[16:17]
.LBB63_2:
	s_andn2_b64 vcc, exec, s[6:7]
	s_cbranch_vccnz .LBB63_22
; %bb.3:
	s_load_dword s3, s[0:1], 0x48
	s_load_dwordx4 s[24:27], s[0:1], 0x38
	s_load_dword s20, s[0:1], 0x0
	s_mov_b32 s19, 0
	s_lshl_b64 s[6:7], s[18:19], 3
	s_xor_b64 s[4:5], s[4:5], -1
	s_waitcnt lgkmcnt(0)
	s_add_u32 s6, s24, s6
	s_addc_u32 s7, s25, s7
	s_load_dwordx2 s[6:7], s[6:7], 0x0
	s_lshl_b64 s[16:17], s[26:27], 4
	v_lshl_or_b32 v8, s2, 6, v0
	s_waitcnt lgkmcnt(0)
	s_add_u32 s6, s6, s16
	s_addc_u32 s7, s7, s17
	s_andn2_b64 vcc, exec, s[4:5]
	v_cmp_gt_i32_e64 s[4:5], s20, v8
	s_cbranch_vccnz .LBB63_8
; %bb.4:
	s_mov_b64 s[22:23], 0
	s_mov_b64 s[16:17], 0
                                        ; implicit-def: $vgpr2_vgpr3
                                        ; implicit-def: $vgpr4_vgpr5
	s_and_saveexec_b64 s[24:25], s[4:5]
	s_cbranch_execz .LBB63_9
; %bb.5:
	v_cmp_neq_f64_e64 s[4:5], s[8:9], 0
	v_cmp_neq_f64_e64 s[16:17], s[10:11], 0
	v_mov_b64_e32 v[2:3], 0
	v_mul_lo_u32 v4, v8, s3
	s_or_b64 s[4:5], s[4:5], s[16:17]
	v_ashrrev_i32_e32 v5, 31, v4
	s_andn2_b64 vcc, exec, s[4:5]
	v_mov_b64_e32 v[0:1], v[2:3]
	s_cbranch_vccnz .LBB63_7
; %bb.6:
	v_lshl_add_u64 v[0:1], v[4:5], 4, s[6:7]
	global_load_dwordx4 v[10:13], v[0:1], off
	s_waitcnt vmcnt(0)
	v_mul_f64 v[0:1], s[10:11], v[12:13]
	v_mul_f64 v[2:3], s[8:9], v[12:13]
	v_fma_f64 v[0:1], s[8:9], v[10:11], -v[0:1]
	v_fmac_f64_e32 v[2:3], s[10:11], v[10:11]
.LBB63_7:
	s_mov_b64 s[16:17], exec
	s_or_b64 exec, exec, s[24:25]
	s_and_b64 vcc, exec, s[22:23]
	s_cbranch_vccnz .LBB63_10
	s_branch .LBB63_20
.LBB63_8:
	s_mov_b64 s[16:17], 0
                                        ; implicit-def: $vgpr2_vgpr3
                                        ; implicit-def: $vgpr4_vgpr5
	s_cbranch_execnz .LBB63_10
	s_branch .LBB63_20
.LBB63_9:
	s_or_b64 exec, exec, s[24:25]
	s_and_b64 vcc, exec, s[22:23]
	s_cbranch_vccz .LBB63_20
.LBB63_10:
	v_cmp_gt_i32_e32 vcc, s20, v8
                                        ; implicit-def: $vgpr2_vgpr3
                                        ; implicit-def: $vgpr4_vgpr5
	s_and_saveexec_b64 s[4:5], vcc
	s_cbranch_execz .LBB63_19
; %bb.11:
	s_load_dword s19, s[0:1], 0x68
	v_mov_b64_e32 v[0:1], 0
	v_mov_b64_e32 v[6:7], v[0:1]
	s_waitcnt lgkmcnt(0)
	s_cmp_ge_i32 s2, s19
	s_cbranch_scc1 .LBB63_14
; %bb.12:
	s_ashr_i32 s21, s20, 31
	s_mul_i32 s22, s2, s20
	s_load_dwordx2 s[0:1], s[0:1], 0x58
	v_add_u32_e32 v0, s22, v8
	s_mul_hi_u32 s22, s20, s18
	s_mul_i32 s23, s21, s18
	s_add_i32 s22, s22, s23
	s_mul_i32 s18, s20, s18
	s_mul_i32 s22, s22, s19
	s_mul_hi_u32 s23, s18, s19
	s_add_i32 s23, s23, s22
	s_mul_i32 s22, s18, s19
	s_lshl_b64 s[22:23], s[22:23], 4
	s_waitcnt lgkmcnt(0)
	s_add_u32 s0, s0, s22
	v_ashrrev_i32_e32 v1, 31, v0
	s_addc_u32 s1, s1, s23
	v_lshl_add_u64 v[0:1], v[0:1], 4, s[0:1]
	v_lshl_add_u64 v[2:3], v[0:1], 0, 8
	v_mov_b64_e32 v[0:1], 0
	s_lshl_b64 s[0:1], s[20:21], 4
	v_mov_b64_e32 v[6:7], v[0:1]
.LBB63_13:                              ; =>This Inner Loop Header: Depth=1
	global_load_dwordx4 v[10:13], v[2:3], off offset:-8
	s_add_i32 s2, s2, 1
	v_lshl_add_u64 v[2:3], v[2:3], 0, s[0:1]
	s_cmp_ge_i32 s2, s19
	s_waitcnt vmcnt(0)
	v_add_f64 v[6:7], v[6:7], v[10:11]
	v_add_f64 v[0:1], v[0:1], v[12:13]
	s_cbranch_scc0 .LBB63_13
.LBB63_14:
	v_cmp_neq_f64_e64 s[18:19], s[8:9], 0
	v_cmp_neq_f64_e64 s[20:21], s[10:11], 0
	s_or_b64 s[18:19], s[18:19], s[20:21]
	v_mul_f64 v[10:11], s[14:15], v[0:1]
	v_mul_f64 v[2:3], s[12:13], v[0:1]
	v_mul_lo_u32 v4, v8, s3
	s_mov_b64 s[0:1], 0
	s_andn2_b64 vcc, exec, s[18:19]
	v_fma_f64 v[0:1], s[12:13], v[6:7], -v[10:11]
	v_fmac_f64_e32 v[2:3], s[14:15], v[6:7]
	v_ashrrev_i32_e32 v5, 31, v4
	s_cbranch_vccnz .LBB63_16
; %bb.15:
	s_mov_b64 s[0:1], -1
.LBB63_16:
	s_andn2_b64 vcc, exec, s[0:1]
	s_cbranch_vccnz .LBB63_18
; %bb.17:
	v_lshl_add_u64 v[6:7], v[4:5], 4, s[6:7]
	global_load_dwordx4 v[6:9], v[6:7], off
	s_waitcnt vmcnt(0)
	v_mul_f64 v[10:11], s[10:11], v[8:9]
	v_mul_f64 v[8:9], s[8:9], v[8:9]
	v_fma_f64 v[10:11], s[8:9], v[6:7], -v[10:11]
	v_fmac_f64_e32 v[8:9], s[10:11], v[6:7]
	v_add_f64 v[0:1], v[0:1], v[10:11]
	v_add_f64 v[2:3], v[2:3], v[8:9]
.LBB63_18:
	s_or_b64 s[16:17], s[16:17], exec
.LBB63_19:
	s_or_b64 exec, exec, s[4:5]
.LBB63_20:
	s_and_saveexec_b64 s[0:1], s[16:17]
	s_cbranch_execz .LBB63_22
; %bb.21:
	v_lshl_add_u64 v[4:5], v[4:5], 4, s[6:7]
	global_store_dwordx4 v[4:5], v[0:3], off
.LBB63_22:
	s_endpgm
	.section	.rodata,"a",@progbits
	.p2align	6, 0x0
	.amdhsa_kernel _ZL36rocblas_hemvn_kernel_lower_block_sumILi64Ei19rocblas_complex_numIdEPKPS1_S1_EviT1_lS5_lT2_lT0_lPT3_i
		.amdhsa_group_segment_fixed_size 0
		.amdhsa_private_segment_fixed_size 0
		.amdhsa_kernarg_size 360
		.amdhsa_user_sgpr_count 2
		.amdhsa_user_sgpr_dispatch_ptr 0
		.amdhsa_user_sgpr_queue_ptr 0
		.amdhsa_user_sgpr_kernarg_segment_ptr 1
		.amdhsa_user_sgpr_dispatch_id 0
		.amdhsa_user_sgpr_kernarg_preload_length 0
		.amdhsa_user_sgpr_kernarg_preload_offset 0
		.amdhsa_user_sgpr_private_segment_size 0
		.amdhsa_uses_dynamic_stack 0
		.amdhsa_enable_private_segment 0
		.amdhsa_system_sgpr_workgroup_id_x 1
		.amdhsa_system_sgpr_workgroup_id_y 0
		.amdhsa_system_sgpr_workgroup_id_z 1
		.amdhsa_system_sgpr_workgroup_info 0
		.amdhsa_system_vgpr_workitem_id 0
		.amdhsa_next_free_vgpr 14
		.amdhsa_next_free_sgpr 28
		.amdhsa_accum_offset 16
		.amdhsa_reserve_vcc 1
		.amdhsa_float_round_mode_32 0
		.amdhsa_float_round_mode_16_64 0
		.amdhsa_float_denorm_mode_32 3
		.amdhsa_float_denorm_mode_16_64 3
		.amdhsa_dx10_clamp 1
		.amdhsa_ieee_mode 1
		.amdhsa_fp16_overflow 0
		.amdhsa_tg_split 0
		.amdhsa_exception_fp_ieee_invalid_op 0
		.amdhsa_exception_fp_denorm_src 0
		.amdhsa_exception_fp_ieee_div_zero 0
		.amdhsa_exception_fp_ieee_overflow 0
		.amdhsa_exception_fp_ieee_underflow 0
		.amdhsa_exception_fp_ieee_inexact 0
		.amdhsa_exception_int_div_zero 0
	.end_amdhsa_kernel
	.section	.text._ZL36rocblas_hemvn_kernel_lower_block_sumILi64Ei19rocblas_complex_numIdEPKPS1_S1_EviT1_lS5_lT2_lT0_lPT3_i,"axG",@progbits,_ZL36rocblas_hemvn_kernel_lower_block_sumILi64Ei19rocblas_complex_numIdEPKPS1_S1_EviT1_lS5_lT2_lT0_lPT3_i,comdat
.Lfunc_end63:
	.size	_ZL36rocblas_hemvn_kernel_lower_block_sumILi64Ei19rocblas_complex_numIdEPKPS1_S1_EviT1_lS5_lT2_lT0_lPT3_i, .Lfunc_end63-_ZL36rocblas_hemvn_kernel_lower_block_sumILi64Ei19rocblas_complex_numIdEPKPS1_S1_EviT1_lS5_lT2_lT0_lPT3_i
                                        ; -- End function
	.section	.AMDGPU.csdata,"",@progbits
; Kernel info:
; codeLenInByte = 708
; NumSgprs: 34
; NumVgprs: 14
; NumAgprs: 0
; TotalNumVgprs: 14
; ScratchSize: 0
; MemoryBound: 0
; FloatMode: 240
; IeeeMode: 1
; LDSByteSize: 0 bytes/workgroup (compile time only)
; SGPRBlocks: 4
; VGPRBlocks: 1
; NumSGPRsForWavesPerEU: 34
; NumVGPRsForWavesPerEU: 14
; AccumOffset: 16
; Occupancy: 8
; WaveLimiterHint : 1
; COMPUTE_PGM_RSRC2:SCRATCH_EN: 0
; COMPUTE_PGM_RSRC2:USER_SGPR: 2
; COMPUTE_PGM_RSRC2:TRAP_HANDLER: 0
; COMPUTE_PGM_RSRC2:TGID_X_EN: 1
; COMPUTE_PGM_RSRC2:TGID_Y_EN: 0
; COMPUTE_PGM_RSRC2:TGID_Z_EN: 1
; COMPUTE_PGM_RSRC2:TIDIG_COMP_CNT: 0
; COMPUTE_PGM_RSRC3_GFX90A:ACCUM_OFFSET: 3
; COMPUTE_PGM_RSRC3_GFX90A:TG_SPLIT: 0
	.section	.text._ZL50rocblas_symv_kernel_upper_double_buffered_diagonalILi32ELi4E24rocblas_internal_val_ptrIfEPKfPfEvbiT1_lT2_lllS6_lllS5_lT3_llli,"axG",@progbits,_ZL50rocblas_symv_kernel_upper_double_buffered_diagonalILi32ELi4E24rocblas_internal_val_ptrIfEPKfPfEvbiT1_lT2_lllS6_lllS5_lT3_llli,comdat
	.globl	_ZL50rocblas_symv_kernel_upper_double_buffered_diagonalILi32ELi4E24rocblas_internal_val_ptrIfEPKfPfEvbiT1_lT2_lllS6_lllS5_lT3_llli ; -- Begin function _ZL50rocblas_symv_kernel_upper_double_buffered_diagonalILi32ELi4E24rocblas_internal_val_ptrIfEPKfPfEvbiT1_lT2_lllS6_lllS5_lT3_llli
	.p2align	8
	.type	_ZL50rocblas_symv_kernel_upper_double_buffered_diagonalILi32ELi4E24rocblas_internal_val_ptrIfEPKfPfEvbiT1_lT2_lllS6_lllS5_lT3_llli,@function
_ZL50rocblas_symv_kernel_upper_double_buffered_diagonalILi32ELi4E24rocblas_internal_val_ptrIfEPKfPfEvbiT1_lT2_lllS6_lllS5_lT3_llli: ; @_ZL50rocblas_symv_kernel_upper_double_buffered_diagonalILi32ELi4E24rocblas_internal_val_ptrIfEPKfPfEvbiT1_lT2_lllS6_lllS5_lT3_llli
; %bb.0:
	s_load_dword s20, s[0:1], 0x0
	s_load_dwordx16 s[4:19], s[0:1], 0x8
	s_mov_b64 s[30:31], -1
                                        ; implicit-def: $sgpr33
	s_waitcnt lgkmcnt(0)
	s_bitcmp1_b32 s20, 0
	s_cselect_b64 s[20:21], -1, 0
	s_xor_b64 s[28:29], s[20:21], -1
	s_and_b64 vcc, exec, s[28:29]
	s_cbranch_vccnz .LBB64_10
; %bb.1:
	s_load_dwordx8 s[20:27], s[0:1], 0x48
	s_andn2_b64 vcc, exec, s[30:31]
	s_cbranch_vccz .LBB64_11
.LBB64_2:
	s_andn2_b64 vcc, exec, s[28:29]
	s_cbranch_vccnz .LBB64_4
.LBB64_3:
	s_waitcnt lgkmcnt(0)
	s_mul_i32 s4, s3, s27
	s_mul_hi_u32 s5, s3, s26
	s_add_i32 s5, s5, s4
	s_mul_i32 s4, s3, s26
	s_lshl_b64 s[4:5], s[4:5], 2
	s_add_u32 s4, s24, s4
	s_addc_u32 s5, s25, s5
	s_load_dword s24, s[4:5], 0x0
.LBB64_4:
	s_waitcnt lgkmcnt(0)
	v_cmp_eq_f32_e64 s[4:5], s33, 0
	v_cmp_eq_f32_e64 s[6:7], s24, 1.0
	s_and_b64 s[4:5], s[4:5], s[6:7]
	s_and_b64 vcc, exec, s[4:5]
	s_cbranch_vccnz .LBB64_9
; %bb.5:
	s_load_dwordx2 s[26:27], s[0:1], 0x80
	s_load_dwordx2 s[28:29], s[0:1], 0x68
	s_load_dwordx4 s[4:7], s[0:1], 0x70
	v_bfe_u32 v11, v0, 10, 10
	v_and_b32_e32 v10, 0x3ff, v0
	s_waitcnt lgkmcnt(0)
	s_mul_i32 s1, s3, s27
	s_mul_hi_u32 s25, s3, s26
	s_mul_i32 s0, s3, s26
	s_add_i32 s1, s25, s1
	s_lshl_b64 s[0:1], s[0:1], 2
	s_add_u32 s25, s28, s0
	s_addc_u32 s26, s29, s1
	s_lshl_b64 s[0:1], s[4:5], 2
	s_add_u32 s4, s25, s0
	s_addc_u32 s5, s26, s1
	s_lshl_b32 s2, s2, 5
	s_ashr_i32 s25, s2, 31
	s_mul_i32 s0, s2, s7
	s_mul_hi_u32 s1, s2, s6
	s_add_i32 s0, s1, s0
	s_mul_i32 s1, s25, s6
	s_add_i32 s1, s0, s1
	s_mul_i32 s0, s2, s6
	s_lshl_b64 s[0:1], s[0:1], 2
	s_add_u32 s4, s4, s0
	s_addc_u32 s5, s5, s1
	v_cmp_neq_f32_e64 s[0:1], s33, 0
	s_and_b64 vcc, exec, s[0:1]
	v_cmp_eq_u32_e64 s[0:1], 0, v11
	s_cbranch_vccnz .LBB64_12
; %bb.6:
	s_and_saveexec_b64 s[26:27], s[0:1]
	s_cbranch_execz .LBB64_8
; %bb.7:
	v_mad_u64_u32 v[0:1], s[0:1], v10, s6, 0
	v_mov_b32_e32 v2, v1
	v_mad_u64_u32 v[2:3], s[0:1], v10, s7, v[2:3]
	v_mov_b32_e32 v1, v2
	v_lshl_add_u64 v[0:1], v[0:1], 2, s[4:5]
	global_load_dword v2, v[0:1], off
	s_waitcnt vmcnt(0)
	v_mul_f32_e32 v2, s24, v2
	global_store_dword v[0:1], v2, off
.LBB64_8:
	s_or_b64 exec, exec, s[26:27]
	s_cbranch_execz .LBB64_13
.LBB64_9:
	s_endpgm
.LBB64_10:
	s_mul_i32 s7, s3, s7
	s_mul_hi_u32 s20, s3, s6
	s_add_i32 s7, s20, s7
	s_mul_i32 s6, s3, s6
	s_lshl_b64 s[6:7], s[6:7], 2
	s_add_u32 s6, s4, s6
	s_addc_u32 s7, s5, s7
	s_load_dword s33, s[6:7], 0x0
	s_load_dwordx8 s[20:27], s[0:1], 0x48
	s_cbranch_execnz .LBB64_2
.LBB64_11:
	s_waitcnt lgkmcnt(0)
	s_mov_b32 s33, s4
	s_andn2_b64 vcc, exec, s[28:29]
	s_cbranch_vccz .LBB64_3
	s_branch .LBB64_4
.LBB64_12:
.LBB64_13:
	v_mov_b32_e32 v12, 0
	v_cmp_eq_u32_e64 s[0:1], 0, v11
	s_and_saveexec_b64 s[26:27], s[0:1]
	s_cbranch_execz .LBB64_17
; %bb.14:
	v_cmp_eq_f32_e64 s[28:29], s24, 0
	v_mov_b32_e32 v12, 0
	s_and_b64 vcc, exec, s[28:29]
	s_cbranch_vccnz .LBB64_16
; %bb.15:
	v_mad_u64_u32 v[0:1], s[28:29], v10, s6, 0
	v_mov_b32_e32 v2, v1
	v_mad_u64_u32 v[2:3], s[28:29], v10, s7, v[2:3]
	v_mov_b32_e32 v1, v2
	v_lshl_add_u64 v[0:1], v[0:1], 2, s[4:5]
	global_load_dword v0, v[0:1], off
	s_waitcnt vmcnt(0)
	v_mul_f32_e32 v12, s24, v0
.LBB64_16:
	s_mul_i32 s23, s3, s23
	s_mul_hi_u32 s28, s3, s22
	s_add_i32 s23, s28, s23
	s_mul_i32 s22, s3, s22
	s_lshl_b64 s[22:23], s[22:23], 2
	s_add_u32 s22, s16, s22
	s_addc_u32 s23, s17, s23
	s_lshl_b64 s[16:17], s[18:19], 2
	s_add_u32 s18, s22, s16
	s_addc_u32 s19, s23, s17
	s_mul_i32 s16, s2, s21
	s_mul_hi_u32 s17, s2, s20
	s_add_i32 s16, s17, s16
	s_mul_i32 s17, s25, s20
	s_add_i32 s17, s16, s17
	s_mul_i32 s16, s2, s20
	s_lshl_b64 s[16:17], s[16:17], 2
	s_add_u32 s16, s18, s16
	s_addc_u32 s17, s19, s17
	v_mad_u64_u32 v[0:1], s[18:19], v10, s20, 0
	v_mov_b32_e32 v2, v1
	v_mad_u64_u32 v[2:3], s[18:19], v10, s21, v[2:3]
	v_mov_b32_e32 v1, v2
	v_lshl_add_u64 v[0:1], v[0:1], 2, s[16:17]
	global_load_dword v0, v[0:1], off
	v_lshlrev_b32_e32 v1, 2, v10
	s_waitcnt vmcnt(0)
	ds_write_b32 v1, v0 offset:5120
.LBB64_17:
	s_or_b64 exec, exec, s[26:27]
	s_mul_i32 s15, s3, s15
	s_mul_hi_u32 s16, s3, s14
	s_add_i32 s15, s16, s15
	s_mul_i32 s14, s3, s14
	s_lshl_b64 s[14:15], s[14:15], 2
	s_add_u32 s3, s8, s14
	s_addc_u32 s14, s9, s15
	s_lshl_b64 s[8:9], s[10:11], 2
	s_add_u32 s8, s3, s8
	s_addc_u32 s9, s14, s9
	s_add_u32 s10, s12, 1
	s_addc_u32 s3, s13, 0
	s_mul_i32 s11, s10, s25
	s_mul_hi_u32 s14, s10, s2
	s_add_i32 s11, s14, s11
	s_mul_i32 s3, s3, s2
	s_add_i32 s3, s11, s3
	s_mul_i32 s2, s10, s2
	s_lshl_b64 s[2:3], s[2:3], 2
	s_add_u32 s2, s8, s2
	s_addc_u32 s3, s9, s3
	v_mad_u64_u32 v[0:1], s[8:9], v11, s12, 0
	v_mov_b32_e32 v2, v1
	v_mad_u64_u32 v[2:3], s[8:9], v11, s13, v[2:3]
	v_mov_b32_e32 v1, v2
	v_lshl_add_u64 v[2:3], v[0:1], 2, s[2:3]
	v_lshlrev_b32_e32 v0, 2, v10
	v_mov_b32_e32 v1, 0
	v_cmp_lt_u32_e32 vcc, 15, v10
	s_mul_i32 s16, s13, 12
	s_mul_hi_u32 s17, s12, 12
	s_mul_i32 s2, s12, 12
                                        ; implicit-def: $sgpr10_sgpr11
                                        ; implicit-def: $sgpr14_sgpr15
	s_and_saveexec_b64 s[8:9], vcc
	s_xor_b64 s[8:9], exec, s[8:9]
; %bb.18:
	s_lshl_b64 s[10:11], s[12:13], 2
	s_lshl_b64 s[14:15], s[12:13], 3
	s_add_i32 s3, s17, s16
; %bb.19:
	s_or_saveexec_b64 s[8:9], s[8:9]
	v_lshl_add_u64 v[2:3], v[2:3], 0, v[0:1]
	v_lshlrev_b32_e32 v1, 5, v11
	v_mov_b64_e32 v[4:5], s[2:3]
	v_mov_b64_e32 v[6:7], s[14:15]
	;; [unrolled: 1-line block ×3, first 2 shown]
	s_xor_b64 exec, exec, s[8:9]
	s_cbranch_execz .LBB64_21
; %bb.20:
	s_lshl_b64 s[10:11], s[12:13], 4
	v_lshl_add_u64 v[4:5], v[2:3], 0, s[10:11]
	global_load_dword v8, v[2:3], off
	global_load_dword v9, v[4:5], off
	v_lshl_add_u64 v[4:5], v[4:5], 0, s[10:11]
	global_load_dword v13, v[4:5], off
	v_lshl_add_u64 v[4:5], v[4:5], 0, s[10:11]
	global_load_dword v14, v[4:5], off
	v_or_b32_e32 v4, v1, v10
	s_lshl_b64 s[10:11], s[12:13], 2
	s_lshl_b64 s[14:15], s[12:13], 3
	s_add_i32 s3, s17, s16
	v_lshlrev_b32_e32 v15, 2, v4
	v_mov_b64_e32 v[4:5], s[2:3]
	v_mov_b64_e32 v[6:7], s[14:15]
	s_waitcnt vmcnt(2)
	ds_write2st64_b32 v15, v8, v9 offset1:2
	s_waitcnt vmcnt(0)
	ds_write2st64_b32 v15, v13, v14 offset0:4 offset1:6
	v_mov_b64_e32 v[8:9], s[10:11]
.LBB64_21:
	s_or_b64 exec, exec, s[8:9]
	s_lshl_b64 s[2:3], s[12:13], 6
	v_lshl_add_u64 v[2:3], v[2:3], 0, s[2:3]
	v_lshl_add_u64 v[8:9], v[8:9], 2, v[2:3]
	global_load_dword v13, v[2:3], off
	v_lshl_add_u64 v[6:7], v[6:7], 2, v[2:3]
	v_lshl_add_u64 v[2:3], v[4:5], 2, v[2:3]
	global_load_dword v4, v[8:9], off
	global_load_dword v5, v[6:7], off
	;; [unrolled: 1-line block ×3, first 2 shown]
	v_sub_u32_e32 v6, v10, v11
	v_sub_u32_e32 v8, 0, v6
	v_add_lshl_u32 v3, v1, v10, 2
	v_lshlrev_b32_e32 v7, 5, v10
	v_max_i32_e32 v8, v6, v8
	v_add_u32_e32 v2, 0x800, v3
	v_cmp_lt_u32_e32 vcc, 16, v8
	v_add_lshl_u32 v7, v11, v7, 2
	s_waitcnt vmcnt(2)
	ds_write2st64_b32 v3, v13, v4 offset0:8 offset1:10
	s_waitcnt vmcnt(0)
	ds_write2st64_b32 v3, v5, v14 offset0:12 offset1:14
	s_waitcnt lgkmcnt(0)
	s_barrier
	s_and_saveexec_b64 s[2:3], vcc
	s_cbranch_execz .LBB64_23
; %bb.22:
	ds_read_b32 v4, v7 offset:64
	s_waitcnt lgkmcnt(0)
	ds_write_b32 v2, v4
.LBB64_23:
	s_or_b64 exec, exec, s[2:3]
	v_add_u32_e32 v4, 0xa00, v3
	v_cmp_lt_u32_e32 vcc, 20, v8
	s_and_saveexec_b64 s[2:3], vcc
	s_cbranch_execz .LBB64_25
; %bb.24:
	ds_read_b32 v5, v7 offset:80
	s_waitcnt lgkmcnt(0)
	ds_write_b32 v4, v5
.LBB64_25:
	s_or_b64 exec, exec, s[2:3]
	v_add_u32_e32 v5, 0xc00, v3
	v_cmp_lt_u32_e32 vcc, 24, v8
	;; [unrolled: 10-line block ×3, first 2 shown]
	s_and_saveexec_b64 s[2:3], vcc
	s_cbranch_execz .LBB64_29
; %bb.28:
	ds_read_b32 v9, v7 offset:112
	s_waitcnt lgkmcnt(0)
	ds_write_b32 v6, v9
.LBB64_29:
	s_or_b64 exec, exec, s[2:3]
	v_add_u32_e32 v9, v1, v10
	v_cmp_ge_u32_e32 vcc, v10, v11
	v_lshlrev_b32_e32 v9, 2, v9
	s_and_saveexec_b64 s[2:3], vcc
	s_cbranch_execnz .LBB64_37
; %bb.30:
	s_or_b64 exec, exec, s[2:3]
	v_cmp_lt_u32_e32 vcc, 4, v8
	s_and_saveexec_b64 s[2:3], vcc
	s_cbranch_execnz .LBB64_38
.LBB64_31:
	s_or_b64 exec, exec, s[2:3]
	v_cmp_lt_u32_e32 vcc, 8, v8
	s_and_saveexec_b64 s[2:3], vcc
	s_cbranch_execz .LBB64_33
.LBB64_32:
	ds_read_b32 v13, v7 offset:32
	s_waitcnt lgkmcnt(0)
	ds_write_b32 v3, v13 offset:1024
.LBB64_33:
	s_or_b64 exec, exec, s[2:3]
	s_movk_i32 s2, 0x180
	v_add3_u32 v1, v1, v10, s2
	v_cmp_lt_u32_e32 vcc, 12, v8
	v_lshlrev_b32_e32 v1, 2, v1
	s_and_saveexec_b64 s[2:3], vcc
	s_cbranch_execz .LBB64_35
; %bb.34:
	ds_read_b32 v7, v7 offset:48
	s_waitcnt lgkmcnt(0)
	ds_write_b32 v1, v7
.LBB64_35:
	s_or_b64 exec, exec, s[2:3]
	v_lshlrev_b32_e32 v7, 2, v11
	v_add_u32_e32 v7, 0x1400, v7
	s_waitcnt lgkmcnt(0)
	s_barrier
	ds_read2_b32 v[14:15], v7 offset1:4
	ds_read_b32 v8, v9
	ds_read2st64_b32 v[16:17], v3 offset0:2 offset1:4
	ds_read2_b32 v[18:19], v7 offset0:8 offset1:12
	ds_read_b32 v1, v1
	s_waitcnt lgkmcnt(3)
	v_fma_f32 v8, v8, v14, 0
	s_waitcnt lgkmcnt(2)
	v_fmac_f32_e32 v8, v16, v15
	s_waitcnt lgkmcnt(1)
	v_fmac_f32_e32 v8, v17, v18
	ds_read2_b32 v[14:15], v7 offset0:16 offset1:20
	ds_read_b32 v11, v2
	ds_read_b32 v4, v4
	;; [unrolled: 1-line block ×3, first 2 shown]
	ds_read2_b32 v[2:3], v7 offset0:24 offset1:28
	ds_read_b32 v6, v6
	s_waitcnt lgkmcnt(6)
	v_fmac_f32_e32 v8, v1, v19
	s_waitcnt lgkmcnt(4)
	v_fmac_f32_e32 v8, v11, v14
	s_waitcnt lgkmcnt(3)
	v_fmac_f32_e32 v8, v4, v15
	s_waitcnt lgkmcnt(1)
	v_fmac_f32_e32 v8, v5, v2
	s_waitcnt lgkmcnt(0)
	v_fmac_f32_e32 v8, v6, v3
	ds_write_b32 v9, v8 offset:4096
	s_waitcnt lgkmcnt(0)
	s_barrier
	s_and_saveexec_b64 s[2:3], s[0:1]
	s_cbranch_execz .LBB64_9
; %bb.36:
	v_add_u32_e32 v2, 0x1000, v0
	ds_read2_b32 v[0:1], v2 offset1:32
	ds_read2_b32 v[2:3], v2 offset0:64 offset1:96
	v_cmp_neq_f32_e64 vcc, s24, 0
	s_waitcnt lgkmcnt(1)
	v_add_f32_e32 v0, 0, v0
	v_add_f32_e32 v0, v0, v1
	s_waitcnt lgkmcnt(0)
	v_add_f32_e32 v0, v0, v2
	v_add_f32_e32 v0, v0, v3
	v_mul_f32_e32 v1, s33, v0
	v_fmac_f32_e32 v12, s33, v0
	v_cndmask_b32_e32 v4, v1, v12, vcc
	v_mad_u64_u32 v[0:1], s[0:1], v10, s6, 0
	v_mov_b32_e32 v2, v1
	v_mad_u64_u32 v[2:3], s[0:1], v10, s7, v[2:3]
	v_mov_b32_e32 v1, v2
	v_lshl_add_u64 v[0:1], v[0:1], 2, s[4:5]
	global_store_dword v[0:1], v4, off
	s_endpgm
.LBB64_37:
	ds_read_b32 v13, v7
	s_waitcnt lgkmcnt(0)
	ds_write_b32 v9, v13
	s_or_b64 exec, exec, s[2:3]
	v_cmp_lt_u32_e32 vcc, 4, v8
	s_and_saveexec_b64 s[2:3], vcc
	s_cbranch_execz .LBB64_31
.LBB64_38:
	ds_read_b32 v13, v7 offset:16
	s_waitcnt lgkmcnt(0)
	ds_write_b32 v3, v13 offset:512
	s_or_b64 exec, exec, s[2:3]
	v_cmp_lt_u32_e32 vcc, 8, v8
	s_and_saveexec_b64 s[2:3], vcc
	s_cbranch_execnz .LBB64_32
	s_branch .LBB64_33
	.section	.rodata,"a",@progbits
	.p2align	6, 0x0
	.amdhsa_kernel _ZL50rocblas_symv_kernel_upper_double_buffered_diagonalILi32ELi4E24rocblas_internal_val_ptrIfEPKfPfEvbiT1_lT2_lllS6_lllS5_lT3_llli
		.amdhsa_group_segment_fixed_size 5248
		.amdhsa_private_segment_fixed_size 0
		.amdhsa_kernarg_size 140
		.amdhsa_user_sgpr_count 2
		.amdhsa_user_sgpr_dispatch_ptr 0
		.amdhsa_user_sgpr_queue_ptr 0
		.amdhsa_user_sgpr_kernarg_segment_ptr 1
		.amdhsa_user_sgpr_dispatch_id 0
		.amdhsa_user_sgpr_kernarg_preload_length 0
		.amdhsa_user_sgpr_kernarg_preload_offset 0
		.amdhsa_user_sgpr_private_segment_size 0
		.amdhsa_uses_dynamic_stack 0
		.amdhsa_enable_private_segment 0
		.amdhsa_system_sgpr_workgroup_id_x 1
		.amdhsa_system_sgpr_workgroup_id_y 0
		.amdhsa_system_sgpr_workgroup_id_z 1
		.amdhsa_system_sgpr_workgroup_info 0
		.amdhsa_system_vgpr_workitem_id 1
		.amdhsa_next_free_vgpr 20
		.amdhsa_next_free_sgpr 34
		.amdhsa_accum_offset 20
		.amdhsa_reserve_vcc 1
		.amdhsa_float_round_mode_32 0
		.amdhsa_float_round_mode_16_64 0
		.amdhsa_float_denorm_mode_32 3
		.amdhsa_float_denorm_mode_16_64 3
		.amdhsa_dx10_clamp 1
		.amdhsa_ieee_mode 1
		.amdhsa_fp16_overflow 0
		.amdhsa_tg_split 0
		.amdhsa_exception_fp_ieee_invalid_op 0
		.amdhsa_exception_fp_denorm_src 0
		.amdhsa_exception_fp_ieee_div_zero 0
		.amdhsa_exception_fp_ieee_overflow 0
		.amdhsa_exception_fp_ieee_underflow 0
		.amdhsa_exception_fp_ieee_inexact 0
		.amdhsa_exception_int_div_zero 0
	.end_amdhsa_kernel
	.section	.text._ZL50rocblas_symv_kernel_upper_double_buffered_diagonalILi32ELi4E24rocblas_internal_val_ptrIfEPKfPfEvbiT1_lT2_lllS6_lllS5_lT3_llli,"axG",@progbits,_ZL50rocblas_symv_kernel_upper_double_buffered_diagonalILi32ELi4E24rocblas_internal_val_ptrIfEPKfPfEvbiT1_lT2_lllS6_lllS5_lT3_llli,comdat
.Lfunc_end64:
	.size	_ZL50rocblas_symv_kernel_upper_double_buffered_diagonalILi32ELi4E24rocblas_internal_val_ptrIfEPKfPfEvbiT1_lT2_lllS6_lllS5_lT3_llli, .Lfunc_end64-_ZL50rocblas_symv_kernel_upper_double_buffered_diagonalILi32ELi4E24rocblas_internal_val_ptrIfEPKfPfEvbiT1_lT2_lllS6_lllS5_lT3_llli
                                        ; -- End function
	.section	.AMDGPU.csdata,"",@progbits
; Kernel info:
; codeLenInByte = 1800
; NumSgprs: 40
; NumVgprs: 20
; NumAgprs: 0
; TotalNumVgprs: 20
; ScratchSize: 0
; MemoryBound: 0
; FloatMode: 240
; IeeeMode: 1
; LDSByteSize: 5248 bytes/workgroup (compile time only)
; SGPRBlocks: 4
; VGPRBlocks: 2
; NumSGPRsForWavesPerEU: 40
; NumVGPRsForWavesPerEU: 20
; AccumOffset: 20
; Occupancy: 6
; WaveLimiterHint : 0
; COMPUTE_PGM_RSRC2:SCRATCH_EN: 0
; COMPUTE_PGM_RSRC2:USER_SGPR: 2
; COMPUTE_PGM_RSRC2:TRAP_HANDLER: 0
; COMPUTE_PGM_RSRC2:TGID_X_EN: 1
; COMPUTE_PGM_RSRC2:TGID_Y_EN: 0
; COMPUTE_PGM_RSRC2:TGID_Z_EN: 1
; COMPUTE_PGM_RSRC2:TIDIG_COMP_CNT: 1
; COMPUTE_PGM_RSRC3_GFX90A:ACCUM_OFFSET: 4
; COMPUTE_PGM_RSRC3_GFX90A:TG_SPLIT: 0
	.section	.text._ZL54rocblas_symv_kernel_upper_double_buffered_non_diagonalILi32ELi4ELi4E24rocblas_internal_val_ptrIfEPKfPfEvbiT2_lT3_lllS6_lllT4_llli,"axG",@progbits,_ZL54rocblas_symv_kernel_upper_double_buffered_non_diagonalILi32ELi4ELi4E24rocblas_internal_val_ptrIfEPKfPfEvbiT2_lT3_lllS6_lllT4_llli,comdat
	.globl	_ZL54rocblas_symv_kernel_upper_double_buffered_non_diagonalILi32ELi4ELi4E24rocblas_internal_val_ptrIfEPKfPfEvbiT2_lT3_lllS6_lllT4_llli ; -- Begin function _ZL54rocblas_symv_kernel_upper_double_buffered_non_diagonalILi32ELi4ELi4E24rocblas_internal_val_ptrIfEPKfPfEvbiT2_lT3_lllS6_lllT4_llli
	.p2align	8
	.type	_ZL54rocblas_symv_kernel_upper_double_buffered_non_diagonalILi32ELi4ELi4E24rocblas_internal_val_ptrIfEPKfPfEvbiT2_lT3_lllS6_lllT4_llli,@function
_ZL54rocblas_symv_kernel_upper_double_buffered_non_diagonalILi32ELi4ELi4E24rocblas_internal_val_ptrIfEPKfPfEvbiT2_lT3_lllS6_lllT4_llli: ; @_ZL54rocblas_symv_kernel_upper_double_buffered_non_diagonalILi32ELi4ELi4E24rocblas_internal_val_ptrIfEPKfPfEvbiT2_lT3_lllS6_lllT4_llli
; %bb.0:
	s_load_dword s5, s[0:1], 0x0
	s_load_dwordx16 s[8:23], s[0:1], 0x8
	s_waitcnt lgkmcnt(0)
	s_bitcmp0_b32 s5, 0
	s_cbranch_scc0 .LBB65_2
; %bb.1:
	s_mul_i32 s5, s4, s11
	s_mul_hi_u32 s6, s4, s10
	s_add_i32 s7, s6, s5
	s_mul_i32 s6, s4, s10
	s_lshl_b64 s[6:7], s[6:7], 2
	s_add_u32 s6, s8, s6
	s_addc_u32 s7, s9, s7
	s_load_dword s28, s[6:7], 0x0
	s_cbranch_execz .LBB65_3
	s_branch .LBB65_4
.LBB65_2:
                                        ; implicit-def: $sgpr28
.LBB65_3:
	s_waitcnt lgkmcnt(0)
	s_mov_b32 s28, s8
.LBB65_4:
	s_waitcnt lgkmcnt(0)
	v_cmp_eq_f32_e64 s[6:7], s28, 0
	s_and_b64 vcc, exec, s[6:7]
	s_cbranch_vccnz .LBB65_21
; %bb.5:
	s_load_dword s5, s[0:1], 0x84
	s_cmp_eq_u32 s2, 0
	s_waitcnt lgkmcnt(0)
	v_cvt_f32_u32_e32 v1, s5
	v_rcp_iflag_f32_e32 v1, v1
	s_nop 0
	v_mul_f32_e32 v1, 0x4f7ffffe, v1
	v_cvt_u32_f32_e32 v1, v1
	s_nop 0
	v_readfirstlane_b32 s6, v1
	s_cbranch_scc1 .LBB65_21
; %bb.6:
	s_load_dwordx4 s[24:27], s[0:1], 0x48
	s_sub_i32 s7, 0, s5
	s_mul_i32 s7, s7, s6
	s_mul_hi_u32 s7, s6, s7
	s_add_i32 s6, s6, s7
	s_mul_hi_u32 s10, s2, s6
	s_waitcnt lgkmcnt(0)
	s_mul_i32 s6, s4, s27
	s_mul_hi_u32 s7, s4, s26
	s_add_i32 s7, s7, s6
	s_mul_i32 s6, s4, s26
	s_lshl_b64 s[6:7], s[6:7], 2
	s_add_u32 s8, s20, s6
	s_addc_u32 s9, s21, s7
	s_lshl_b64 s[6:7], s[22:23], 2
	s_add_u32 s20, s8, s6
	s_addc_u32 s21, s9, s7
	v_and_b32_e32 v32, 0x3ff, v0
	v_bfe_u32 v0, v0, 10, 10
	s_lshl_b32 s6, s2, 5
	s_ashr_i32 s7, s6, 31
	v_cmp_eq_u32_e32 vcc, 0, v0
	s_and_saveexec_b64 s[8:9], vcc
	s_cbranch_execz .LBB65_8
; %bb.7:
	s_mul_i32 s11, s6, s25
	s_mul_hi_u32 s22, s6, s24
	s_add_i32 s11, s22, s11
	s_mul_i32 s22, s7, s24
	s_add_i32 s23, s11, s22
	s_mul_i32 s22, s6, s24
	v_mad_u64_u32 v[2:3], s[26:27], v32, s24, 0
	s_lshl_b64 s[22:23], s[22:23], 2
	v_mov_b32_e32 v4, v3
	s_add_u32 s22, s20, s22
	v_mad_u64_u32 v[4:5], s[26:27], v32, s25, v[4:5]
	s_addc_u32 s23, s21, s23
	v_mov_b32_e32 v3, v4
	v_lshl_add_u64 v[2:3], v[2:3], 2, s[22:23]
	global_load_dword v1, v[2:3], off
	v_lshlrev_b32_e32 v2, 2, v32
	s_waitcnt vmcnt(0)
	ds_write_b32 v2, v1 offset:3072
.LBB65_8:
	s_or_b64 exec, exec, s[8:9]
	s_mul_i32 s8, s10, s5
	s_sub_i32 s8, s2, s8
	s_add_i32 s9, s10, 1
	s_sub_i32 s11, s8, s5
	s_cmp_ge_u32 s8, s5
	s_cselect_b32 s9, s9, s10
	s_cselect_b32 s8, s11, s8
	s_add_i32 s10, s9, 1
	s_cmp_ge_u32 s8, s5
	s_cselect_b32 s27, s10, s9
	s_add_i32 s8, s5, -1
	s_cmp_lg_u32 s3, s8
	s_mov_b32 s26, s27
	s_cbranch_scc1 .LBB65_10
; %bb.9:
	s_mul_i32 s5, s27, s5
	s_sub_i32 s2, s2, s5
	s_add_i32 s26, s2, s27
.LBB65_10:
	s_cmp_eq_u32 s26, 0
	s_cbranch_scc1 .LBB65_21
; %bb.11:
	s_load_dwordx2 s[22:23], s[0:1], 0x70
	s_load_dwordx2 s[30:31], s[0:1], 0x58
	s_load_dwordx4 s[8:11], s[0:1], 0x60
	v_lshl_add_u32 v0, v0, 5, v32
	v_and_b32_e32 v4, 15, v32
	s_waitcnt lgkmcnt(0)
	s_mul_i32 s1, s4, s23
	s_mul_hi_u32 s2, s4, s22
	s_mul_i32 s0, s4, s22
	s_add_i32 s1, s2, s1
	s_lshl_b64 s[0:1], s[0:1], 2
	s_add_u32 s2, s30, s0
	s_addc_u32 s5, s31, s1
	s_lshl_b64 s[0:1], s[8:9], 2
	s_add_u32 s22, s2, s0
	s_addc_u32 s23, s5, s1
	v_lshrrev_b32_e32 v33, 4, v0
	s_cmp_lt_i32 s26, 1
	v_mov_b32_e32 v42, 0
	v_lshlrev_b32_e32 v6, 2, v4
	v_mov_b32_e32 v43, 0
	v_mov_b32_e32 v44, 0
	;; [unrolled: 1-line block ×3, first 2 shown]
	s_barrier
	s_cbranch_scc1 .LBB65_19
; %bb.12:
	v_lshlrev_b32_e32 v1, 2, v33
	v_mov_b32_e32 v5, 0
	v_mad_u64_u32 v[2:3], s[0:1], v1, s16, v[4:5]
	v_mov_b32_e32 v8, v3
	v_mad_u64_u32 v[8:9], s[0:1], v1, s17, v[8:9]
	;; [unrolled: 2-line block ×4, first 2 shown]
	s_mul_i32 s3, s3, s27
	s_lshl_b32 s0, s3, 5
	s_ashr_i32 s1, s0, 31
	s_mul_i32 s2, s0, s11
	s_mul_hi_u32 s3, s0, s10
	s_add_i32 s2, s3, s2
	s_mul_i32 s3, s1, s10
	s_add_i32 s3, s2, s3
	s_mul_i32 s2, s0, s10
	s_lshl_b64 s[2:3], s[2:3], 2
	s_add_u32 s8, s22, s2
	s_addc_u32 s9, s23, s3
	s_mul_i32 s2, s4, s19
	s_mul_hi_u32 s3, s4, s18
	s_add_i32 s3, s3, s2
	s_mul_i32 s2, s4, s18
	s_lshl_b64 s[4:5], s[2:3], 2
	s_add_u32 s2, s12, s4
	s_addc_u32 s3, s13, s5
	s_lshl_b64 s[14:15], s[14:15], 2
	s_add_u32 s18, s2, s14
	s_addc_u32 s19, s3, s15
	s_mul_i32 s2, s6, s17
	s_mul_hi_u32 s3, s6, s16
	s_add_i32 s2, s3, s2
	s_mul_i32 s3, s7, s16
	s_add_i32 s3, s2, s3
	s_mul_i32 s2, s6, s16
	s_lshl_b64 s[2:3], s[2:3], 2
	s_add_u32 s2, s18, s2
	s_addc_u32 s3, s19, s3
	s_lshl_b64 s[18:19], s[0:1], 2
	s_add_u32 s2, s2, s18
	s_mul_i32 s27, s0, s25
	s_mul_hi_u32 s29, s0, s24
	s_addc_u32 s3, s3, s19
	s_add_i32 s27, s29, s27
	s_mul_i32 s1, s1, s24
	s_add_i32 s1, s27, s1
	s_mul_i32 s0, s0, s24
	s_lshl_b64 s[0:1], s[0:1], 2
	s_add_u32 s0, s20, s0
	v_mov_b32_e32 v9, v10
	s_addc_u32 s1, s21, s1
	v_lshl_add_u64 v[2:3], v[2:3], 2, s[2:3]
	s_lshl_b64 s[2:3], s[16:17], 2
	v_lshl_add_u64 v[10:11], v[2:3], 0, s[2:3]
	global_load_dword v38, v[2:3], off
	global_load_dword v39, v[10:11], off
	v_lshl_add_u64 v[2:3], v[8:9], 2, s[0:1]
	global_load_dword v37, v[2:3], off
	v_lshl_add_u64 v[2:3], v[10:11], 0, s[2:3]
	;; [unrolled: 2-line block ×3, first 2 shown]
	global_load_dword v41, v[2:3], off
	v_mad_u64_u32 v[8:9], s[2:3], v32, s10, 0
	v_mov_b32_e32 v2, v9
	v_mad_u64_u32 v[2:3], s[2:3], v32, s11, v[2:3]
	s_lshl_b64 s[0:1], s[24:25], 7
	s_lshl_b64 s[2:3], s[10:11], 7
	s_add_u32 s12, s12, s18
	v_lshl_or_b32 v1, v33, 7, v6
	s_addc_u32 s13, s13, s19
	v_add_u32_e32 v34, 0x800, v1
	v_mov_b32_e32 v1, 0xc00
	s_add_u32 s12, s12, s14
	v_lshl_add_u32 v35, v33, 4, v1
	v_mov_b32_e32 v1, 0x800
	s_addc_u32 s13, s13, s15
	v_lshl_add_u32 v36, v32, 2, v1
	v_and_b32_e32 v0, 0xfff0, v0
	v_mov_b32_e32 v1, v5
	s_add_u32 s4, s12, s4
	v_lshl_add_u64 v[0:1], s[6:7], 2, v[0:1]
	s_addc_u32 s5, s13, s5
	v_mov_b32_e32 v9, v2
	v_lshl_add_u64 v[2:3], v[0:1], 0, 4
	v_mov_b64_e32 v[16:17], s[4:5]
	v_mad_u64_u32 v[10:11], s[4:5], s16, v2, v[16:17]
	v_mul_lo_u32 v3, s16, v3
	v_mul_lo_u32 v2, s17, v2
	v_add3_u32 v11, v2, v11, v3
	v_lshl_add_u64 v[2:3], v[0:1], 0, 8
	v_mad_u64_u32 v[12:13], s[4:5], s16, v2, v[16:17]
	v_mul_lo_u32 v3, s16, v3
	v_mul_lo_u32 v2, s17, v2
	v_add3_u32 v13, v2, v13, v3
	v_lshl_add_u64 v[2:3], v[0:1], 0, 12
	v_mad_u64_u32 v[14:15], s[4:5], s16, v2, v[16:17]
	v_mad_u64_u32 v[16:17], s[4:5], s16, v0, v[16:17]
	v_mul_lo_u32 v1, s16, v1
	v_mul_lo_u32 v0, s17, v0
	;; [unrolled: 1-line block ×4, first 2 shown]
	v_add3_u32 v17, v0, v17, v1
	v_or_b32_e32 v0, s18, v6
	v_add3_u32 v15, v2, v15, v3
	v_or_b32_e32 v2, 64, v0
	v_mad_u64_u32 v[18:19], s[4:5], s24, v2, 0
	v_mov_b32_e32 v1, s19
	s_mov_b64 s[4:5], 0x80
	s_mul_i32 s12, s24, s19
	v_mul_lo_u32 v3, s25, v2
	v_lshl_add_u64 v[0:1], v[0:1], 0, s[4:5]
	v_add3_u32 v19, v19, s12, v3
	v_mul_lo_u32 v2, s25, v0
	v_mul_lo_u32 v1, s24, v1
	v_mad_u64_u32 v[20:21], s[12:13], s24, v0, 0
	v_mov_b32_e32 v7, v5
	v_add3_u32 v21, v21, v1, v2
	v_mov_b64_e32 v[22:23], s[8:9]
	v_mov_b32_e32 v44, v5
	v_mov_b32_e32 v43, v5
	;; [unrolled: 1-line block ×3, first 2 shown]
	s_waitcnt vmcnt(4)
	v_mov_b32_e32 v45, v38
	s_waitcnt vmcnt(3)
	v_mov_b32_e32 v46, v39
	s_waitcnt vmcnt(2)
	v_mov_b32_e32 v49, v37
	s_waitcnt vmcnt(1)
	v_mov_b32_e32 v47, v40
	s_waitcnt vmcnt(0)
	v_mov_b32_e32 v48, v41
.LBB65_13:                              ; =>This Inner Loop Header: Depth=1
	v_lshl_add_u64 v[0:1], s[20:21], 0, v[18:19]
	v_lshl_add_u64 v[24:25], v[16:17], 0, v[6:7]
	v_lshl_add_u64 v[26:27], v[10:11], 0, v[6:7]
	v_lshl_add_u64 v[28:29], v[12:13], 0, v[6:7]
	v_lshl_add_u64 v[30:31], v[14:15], 0, v[6:7]
	global_load_dword v50, v[0:1], off
	global_load_dword v51, v[24:25], off offset:64
	global_load_dword v52, v[26:27], off offset:64
	;; [unrolled: 1-line block ×4, first 2 shown]
	ds_read_b128 v[0:3], v35
	s_cmp_eq_u32 s26, 1
	s_cbranch_scc1 .LBB65_15
; %bb.14:                               ;   in Loop: Header=BB65_13 Depth=1
	global_load_dword v45, v[24:25], off offset:128
	global_load_dword v46, v[26:27], off offset:128
	;; [unrolled: 1-line block ×4, first 2 shown]
	v_lshl_add_u64 v[24:25], s[20:21], 0, v[20:21]
	global_load_dword v49, v[24:25], off
.LBB65_15:                              ;   in Loop: Header=BB65_13 Depth=1
	s_waitcnt lgkmcnt(0)
	v_fma_f32 v24, v38, v0, 0
	s_waitcnt vmcnt(3)
	v_fma_f32 v0, v51, v0, 0
	v_fmac_f32_e32 v24, v39, v1
	s_waitcnt vmcnt(2)
	v_fmac_f32_e32 v0, v52, v1
	v_fmac_f32_e32 v24, v40, v2
	s_waitcnt vmcnt(1)
	v_fmac_f32_e32 v0, v53, v2
	;; [unrolled: 3-line block ×3, first 2 shown]
	s_barrier
	ds_write2_b32 v34, v24, v0 offset1:16
	s_waitcnt lgkmcnt(0)
	s_barrier
	s_and_saveexec_b64 s[8:9], vcc
	s_cbranch_execz .LBB65_17
; %bb.16:                               ;   in Loop: Header=BB65_13 Depth=1
	ds_read2_b32 v[0:1], v36 offset1:32
	ds_read2_b32 v[2:3], v36 offset0:64 offset1:96
	ds_read2_b32 v[24:25], v36 offset0:128 offset1:160
	;; [unrolled: 1-line block ×3, first 2 shown]
	s_waitcnt lgkmcnt(3)
	v_add_f32_e32 v0, 0, v0
	v_add_f32_e32 v0, v0, v1
	s_waitcnt lgkmcnt(2)
	v_add_f32_e32 v0, v0, v2
	v_add_f32_e32 v0, v0, v3
	;; [unrolled: 3-line block ×4, first 2 shown]
	v_lshl_add_u64 v[0:1], v[8:9], 2, v[22:23]
	v_mul_f32_e32 v2, s28, v2
	global_atomic_add_f32 v[0:1], v2, off
	v_lshl_add_u64 v[22:23], v[22:23], 0, s[2:3]
.LBB65_17:                              ;   in Loop: Header=BB65_13 Depth=1
	s_or_b64 exec, exec, s[8:9]
	s_add_i32 s26, s26, -1
	s_add_u32 s20, s20, s0
	v_fmac_f32_e32 v5, v37, v38
	v_fmac_f32_e32 v44, v37, v39
	;; [unrolled: 1-line block ×4, first 2 shown]
	s_addc_u32 s21, s21, s1
	v_fmac_f32_e32 v5, v50, v51
	v_fmac_f32_e32 v44, v50, v52
	;; [unrolled: 1-line block ×4, first 2 shown]
	v_lshl_add_u64 v[10:11], v[10:11], 0, s[4:5]
	v_lshl_add_u64 v[12:13], v[12:13], 0, s[4:5]
	;; [unrolled: 1-line block ×3, first 2 shown]
	s_cmp_eq_u32 s26, 0
	v_lshl_add_u64 v[16:17], v[16:17], 0, s[4:5]
	s_cbranch_scc1 .LBB65_19
; %bb.18:                               ;   in Loop: Header=BB65_13 Depth=1
	v_mov_b32_e32 v37, v49
	v_mov_b32_e32 v38, v45
	;; [unrolled: 1-line block ×5, first 2 shown]
	s_branch .LBB65_13
.LBB65_19:
	v_lshl_or_b32 v0, v33, 8, v6
	ds_write2_b32 v0, v5, v44 offset1:16
	ds_write2_b32 v0, v43, v42 offset0:32 offset1:48
	s_waitcnt lgkmcnt(0)
	s_barrier
	s_and_saveexec_b64 s[0:1], vcc
	s_cbranch_execz .LBB65_21
; %bb.20:
	v_lshlrev_b32_e32 v0, 4, v32
	v_or_b32_e32 v1, v4, v0
	v_add_u32_e32 v3, 1, v32
	v_add_u32_e32 v4, 2, v32
	;; [unrolled: 1-line block ×7, first 2 shown]
	v_and_or_b32 v3, v3, 15, v0
	v_and_or_b32 v4, v4, 15, v0
	;; [unrolled: 1-line block ×7, first 2 shown]
	v_lshlrev_b32_e32 v2, 2, v1
	v_lshlrev_b32_e32 v3, 2, v3
	;; [unrolled: 1-line block ×8, first 2 shown]
	ds_read_b32 v2, v2
	ds_read_b32 v3, v3
	;; [unrolled: 1-line block ×8, first 2 shown]
	s_waitcnt lgkmcnt(7)
	v_add_f32_e32 v2, 0, v2
	s_waitcnt lgkmcnt(6)
	v_add_f32_e32 v2, v2, v3
	;; [unrolled: 2-line block ×8, first 2 shown]
	v_add_u32_e32 v3, 9, v32
	v_add_u32_e32 v4, 10, v32
	;; [unrolled: 1-line block ×6, first 2 shown]
	v_add_u32_e32 v9, -1, v32
	v_xor_b32_e32 v1, 8, v1
	v_and_or_b32 v3, v3, 15, v0
	v_and_or_b32 v4, v4, 15, v0
	v_and_or_b32 v5, v5, 15, v0
	v_and_or_b32 v6, v6, 15, v0
	v_and_or_b32 v7, v7, 15, v0
	v_and_or_b32 v8, v8, 15, v0
	v_and_or_b32 v0, v9, 15, v0
	v_lshlrev_b32_e32 v1, 2, v1
	v_lshlrev_b32_e32 v3, 2, v3
	;; [unrolled: 1-line block ×8, first 2 shown]
	ds_read_b32 v1, v1
	ds_read_b32 v3, v3
	;; [unrolled: 1-line block ×8, first 2 shown]
	s_waitcnt lgkmcnt(7)
	v_add_f32_e32 v1, v2, v1
	s_waitcnt lgkmcnt(6)
	v_add_f32_e32 v1, v1, v3
	;; [unrolled: 2-line block ×5, first 2 shown]
	s_mul_i32 s0, s6, s11
	s_mul_hi_u32 s1, s6, s10
	s_waitcnt lgkmcnt(2)
	v_add_f32_e32 v1, v1, v7
	s_add_i32 s0, s1, s0
	s_mul_i32 s1, s7, s10
	s_waitcnt lgkmcnt(1)
	v_add_f32_e32 v1, v1, v8
	s_add_i32 s1, s0, s1
	s_mul_i32 s0, s6, s10
	s_waitcnt lgkmcnt(0)
	v_add_f32_e32 v4, v1, v0
	v_mad_u64_u32 v[0:1], s[2:3], v32, s10, 0
	s_lshl_b64 s[0:1], s[0:1], 2
	v_mov_b32_e32 v2, v1
	s_add_u32 s0, s22, s0
	v_mad_u64_u32 v[2:3], s[2:3], v32, s11, v[2:3]
	s_addc_u32 s1, s23, s1
	v_mov_b32_e32 v1, v2
	v_lshl_add_u64 v[0:1], v[0:1], 2, s[0:1]
	v_mul_f32_e32 v2, s28, v4
	global_atomic_add_f32 v[0:1], v2, off
.LBB65_21:
	s_endpgm
	.section	.rodata,"a",@progbits
	.p2align	6, 0x0
	.amdhsa_kernel _ZL54rocblas_symv_kernel_upper_double_buffered_non_diagonalILi32ELi4ELi4E24rocblas_internal_val_ptrIfEPKfPfEvbiT2_lT3_lllS6_lllT4_llli
		.amdhsa_group_segment_fixed_size 3200
		.amdhsa_private_segment_fixed_size 0
		.amdhsa_kernarg_size 384
		.amdhsa_user_sgpr_count 2
		.amdhsa_user_sgpr_dispatch_ptr 0
		.amdhsa_user_sgpr_queue_ptr 0
		.amdhsa_user_sgpr_kernarg_segment_ptr 1
		.amdhsa_user_sgpr_dispatch_id 0
		.amdhsa_user_sgpr_kernarg_preload_length 0
		.amdhsa_user_sgpr_kernarg_preload_offset 0
		.amdhsa_user_sgpr_private_segment_size 0
		.amdhsa_uses_dynamic_stack 0
		.amdhsa_enable_private_segment 0
		.amdhsa_system_sgpr_workgroup_id_x 1
		.amdhsa_system_sgpr_workgroup_id_y 1
		.amdhsa_system_sgpr_workgroup_id_z 1
		.amdhsa_system_sgpr_workgroup_info 0
		.amdhsa_system_vgpr_workitem_id 1
		.amdhsa_next_free_vgpr 55
		.amdhsa_next_free_sgpr 32
		.amdhsa_accum_offset 56
		.amdhsa_reserve_vcc 1
		.amdhsa_float_round_mode_32 0
		.amdhsa_float_round_mode_16_64 0
		.amdhsa_float_denorm_mode_32 3
		.amdhsa_float_denorm_mode_16_64 3
		.amdhsa_dx10_clamp 1
		.amdhsa_ieee_mode 1
		.amdhsa_fp16_overflow 0
		.amdhsa_tg_split 0
		.amdhsa_exception_fp_ieee_invalid_op 0
		.amdhsa_exception_fp_denorm_src 0
		.amdhsa_exception_fp_ieee_div_zero 0
		.amdhsa_exception_fp_ieee_overflow 0
		.amdhsa_exception_fp_ieee_underflow 0
		.amdhsa_exception_fp_ieee_inexact 0
		.amdhsa_exception_int_div_zero 0
	.end_amdhsa_kernel
	.section	.text._ZL54rocblas_symv_kernel_upper_double_buffered_non_diagonalILi32ELi4ELi4E24rocblas_internal_val_ptrIfEPKfPfEvbiT2_lT3_lllS6_lllT4_llli,"axG",@progbits,_ZL54rocblas_symv_kernel_upper_double_buffered_non_diagonalILi32ELi4ELi4E24rocblas_internal_val_ptrIfEPKfPfEvbiT2_lT3_lllS6_lllT4_llli,comdat
.Lfunc_end65:
	.size	_ZL54rocblas_symv_kernel_upper_double_buffered_non_diagonalILi32ELi4ELi4E24rocblas_internal_val_ptrIfEPKfPfEvbiT2_lT3_lllS6_lllT4_llli, .Lfunc_end65-_ZL54rocblas_symv_kernel_upper_double_buffered_non_diagonalILi32ELi4ELi4E24rocblas_internal_val_ptrIfEPKfPfEvbiT2_lT3_lllS6_lllT4_llli
                                        ; -- End function
	.section	.AMDGPU.csdata,"",@progbits
; Kernel info:
; codeLenInByte = 2364
; NumSgprs: 38
; NumVgprs: 55
; NumAgprs: 0
; TotalNumVgprs: 55
; ScratchSize: 0
; MemoryBound: 0
; FloatMode: 240
; IeeeMode: 1
; LDSByteSize: 3200 bytes/workgroup (compile time only)
; SGPRBlocks: 4
; VGPRBlocks: 6
; NumSGPRsForWavesPerEU: 38
; NumVGPRsForWavesPerEU: 55
; AccumOffset: 56
; Occupancy: 8
; WaveLimiterHint : 0
; COMPUTE_PGM_RSRC2:SCRATCH_EN: 0
; COMPUTE_PGM_RSRC2:USER_SGPR: 2
; COMPUTE_PGM_RSRC2:TRAP_HANDLER: 0
; COMPUTE_PGM_RSRC2:TGID_X_EN: 1
; COMPUTE_PGM_RSRC2:TGID_Y_EN: 1
; COMPUTE_PGM_RSRC2:TGID_Z_EN: 1
; COMPUTE_PGM_RSRC2:TIDIG_COMP_CNT: 1
; COMPUTE_PGM_RSRC3_GFX90A:ACCUM_OFFSET: 13
; COMPUTE_PGM_RSRC3_GFX90A:TG_SPLIT: 0
	.section	.text._ZL58rocblas_symv_kernel_upper_double_buffered_diagonal_genericILi32ELi8E24rocblas_internal_val_ptrIfEPKfPfEvbiT1_lT2_lllS6_lllS5_lT3_lllii,"axG",@progbits,_ZL58rocblas_symv_kernel_upper_double_buffered_diagonal_genericILi32ELi8E24rocblas_internal_val_ptrIfEPKfPfEvbiT1_lT2_lllS6_lllS5_lT3_lllii,comdat
	.globl	_ZL58rocblas_symv_kernel_upper_double_buffered_diagonal_genericILi32ELi8E24rocblas_internal_val_ptrIfEPKfPfEvbiT1_lT2_lllS6_lllS5_lT3_lllii ; -- Begin function _ZL58rocblas_symv_kernel_upper_double_buffered_diagonal_genericILi32ELi8E24rocblas_internal_val_ptrIfEPKfPfEvbiT1_lT2_lllS6_lllS5_lT3_lllii
	.p2align	8
	.type	_ZL58rocblas_symv_kernel_upper_double_buffered_diagonal_genericILi32ELi8E24rocblas_internal_val_ptrIfEPKfPfEvbiT1_lT2_lllS6_lllS5_lT3_lllii,@function
_ZL58rocblas_symv_kernel_upper_double_buffered_diagonal_genericILi32ELi8E24rocblas_internal_val_ptrIfEPKfPfEvbiT1_lT2_lllS6_lllS5_lT3_lllii: ; @_ZL58rocblas_symv_kernel_upper_double_buffered_diagonal_genericILi32ELi8E24rocblas_internal_val_ptrIfEPKfPfEvbiT1_lT2_lllS6_lllS5_lT3_lllii
; %bb.0:
	s_load_dword s20, s[0:1], 0x0
	s_load_dwordx16 s[4:19], s[0:1], 0x8
	s_mov_b64 s[30:31], -1
                                        ; implicit-def: $sgpr33
	s_waitcnt lgkmcnt(0)
	s_bitcmp1_b32 s20, 0
	s_cselect_b64 s[20:21], -1, 0
	s_xor_b64 s[28:29], s[20:21], -1
	s_and_b64 vcc, exec, s[28:29]
	s_cbranch_vccnz .LBB66_13
; %bb.1:
	s_load_dwordx8 s[20:27], s[0:1], 0x48
	s_andn2_b64 vcc, exec, s[30:31]
	s_cbranch_vccz .LBB66_14
.LBB66_2:
	s_andn2_b64 vcc, exec, s[28:29]
	s_cbranch_vccnz .LBB66_4
.LBB66_3:
	s_waitcnt lgkmcnt(0)
	s_mul_i32 s4, s3, s27
	s_mul_hi_u32 s5, s3, s26
	s_add_i32 s5, s5, s4
	s_mul_i32 s4, s3, s26
	s_lshl_b64 s[4:5], s[4:5], 2
	s_add_u32 s4, s24, s4
	s_addc_u32 s5, s25, s5
	s_load_dword s24, s[4:5], 0x0
.LBB66_4:
	s_waitcnt lgkmcnt(0)
	v_cmp_eq_f32_e64 s[4:5], s33, 0
	v_cmp_eq_f32_e64 s[6:7], s24, 1.0
	s_and_b64 s[4:5], s[4:5], s[6:7]
	s_and_b64 vcc, exec, s[4:5]
	s_cbranch_vccnz .LBB66_12
; %bb.5:
	s_load_dwordx2 s[4:5], s[0:1], 0x80
	s_load_dwordx2 s[6:7], s[0:1], 0x68
	s_load_dwordx4 s[28:31], s[0:1], 0x70
	s_load_dword s25, s[0:1], 0x88
	v_bfe_u32 v7, v0, 10, 10
	s_waitcnt lgkmcnt(0)
	s_mul_i32 s5, s3, s5
	s_mul_hi_u32 s26, s3, s4
	s_add_i32 s5, s26, s5
	s_mul_i32 s4, s3, s4
	s_lshl_b64 s[4:5], s[4:5], 2
	s_add_u32 s6, s6, s4
	s_addc_u32 s7, s7, s5
	s_lshl_b64 s[4:5], s[28:29], 2
	s_add_u32 s6, s6, s4
	s_addc_u32 s7, s7, s5
	s_lshl_b32 s38, s2, 5
	s_ashr_i32 s39, s38, 31
	s_mul_i32 s4, s38, s31
	s_mul_hi_u32 s5, s38, s30
	s_add_i32 s4, s5, s4
	s_mul_i32 s5, s39, s30
	s_add_i32 s5, s4, s5
	s_mul_i32 s4, s38, s30
	s_lshl_b64 s[4:5], s[4:5], 2
	s_add_u32 s26, s6, s4
	s_addc_u32 s27, s7, s5
	v_cmp_neq_f32_e64 s[4:5], s33, 0
	v_and_b32_e32 v6, 0x3ff, v0
	s_and_b64 vcc, exec, s[4:5]
	v_cmp_eq_u32_e64 s[4:5], 0, v7
	s_cbranch_vccnz .LBB66_15
; %bb.6:
	s_and_saveexec_b64 s[6:7], s[4:5]
	s_cbranch_execz .LBB66_11
; %bb.7:
	v_cmp_gt_i32_e64 s[4:5], s25, v6
	v_cmp_le_i32_e32 vcc, s25, v6
	s_and_saveexec_b64 s[28:29], vcc
	s_cbranch_execz .LBB66_9
; %bb.8:
	s_load_dword s34, s[0:1], 0x90
	s_waitcnt lgkmcnt(0)
	s_add_i32 s34, s34, -1
	s_cmp_lt_u32 s2, s34
	s_cselect_b64 s[34:35], -1, 0
	s_andn2_b64 s[4:5], s[4:5], exec
	s_and_b64 s[34:35], s[34:35], exec
	s_or_b64 s[4:5], s[4:5], s[34:35]
.LBB66_9:
	s_or_b64 exec, exec, s[28:29]
	s_and_b64 exec, exec, s[4:5]
	s_cbranch_execz .LBB66_11
; %bb.10:
	v_mad_u64_u32 v[0:1], s[4:5], v6, s30, 0
	v_mov_b32_e32 v2, v1
	v_mad_u64_u32 v[2:3], s[4:5], v6, s31, v[2:3]
	v_mov_b32_e32 v1, v2
	v_lshl_add_u64 v[0:1], v[0:1], 2, s[26:27]
	global_load_dword v2, v[0:1], off
	s_waitcnt vmcnt(0)
	v_mul_f32_e32 v2, s24, v2
	global_store_dword v[0:1], v2, off
.LBB66_11:
	s_or_b64 exec, exec, s[6:7]
	s_cbranch_execz .LBB66_16
.LBB66_12:
	s_endpgm
.LBB66_13:
	s_mul_i32 s7, s3, s7
	s_mul_hi_u32 s20, s3, s6
	s_add_i32 s7, s20, s7
	s_mul_i32 s6, s3, s6
	s_lshl_b64 s[6:7], s[6:7], 2
	s_add_u32 s6, s4, s6
	s_addc_u32 s7, s5, s7
	s_load_dword s33, s[6:7], 0x0
	s_load_dwordx8 s[20:27], s[0:1], 0x48
	s_cbranch_execnz .LBB66_2
.LBB66_14:
	s_waitcnt lgkmcnt(0)
	s_mov_b32 s33, s4
	s_andn2_b64 vcc, exec, s[28:29]
	s_cbranch_vccz .LBB66_3
	s_branch .LBB66_4
.LBB66_15:
.LBB66_16:
	v_mov_b32_e32 v1, 0
	v_cmp_ne_u32_e64 s[4:5], 0, v7
	v_cmp_eq_u32_e64 s[6:7], 0, v7
	v_mov_b32_e32 v8, 0
	s_and_saveexec_b64 s[28:29], s[6:7]
	s_cbranch_execz .LBB66_23
; %bb.17:
	v_cmp_gt_i32_e64 s[36:37], s25, v6
	v_cmp_le_i32_e32 vcc, s25, v6
                                        ; implicit-def: $sgpr40
	s_and_saveexec_b64 s[34:35], vcc
	s_cbranch_execz .LBB66_19
; %bb.18:
	s_load_dword s41, s[0:1], 0x90
	s_mov_b32 s40, 0
	s_waitcnt lgkmcnt(0)
	s_add_i32 s41, s41, -1
	s_cmp_lt_u32 s2, s41
	s_cselect_b64 s[42:43], -1, 0
	s_andn2_b64 s[36:37], s[36:37], exec
	s_and_b64 s[42:43], s[42:43], exec
	s_or_b64 s[36:37], s[36:37], s[42:43]
.LBB66_19:
	s_or_b64 exec, exec, s[34:35]
	v_mov_b32_e32 v8, s40
	s_and_saveexec_b64 s[34:35], s[36:37]
	s_cbranch_execz .LBB66_22
; %bb.20:
	s_mul_i32 s23, s3, s23
	s_mul_hi_u32 s36, s3, s22
	s_add_i32 s23, s36, s23
	s_mul_i32 s22, s3, s22
	s_lshl_b64 s[22:23], s[22:23], 2
	s_add_u32 s22, s16, s22
	s_addc_u32 s23, s17, s23
	s_lshl_b64 s[16:17], s[18:19], 2
	s_add_u32 s18, s22, s16
	s_addc_u32 s19, s23, s17
	s_mul_i32 s16, s38, s21
	s_mul_hi_u32 s17, s38, s20
	s_add_i32 s16, s17, s16
	s_mul_i32 s17, s39, s20
	s_add_i32 s17, s16, s17
	s_mul_i32 s16, s38, s20
	s_lshl_b64 s[16:17], s[16:17], 2
	s_add_u32 s16, s18, s16
	s_addc_u32 s17, s19, s17
	v_mad_u64_u32 v[2:3], s[18:19], v6, s20, 0
	v_mov_b32_e32 v0, v3
	v_mad_u64_u32 v[4:5], s[18:19], v6, s21, v[0:1]
	v_mov_b32_e32 v3, v4
	v_lshl_add_u64 v[2:3], v[2:3], 2, s[16:17]
	global_load_dword v0, v[2:3], off
	v_cmp_eq_f32_e64 s[16:17], s24, 0
	v_lshlrev_b32_e32 v2, 2, v6
	v_mov_b32_e32 v8, 0
	s_and_b64 vcc, exec, s[16:17]
	s_waitcnt vmcnt(0)
	ds_write_b32 v2, v0 offset:6144
	s_cbranch_vccnz .LBB66_22
; %bb.21:
	v_mad_u64_u32 v[2:3], s[16:17], v6, s30, 0
	v_mov_b32_e32 v0, v3
	v_mad_u64_u32 v[4:5], s[16:17], v6, s31, v[0:1]
	v_mov_b32_e32 v3, v4
	v_lshl_add_u64 v[2:3], v[2:3], 2, s[26:27]
	global_load_dword v0, v[2:3], off
	s_waitcnt vmcnt(0)
	v_mul_f32_e32 v8, s24, v0
.LBB66_22:
	s_or_b64 exec, exec, s[34:35]
.LBB66_23:
	s_or_b64 exec, exec, s[28:29]
	s_mul_i32 s15, s3, s15
	s_mul_hi_u32 s16, s3, s14
	s_add_i32 s15, s16, s15
	s_mul_i32 s14, s3, s14
	s_lshl_b64 s[14:15], s[14:15], 2
	s_add_u32 s3, s8, s14
	s_addc_u32 s16, s9, s15
	s_lshl_b64 s[10:11], s[10:11], 2
	s_add_u32 s3, s3, s10
	s_addc_u32 s19, s16, s11
	s_add_u32 s16, s12, 1
	s_addc_u32 s17, s13, 0
	s_mul_i32 s18, s16, s39
	s_mul_hi_u32 s20, s16, s38
	s_add_i32 s18, s20, s18
	s_mul_i32 s17, s17, s38
	s_add_i32 s17, s18, s17
	s_mul_i32 s16, s16, s38
	s_lshl_b64 s[16:17], s[16:17], 2
	s_add_u32 s18, s3, s16
	s_load_dword s3, s[0:1], 0x90
	v_mad_u64_u32 v[2:3], s[20:21], v7, s12, 0
	v_mov_b32_e32 v0, v3
	v_mad_u64_u32 v[4:5], s[20:21], v7, s13, v[0:1]
	s_addc_u32 s19, s19, s17
	v_mov_b32_e32 v3, v4
	v_lshl_add_u64 v[2:3], v[2:3], 2, s[18:19]
	v_lshlrev_b32_e32 v0, 2, v6
	v_lshl_add_u32 v11, v7, 5, v6
	s_waitcnt lgkmcnt(0)
	s_add_i32 s3, s3, -1
	v_lshl_add_u64 v[2:3], v[2:3], 0, v[0:1]
	s_cmp_eq_u32 s2, s3
	v_lshlrev_b32_e32 v9, 2, v11
	v_add_u32_e32 v10, 16, v7
	s_cbranch_scc1 .LBB66_26
; %bb.24:
	s_lshl_b64 s[0:1], s[12:13], 5
	v_lshl_add_u64 v[4:5], v[2:3], 0, s[0:1]
	global_load_dword v13, v[2:3], off
	global_load_dword v14, v[4:5], off
	v_lshl_add_u64 v[4:5], v[4:5], 0, s[0:1]
	global_load_dword v15, v[4:5], off
	v_mov_b32_e32 v4, 0x60
	v_add_u32_e32 v12, 16, v7
	s_mul_i32 s20, s13, 0x60
	v_mad_u64_u32 v[4:5], s[0:1], s12, v4, v[2:3]
	v_add_u32_e32 v1, 0x300, v11
	v_lshlrev_b32_e32 v16, 5, v12
	v_add_u32_e32 v5, s20, v5
	s_mov_b64 s[0:1], -1
	v_add_lshl_u32 v16, v16, v6, 2
	s_waitcnt vmcnt(1)
	ds_write2st64_b32 v9, v13, v14 offset1:4
	s_waitcnt vmcnt(0)
	ds_write_b32 v16, v15
	s_cbranch_execz .LBB66_27
; %bb.25:
                                        ; implicit-def: $vgpr10
	s_and_saveexec_b64 s[4:5], s[0:1]
	s_cbranch_execnz .LBB66_47
	s_branch .LBB66_48
.LBB66_26:
	s_mov_b64 s[0:1], 0
                                        ; implicit-def: $vgpr12
                                        ; implicit-def: $vgpr4_vgpr5
                                        ; implicit-def: $vgpr1
.LBB66_27:
	v_cmp_gt_i32_e32 vcc, s25, v6
	v_lshlrev_b32_e32 v4, 5, v10
	s_or_b64 s[4:5], s[4:5], vcc
	v_mov_b32_e32 v1, 0
	v_add_lshl_u32 v4, v4, v6, 2
	s_xor_b64 s[18:19], s[4:5], -1
	ds_write2st64_b32 v9, v1, v1 offset1:4
	ds_write_b32 v4, v1
	ds_write_b32 v9, v1 offset:3072
	s_and_saveexec_b64 s[4:5], s[18:19]
	s_cbranch_execz .LBB66_29
; %bb.28:
	ds_write_b32 v0, v1 offset:6144
.LBB66_29:
	s_or_b64 exec, exec, s[4:5]
                                        ; implicit-def: $vgpr12
                                        ; implicit-def: $vgpr4_vgpr5
                                        ; implicit-def: $vgpr1
	s_and_saveexec_b64 s[4:5], vcc
	s_cbranch_execz .LBB66_46
; %bb.30:
	s_cmp_lt_u32 s25, 8
	s_mov_b32 s22, 0
	s_cbranch_scc1 .LBB66_43
; %bb.31:
	s_lshr_b32 s22, s25, 3
	s_cmp_lt_u32 s25, 16
	s_cbranch_scc1 .LBB66_35
; %bb.32:
	s_add_i32 s20, s22, -2
	s_cmp_lt_u32 s20, 2
	s_cbranch_scc1 .LBB66_36
; %bb.33:
	s_lshr_b32 s19, s20, 1
	s_add_i32 s19, s19, 1
	s_mov_b32 s18, 1
	s_and_b32 s21, s19, -2
	s_mov_b32 s19, 0
.LBB66_34:                              ; =>This Inner Loop Header: Depth=1
	s_lshl_b32 s23, s19, 3
	s_lshl_b32 s28, s18, 3
	s_add_i32 s40, s18, 2
	s_add_i32 s41, s19, 2
	s_mul_i32 s29, s13, s28
	s_mul_hi_u32 s35, s12, s28
	s_mul_i32 s36, s13, s23
	s_mul_hi_u32 s37, s12, s23
	s_mul_i32 s34, s12, s23
	s_lshl_b32 s23, s41, 3
	s_lshl_b32 s38, s40, 3
	s_add_i32 s29, s35, s29
	s_add_i32 s35, s37, s36
	s_mul_i32 s37, s13, s38
	s_mul_hi_u32 s39, s12, s38
	s_mul_i32 s42, s13, s23
	s_mul_hi_u32 s43, s12, s23
	s_mul_i32 s28, s12, s28
	s_mul_i32 s36, s12, s38
	;; [unrolled: 1-line block ×3, first 2 shown]
	v_lshl_add_u64 v[4:5], s[34:35], 2, v[2:3]
	s_add_i32 s37, s39, s37
	s_add_i32 s39, s43, s42
	v_lshl_add_u64 v[12:13], s[28:29], 2, v[2:3]
	v_lshl_add_u64 v[14:15], s[38:39], 2, v[2:3]
	;; [unrolled: 1-line block ×3, first 2 shown]
	global_load_dword v1, v[4:5], off
	global_load_dword v18, v[12:13], off
	;; [unrolled: 1-line block ×4, first 2 shown]
	s_lshl_b32 s23, s18, 8
	s_lshl_b32 s28, s19, 8
	s_add_i32 s19, s19, 4
	s_add_i32 s18, s18, 4
	s_add_i32 s21, s21, -2
	v_add_lshl_u32 v4, s28, v11, 2
	v_add_lshl_u32 v5, s23, v11, 2
	s_lshl_b32 s23, s40, 8
	s_lshl_b32 s28, s41, 8
	s_cmp_lg_u32 s21, 0
	v_add_lshl_u32 v12, s28, v11, 2
	v_add_lshl_u32 v13, s23, v11, 2
	s_waitcnt vmcnt(3)
	ds_write_b32 v4, v1
	s_waitcnt vmcnt(2)
	ds_write_b32 v5, v18
	;; [unrolled: 2-line block ×4, first 2 shown]
	s_cbranch_scc1 .LBB66_34
	s_branch .LBB66_37
.LBB66_35:
	s_mov_b64 s[20:21], -1
	s_mov_b32 s18, 0
	s_branch .LBB66_40
.LBB66_36:
	s_mov_b32 s19, 0
	s_mov_b32 s18, 1
.LBB66_37:
	s_bitcmp1_b32 s20, 1
	s_cbranch_scc1 .LBB66_39
; %bb.38:
	s_lshl_b32 s20, s18, 3
	s_lshl_b32 s23, s19, 3
	s_mul_i32 s21, s13, s20
	s_mul_hi_u32 s28, s12, s20
	s_add_i32 s21, s28, s21
	s_mul_i32 s28, s13, s23
	s_mul_hi_u32 s29, s12, s23
	s_add_i32 s29, s29, s28
	s_mul_i32 s28, s12, s23
	s_mul_i32 s20, s12, s20
	v_lshl_add_u64 v[4:5], s[28:29], 2, v[2:3]
	v_lshl_add_u64 v[12:13], s[20:21], 2, v[2:3]
	global_load_dword v1, v[4:5], off
	global_load_dword v14, v[12:13], off
	s_lshl_b32 s19, s19, 8
	s_lshl_b32 s18, s18, 8
	v_add_lshl_u32 v4, s19, v11, 2
	v_add_lshl_u32 v5, s18, v11, 2
	s_waitcnt vmcnt(1)
	ds_write_b32 v4, v1
	s_waitcnt vmcnt(0)
	ds_write_b32 v5, v14
.LBB66_39:
	s_and_b32 s18, s22, 0x1ffffffe
	s_cmp_lg_u32 s22, s18
	s_cselect_b64 s[20:21], -1, 0
.LBB66_40:
	s_and_b64 vcc, exec, s[20:21]
	s_cbranch_vccz .LBB66_43
; %bb.41:
	s_lshl_b32 s19, s18, 10
	v_lshlrev_b32_e32 v1, 7, v7
	s_sub_i32 s20, s22, s18
	v_add3_u32 v12, s19, v1, v0
	s_add_u32 s16, s16, s14
	s_mov_b32 s19, 0
	s_addc_u32 s17, s17, s15
	s_lshl_b64 s[14:15], s[18:19], 5
	s_add_u32 s10, s10, s16
	v_lshlrev_b32_e32 v4, 2, v7
	v_mov_b32_e32 v5, 0
	s_addc_u32 s11, s11, s17
	v_lshl_add_u64 v[14:15], s[14:15], 0, v[4:5]
	v_mov_b64_e32 v[16:17], s[10:11]
	v_mad_u64_u32 v[16:17], s[10:11], s12, v14, v[16:17]
	v_mul_lo_u32 v1, s12, v15
	v_mul_lo_u32 v4, s13, v14
	v_add3_u32 v17, v4, v17, v1
	v_mov_b32_e32 v1, v5
	v_lshl_add_u64 v[4:5], v[16:17], 0, v[0:1]
	v_lshl_add_u64 v[4:5], s[8:9], 0, v[4:5]
	s_lshl_b64 s[8:9], s[12:13], 5
.LBB66_42:                              ; =>This Inner Loop Header: Depth=1
	global_load_dword v1, v[4:5], off
	s_add_i32 s20, s20, -1
	v_lshl_add_u64 v[4:5], v[4:5], 0, s[8:9]
	s_cmp_lg_u32 s20, 0
	s_waitcnt vmcnt(0)
	ds_write_b32 v12, v1
	v_add_u32_e32 v12, 0x400, v12
	s_cbranch_scc1 .LBB66_42
.LBB66_43:
	s_and_b32 s8, s25, 7
	v_cmp_gt_u32_e32 vcc, s8, v7
	s_mov_b64 s[8:9], s[0:1]
                                        ; implicit-def: $vgpr4_vgpr5
                                        ; implicit-def: $vgpr1
	s_and_saveexec_b64 s[10:11], vcc
; %bb.44:
	s_lshl_b32 s8, s22, 3
	s_mul_i32 s9, s8, s13
	s_mul_hi_u32 s13, s8, s12
	s_add_i32 s9, s13, s9
	s_mul_i32 s8, s8, s12
	v_lshl_add_u64 v[4:5], s[8:9], 2, v[2:3]
	v_lshl_add_u32 v1, s22, 8, v11
	s_or_b64 s[8:9], s[0:1], exec
; %bb.45:
	s_or_b64 exec, exec, s[10:11]
	s_andn2_b64 s[0:1], s[0:1], exec
	s_and_b64 s[8:9], s[8:9], exec
	s_or_b64 s[0:1], s[0:1], s[8:9]
	v_mov_b32_e32 v12, v10
.LBB66_46:
	s_or_b64 exec, exec, s[4:5]
	s_and_saveexec_b64 s[4:5], s[0:1]
	s_cbranch_execz .LBB66_48
.LBB66_47:
	global_load_dword v2, v[4:5], off
	v_lshlrev_b32_e32 v1, 2, v1
	v_mov_b32_e32 v10, v12
	s_waitcnt vmcnt(0)
	ds_write_b32 v1, v2
.LBB66_48:
	s_or_b64 exec, exec, s[4:5]
	v_sub_u32_e32 v1, v6, v7
	v_sub_u32_e32 v2, 0, v1
	v_max_i32_e32 v3, v1, v2
	v_lshlrev_b32_e32 v2, 5, v6
	v_add_u32_e32 v4, v10, v2
	v_cmp_lt_u32_e32 vcc, 16, v3
	v_lshlrev_b32_e32 v1, 5, v10
	v_lshlrev_b32_e32 v4, 2, v4
	s_waitcnt lgkmcnt(0)
	s_barrier
	s_and_saveexec_b64 s[0:1], vcc
	s_cbranch_execnz .LBB66_57
; %bb.49:
	s_or_b64 exec, exec, s[0:1]
	v_cmp_lt_u32_e32 vcc, 24, v3
	s_and_saveexec_b64 s[0:1], vcc
	s_cbranch_execnz .LBB66_58
.LBB66_50:
	s_or_b64 exec, exec, s[0:1]
	v_cmp_ge_u32_e32 vcc, v6, v7
	s_and_saveexec_b64 s[0:1], vcc
	s_cbranch_execz .LBB66_52
.LBB66_51:
	v_add_lshl_u32 v4, v2, v7, 2
	ds_read_b32 v4, v4
	s_waitcnt lgkmcnt(0)
	ds_write_b32 v9, v4
.LBB66_52:
	s_or_b64 exec, exec, s[0:1]
	v_cmp_lt_u32_e32 vcc, 8, v3
	v_lshlrev_b32_e32 v3, 5, v7
	s_movk_i32 s0, 0x100
	v_add3_u32 v4, v3, v6, s0
	v_lshlrev_b32_e32 v4, 2, v4
	s_and_saveexec_b64 s[0:1], vcc
	s_cbranch_execz .LBB66_54
; %bb.53:
	v_add_lshl_u32 v2, v7, v2, 2
	ds_read_b32 v2, v2 offset:32
	s_waitcnt lgkmcnt(0)
	ds_write_b32 v4, v2
.LBB66_54:
	s_or_b64 exec, exec, s[0:1]
	v_lshlrev_b32_e32 v2, 2, v7
	v_add_u32_e32 v5, 0x1800, v2
	s_waitcnt lgkmcnt(0)
	s_barrier
	ds_read2_b32 v[12:13], v5 offset1:8
	v_lshlrev_b32_e32 v5, 2, v10
	v_add_lshl_u32 v1, v1, v6, 2
	ds_read_b32 v5, v5 offset:6144
	v_add_lshl_u32 v3, v3, v6, 2
	ds_read_b32 v7, v9
	ds_read_b32 v4, v4
	ds_read_b32 v3, v3 offset:3072
	ds_read_b32 v1, v1
	ds_read_b32 v2, v2 offset:6240
	s_waitcnt lgkmcnt(4)
	v_fma_f32 v7, v7, v12, 0
	s_waitcnt lgkmcnt(3)
	v_fmac_f32_e32 v7, v4, v13
	s_waitcnt lgkmcnt(1)
	v_fmac_f32_e32 v7, v1, v5
	;; [unrolled: 2-line block ×3, first 2 shown]
	ds_write_b32 v9, v7 offset:4096
	s_waitcnt lgkmcnt(0)
	s_barrier
	s_and_saveexec_b64 s[0:1], s[6:7]
	s_cbranch_execz .LBB66_12
; %bb.55:
	s_cmp_lt_u32 s2, s3
	v_cmp_gt_i32_e32 vcc, s25, v6
	s_cselect_b64 s[0:1], -1, 0
	s_or_b64 s[0:1], vcc, s[0:1]
	s_and_b64 exec, exec, s[0:1]
	s_cbranch_execz .LBB66_12
; %bb.56:
	v_add_u32_e32 v7, 0x1000, v0
	ds_read2_b32 v[0:1], v7 offset1:32
	ds_read2_b32 v[2:3], v7 offset0:64 offset1:96
	ds_read2_b32 v[4:5], v7 offset0:128 offset1:160
	;; [unrolled: 1-line block ×3, first 2 shown]
	v_cmp_neq_f32_e64 vcc, s24, 0
	s_waitcnt lgkmcnt(3)
	v_add_f32_e32 v0, 0, v0
	v_add_f32_e32 v0, v0, v1
	s_waitcnt lgkmcnt(2)
	v_add_f32_e32 v0, v0, v2
	v_add_f32_e32 v0, v0, v3
	;; [unrolled: 3-line block ×4, first 2 shown]
	v_mul_f32_e32 v1, s33, v0
	v_fmac_f32_e32 v8, s33, v0
	v_cndmask_b32_e32 v4, v1, v8, vcc
	v_mad_u64_u32 v[0:1], s[0:1], v6, s30, 0
	v_mov_b32_e32 v2, v1
	v_mad_u64_u32 v[2:3], s[0:1], v6, s31, v[2:3]
	v_mov_b32_e32 v1, v2
	v_lshl_add_u64 v[0:1], v[0:1], 2, s[26:27]
	global_store_dword v[0:1], v4, off
	s_endpgm
.LBB66_57:
	ds_read_b32 v5, v4
	v_add_lshl_u32 v11, v1, v6, 2
	s_waitcnt lgkmcnt(0)
	ds_write_b32 v11, v5
	s_or_b64 exec, exec, s[0:1]
	v_cmp_lt_u32_e32 vcc, 24, v3
	s_and_saveexec_b64 s[0:1], vcc
	s_cbranch_execz .LBB66_50
.LBB66_58:
	ds_read_b32 v4, v4 offset:32
	s_waitcnt lgkmcnt(0)
	ds_write_b32 v9, v4 offset:3072
	s_or_b64 exec, exec, s[0:1]
	v_cmp_ge_u32_e32 vcc, v6, v7
	s_and_saveexec_b64 s[0:1], vcc
	s_cbranch_execnz .LBB66_51
	s_branch .LBB66_52
	.section	.rodata,"a",@progbits
	.p2align	6, 0x0
	.amdhsa_kernel _ZL58rocblas_symv_kernel_upper_double_buffered_diagonal_genericILi32ELi8E24rocblas_internal_val_ptrIfEPKfPfEvbiT1_lT2_lllS6_lllS5_lT3_lllii
		.amdhsa_group_segment_fixed_size 6272
		.amdhsa_private_segment_fixed_size 0
		.amdhsa_kernarg_size 400
		.amdhsa_user_sgpr_count 2
		.amdhsa_user_sgpr_dispatch_ptr 0
		.amdhsa_user_sgpr_queue_ptr 0
		.amdhsa_user_sgpr_kernarg_segment_ptr 1
		.amdhsa_user_sgpr_dispatch_id 0
		.amdhsa_user_sgpr_kernarg_preload_length 0
		.amdhsa_user_sgpr_kernarg_preload_offset 0
		.amdhsa_user_sgpr_private_segment_size 0
		.amdhsa_uses_dynamic_stack 0
		.amdhsa_enable_private_segment 0
		.amdhsa_system_sgpr_workgroup_id_x 1
		.amdhsa_system_sgpr_workgroup_id_y 0
		.amdhsa_system_sgpr_workgroup_id_z 1
		.amdhsa_system_sgpr_workgroup_info 0
		.amdhsa_system_vgpr_workitem_id 1
		.amdhsa_next_free_vgpr 21
		.amdhsa_next_free_sgpr 44
		.amdhsa_accum_offset 24
		.amdhsa_reserve_vcc 1
		.amdhsa_float_round_mode_32 0
		.amdhsa_float_round_mode_16_64 0
		.amdhsa_float_denorm_mode_32 3
		.amdhsa_float_denorm_mode_16_64 3
		.amdhsa_dx10_clamp 1
		.amdhsa_ieee_mode 1
		.amdhsa_fp16_overflow 0
		.amdhsa_tg_split 0
		.amdhsa_exception_fp_ieee_invalid_op 0
		.amdhsa_exception_fp_denorm_src 0
		.amdhsa_exception_fp_ieee_div_zero 0
		.amdhsa_exception_fp_ieee_overflow 0
		.amdhsa_exception_fp_ieee_underflow 0
		.amdhsa_exception_fp_ieee_inexact 0
		.amdhsa_exception_int_div_zero 0
	.end_amdhsa_kernel
	.section	.text._ZL58rocblas_symv_kernel_upper_double_buffered_diagonal_genericILi32ELi8E24rocblas_internal_val_ptrIfEPKfPfEvbiT1_lT2_lllS6_lllS5_lT3_lllii,"axG",@progbits,_ZL58rocblas_symv_kernel_upper_double_buffered_diagonal_genericILi32ELi8E24rocblas_internal_val_ptrIfEPKfPfEvbiT1_lT2_lllS6_lllS5_lT3_lllii,comdat
.Lfunc_end66:
	.size	_ZL58rocblas_symv_kernel_upper_double_buffered_diagonal_genericILi32ELi8E24rocblas_internal_val_ptrIfEPKfPfEvbiT1_lT2_lllS6_lllS5_lT3_lllii, .Lfunc_end66-_ZL58rocblas_symv_kernel_upper_double_buffered_diagonal_genericILi32ELi8E24rocblas_internal_val_ptrIfEPKfPfEvbiT1_lT2_lllS6_lllS5_lT3_lllii
                                        ; -- End function
	.section	.AMDGPU.csdata,"",@progbits
; Kernel info:
; codeLenInByte = 2600
; NumSgprs: 50
; NumVgprs: 21
; NumAgprs: 0
; TotalNumVgprs: 21
; ScratchSize: 0
; MemoryBound: 0
; FloatMode: 240
; IeeeMode: 1
; LDSByteSize: 6272 bytes/workgroup (compile time only)
; SGPRBlocks: 6
; VGPRBlocks: 2
; NumSGPRsForWavesPerEU: 50
; NumVGPRsForWavesPerEU: 21
; AccumOffset: 24
; Occupancy: 8
; WaveLimiterHint : 0
; COMPUTE_PGM_RSRC2:SCRATCH_EN: 0
; COMPUTE_PGM_RSRC2:USER_SGPR: 2
; COMPUTE_PGM_RSRC2:TRAP_HANDLER: 0
; COMPUTE_PGM_RSRC2:TGID_X_EN: 1
; COMPUTE_PGM_RSRC2:TGID_Y_EN: 0
; COMPUTE_PGM_RSRC2:TGID_Z_EN: 1
; COMPUTE_PGM_RSRC2:TIDIG_COMP_CNT: 1
; COMPUTE_PGM_RSRC3_GFX90A:ACCUM_OFFSET: 5
; COMPUTE_PGM_RSRC3_GFX90A:TG_SPLIT: 0
	.section	.text._ZL62rocblas_symv_kernel_upper_double_buffered_non_diagonal_genericILi32ELi8ELi2ELi0E24rocblas_internal_val_ptrIfEPKfPfEvbiT3_lT4_lllS6_lllT5_lllii,"axG",@progbits,_ZL62rocblas_symv_kernel_upper_double_buffered_non_diagonal_genericILi32ELi8ELi2ELi0E24rocblas_internal_val_ptrIfEPKfPfEvbiT3_lT4_lllS6_lllT5_lllii,comdat
	.globl	_ZL62rocblas_symv_kernel_upper_double_buffered_non_diagonal_genericILi32ELi8ELi2ELi0E24rocblas_internal_val_ptrIfEPKfPfEvbiT3_lT4_lllS6_lllT5_lllii ; -- Begin function _ZL62rocblas_symv_kernel_upper_double_buffered_non_diagonal_genericILi32ELi8ELi2ELi0E24rocblas_internal_val_ptrIfEPKfPfEvbiT3_lT4_lllS6_lllT5_lllii
	.p2align	8
	.type	_ZL62rocblas_symv_kernel_upper_double_buffered_non_diagonal_genericILi32ELi8ELi2ELi0E24rocblas_internal_val_ptrIfEPKfPfEvbiT3_lT4_lllS6_lllT5_lllii,@function
_ZL62rocblas_symv_kernel_upper_double_buffered_non_diagonal_genericILi32ELi8ELi2ELi0E24rocblas_internal_val_ptrIfEPKfPfEvbiT3_lT4_lllS6_lllT5_lllii: ; @_ZL62rocblas_symv_kernel_upper_double_buffered_non_diagonal_genericILi32ELi8ELi2ELi0E24rocblas_internal_val_ptrIfEPKfPfEvbiT3_lT4_lllS6_lllT5_lllii
; %bb.0:
	s_load_dword s5, s[0:1], 0x0
	s_load_dwordx16 s[8:23], s[0:1], 0x8
	s_waitcnt lgkmcnt(0)
	s_bitcmp0_b32 s5, 0
	s_cbranch_scc0 .LBB67_2
; %bb.1:
	s_mul_i32 s5, s4, s11
	s_mul_hi_u32 s6, s4, s10
	s_add_i32 s7, s6, s5
	s_mul_i32 s6, s4, s10
	s_lshl_b64 s[6:7], s[6:7], 2
	s_add_u32 s6, s8, s6
	s_addc_u32 s7, s9, s7
	s_load_dword s33, s[6:7], 0x0
	s_cbranch_execz .LBB67_3
	s_branch .LBB67_4
.LBB67_2:
                                        ; implicit-def: $sgpr33
.LBB67_3:
	s_waitcnt lgkmcnt(0)
	s_mov_b32 s33, s8
.LBB67_4:
	s_waitcnt lgkmcnt(0)
	v_cmp_eq_f32_e64 s[6:7], s33, 0
	s_and_b64 vcc, exec, s[6:7]
	s_cbranch_vccnz .LBB67_38
; %bb.5:
	s_load_dword s8, s[0:1], 0x84
	s_add_u32 s6, s0, 0x80
	s_addc_u32 s7, s1, 0
	s_cmp_eq_u32 s2, 0
	s_waitcnt lgkmcnt(0)
	v_cvt_f32_u32_e32 v1, s8
	v_rcp_iflag_f32_e32 v1, v1
	s_nop 0
	v_mul_f32_e32 v1, 0x4f7ffffe, v1
	v_cvt_u32_f32_e32 v1, v1
	s_nop 0
	v_readfirstlane_b32 s5, v1
	s_cbranch_scc1 .LBB67_38
; %bb.6:
	s_sub_i32 s9, 0, s8
	s_mul_i32 s9, s9, s5
	s_mul_hi_u32 s9, s5, s9
	s_add_i32 s5, s5, s9
	s_mul_hi_u32 s5, s2, s5
	s_mul_i32 s9, s5, s8
	s_sub_i32 s9, s2, s9
	s_add_i32 s10, s5, 1
	s_sub_i32 s11, s9, s8
	s_cmp_ge_u32 s9, s8
	s_cselect_b32 s5, s10, s5
	s_cselect_b32 s9, s11, s9
	s_add_i32 s10, s5, 1
	s_cmp_ge_u32 s9, s8
	s_cselect_b32 s5, s10, s5
	s_add_i32 s9, s8, -1
	s_cmp_lg_u32 s3, s9
	s_mov_b32 s35, s5
	s_cbranch_scc1 .LBB67_8
; %bb.7:
	s_mul_i32 s8, s5, s8
	s_sub_i32 s8, s2, s8
	s_add_i32 s35, s8, s5
.LBB67_8:
	s_cmp_eq_u32 s35, 0
	s_cbranch_scc1 .LBB67_38
; %bb.9:
	s_load_dwordx4 s[24:27], s[0:1], 0x48
	s_load_dword s34, s[0:1], 0x78
	s_load_dword s36, s[6:7], 0x0
	v_and_b32_e32 v22, 0x3ff, v0
	v_bfe_u32 v1, v0, 10, 10
	s_waitcnt lgkmcnt(0)
	s_mul_i32 s9, s4, s27
	s_mul_hi_u32 s10, s4, s26
	s_mul_i32 s8, s4, s26
	s_add_i32 s9, s10, s9
	s_lshl_b64 s[8:9], s[8:9], 2
	s_add_u32 s10, s20, s8
	s_addc_u32 s11, s21, s9
	s_lshl_b64 s[8:9], s[22:23], 2
	s_add_u32 s22, s10, s8
	s_addc_u32 s23, s11, s9
	s_lshl_b32 s20, s2, 5
	s_ashr_i32 s21, s20, 31
	s_mul_i32 s8, s20, s25
	s_mul_hi_u32 s9, s20, s24
	s_add_i32 s8, s9, s8
	s_mul_i32 s9, s21, s24
	s_add_i32 s9, s8, s9
	s_mul_i32 s8, s20, s24
	s_lshl_b64 s[6:7], s[8:9], 2
	s_add_u32 s10, s22, s6
	s_addc_u32 s11, s23, s7
	s_add_i32 s36, s36, -1
	s_cmp_lg_u32 s2, s36
	v_lshl_add_u32 v8, v1, 5, v22
	s_cselect_b64 s[8:9], -1, 0
	v_and_b32_e32 v0, 15, v22
	v_lshrrev_b32_e32 v4, 4, v8
	v_cmp_eq_u32_e64 s[6:7], 0, v1
	s_mov_b64 s[26:27], -1
	s_and_b64 vcc, exec, s[8:9]
	s_cbranch_vccnz .LBB67_15
; %bb.10:
	s_and_saveexec_b64 s[26:27], s[6:7]
	s_cbranch_execz .LBB67_14
; %bb.11:
	v_cmp_gt_i32_e32 vcc, s34, v22
	v_mov_b32_e32 v1, 0
	s_and_saveexec_b64 s[28:29], vcc
	s_cbranch_execz .LBB67_13
; %bb.12:
	v_mad_u64_u32 v[2:3], s[30:31], v22, s24, 0
	v_mov_b32_e32 v6, v3
	v_mad_u64_u32 v[6:7], s[30:31], v22, s25, v[6:7]
	v_mov_b32_e32 v3, v6
	v_lshl_add_u64 v[2:3], v[2:3], 2, s[10:11]
	global_load_dword v1, v[2:3], off
.LBB67_13:
	s_or_b64 exec, exec, s[28:29]
	v_lshlrev_b32_e32 v2, 2, v22
	s_waitcnt vmcnt(0)
	ds_write_b32 v2, v1 offset:4096
.LBB67_14:
	s_or_b64 exec, exec, s[26:27]
	v_lshlrev_b32_e32 v1, 2, v0
	v_lshl_or_b32 v1, v4, 7, v1
	v_mov_b32_e32 v2, 0
	ds_write2_b32 v1, v2, v2 offset1:16
	v_add_u32_e32 v1, 0x800, v1
	s_mov_b64 s[26:27], 0
	ds_write2_b32 v1, v2, v2 offset1:16
.LBB67_15:
	s_load_dwordx2 s[30:31], s[0:1], 0x58
	s_and_b64 vcc, exec, s[26:27]
	s_cbranch_vccz .LBB67_19
; %bb.16:
	s_and_saveexec_b64 s[26:27], s[6:7]
	s_cbranch_execz .LBB67_18
; %bb.17:
	v_mad_u64_u32 v[2:3], s[28:29], v22, s24, 0
	v_mov_b32_e32 v6, v3
	v_mad_u64_u32 v[6:7], s[28:29], v22, s25, v[6:7]
	v_mov_b32_e32 v3, v6
	v_lshl_add_u64 v[2:3], v[2:3], 2, s[10:11]
	global_load_dword v1, v[2:3], off
	v_lshlrev_b32_e32 v2, 2, v22
	s_waitcnt vmcnt(0)
	ds_write_b32 v2, v1 offset:4096
.LBB67_18:
	s_or_b64 exec, exec, s[26:27]
.LBB67_19:
	s_lshr_b32 s10, s34, 31
	s_add_i32 s10, s34, s10
	s_ashr_i32 s10, s10, 1
	s_mul_i32 s11, s4, s19
	s_mul_hi_u32 s19, s4, s18
	v_cmp_gt_i32_e32 vcc, s10, v4
	s_add_i32 s29, s19, s11
	s_mul_i32 s28, s4, s18
	s_mul_i32 s3, s3, s5
	s_or_b64 s[18:19], s[8:9], vcc
	s_mov_b32 s8, 0
	s_lshl_b32 s26, s3, 5
	s_mov_b32 s9, s8
	s_ashr_i32 s27, s26, 31
	v_lshlrev_b32_e32 v6, 1, v4
	v_mov_b32_e32 v1, 0
	v_mov_b64_e32 v[2:3], s[8:9]
	s_waitcnt lgkmcnt(0)
	s_barrier
	s_and_saveexec_b64 s[8:9], s[18:19]
	s_cbranch_execz .LBB67_21
; %bb.20:
	v_mad_u64_u32 v[2:3], s[10:11], v6, s16, v[0:1]
	v_mov_b32_e32 v10, v3
	v_mad_u64_u32 v[10:11], s[10:11], v6, s17, v[10:11]
	s_lshl_b64 s[10:11], s[28:29], 2
	s_add_u32 s3, s12, s10
	s_addc_u32 s5, s13, s11
	s_lshl_b64 s[10:11], s[14:15], 2
	s_add_u32 s3, s3, s10
	s_addc_u32 s5, s5, s11
	s_mul_i32 s10, s20, s17
	s_mul_hi_u32 s11, s20, s16
	s_add_i32 s10, s11, s10
	s_mul_i32 s11, s21, s16
	s_add_i32 s11, s10, s11
	s_mul_i32 s10, s20, s16
	s_lshl_b64 s[10:11], s[10:11], 2
	s_add_u32 s3, s3, s10
	s_addc_u32 s5, s5, s11
	s_lshl_b64 s[10:11], s[26:27], 2
	s_add_u32 s10, s3, s10
	v_mov_b32_e32 v3, v10
	s_addc_u32 s11, s5, s11
	v_lshl_add_u64 v[10:11], v[2:3], 2, s[10:11]
	v_lshl_add_u64 v[12:13], s[16:17], 2, v[10:11]
	global_load_dword v2, v[10:11], off
	global_load_dword v3, v[12:13], off
.LBB67_21:
	s_or_b64 exec, exec, s[8:9]
	s_load_dwordx2 s[38:39], s[0:1], 0x70
	s_load_dwordx4 s[8:11], s[0:1], 0x60
	v_lshl_or_b32 v1, v4, 5, v0
	s_waitcnt lgkmcnt(0)
	s_mul_i32 s1, s4, s39
	s_mul_hi_u32 s3, s4, s38
	s_mul_i32 s0, s4, s38
	s_add_i32 s1, s3, s1
	s_lshl_b64 s[0:1], s[0:1], 2
	s_add_u32 s3, s30, s0
	s_addc_u32 s4, s31, s1
	s_lshl_b64 s[0:1], s[8:9], 2
	s_add_u32 s3, s3, s0
	s_addc_u32 s30, s4, s1
	s_cmp_gt_i32 s35, 0
	s_cbranch_scc1 .LBB67_23
; %bb.22:
	v_lshl_or_b32 v4, v4, 5, v0
	v_or_b32_e32 v23, 16, v4
	s_mov_b32 s4, 0
	v_mov_b32_e32 v28, s4
	v_mov_b32_e32 v29, s4
	s_cbranch_execz .LBB67_24
	s_branch .LBB67_35
.LBB67_23:
                                        ; implicit-def: $sgpr4
                                        ; implicit-def: $vgpr4
                                        ; implicit-def: $vgpr23
	v_mov_b32_e32 v28, s4
	v_mov_b32_e32 v29, s4
.LBB67_24:
	v_mad_u64_u32 v[4:5], s[0:1], v0, s24, 0
	v_mov_b32_e32 v10, v5
	v_mad_u64_u32 v[10:11], s[0:1], v0, s25, v[10:11]
	s_mul_i32 s0, s26, s25
	s_mul_hi_u32 s1, s26, s24
	s_add_i32 s0, s1, s0
	s_mul_i32 s1, s27, s24
	s_add_i32 s1, s0, s1
	s_mul_i32 s0, s26, s24
	s_lshl_b64 s[0:1], s[0:1], 2
	s_add_u32 s0, s22, s0
	v_mov_b32_e32 v5, v10
	s_addc_u32 s1, s23, s1
	v_lshl_add_u64 v[4:5], v[4:5], 2, s[0:1]
	global_load_dword v27, v[4:5], off
	s_mul_i32 s0, s26, s11
	s_mul_hi_u32 s1, s26, s10
	s_add_i32 s0, s1, s0
	s_mul_i32 s1, s27, s10
	s_add_i32 s1, s0, s1
	s_mul_i32 s0, s26, s10
	v_mad_u64_u32 v[4:5], s[4:5], v22, s10, 0
	s_lshl_b64 s[0:1], s[0:1], 2
	v_mov_b32_e32 v10, v5
	s_add_u32 s38, s3, s0
	v_mad_u64_u32 v[10:11], s[4:5], v22, s11, v[10:11]
	s_addc_u32 s39, s30, s1
	s_lshl_b64 s[0:1], s[24:25], 7
	s_lshl_b64 s[4:5], s[10:11], 7
	;; [unrolled: 1-line block ×5, first 2 shown]
	s_add_u32 s12, s12, s26
	s_addc_u32 s13, s13, s27
	v_mov_b32_e32 v7, 0x1000
	s_add_u32 s12, s12, s14
	v_lshl_add_u32 v25, v6, 2, v7
	v_mov_b32_e32 v7, 0
	v_lshrrev_b32_e32 v8, 1, v8
	s_addc_u32 s13, s13, s15
	v_and_b32_e32 v8, 0x7ff8, v8
	v_mov_b32_e32 v9, v7
	s_add_u32 s8, s12, s8
	v_lshl_add_u64 v[12:13], s[20:21], 2, v[8:9]
	s_addc_u32 s9, s13, s9
	v_mov_b32_e32 v5, v10
	v_lshl_add_u64 v[10:11], v[12:13], 0, 4
	v_mov_b64_e32 v[14:15], s[8:9]
	v_lshlrev_b32_e32 v6, 2, v0
	v_mad_u64_u32 v[8:9], s[8:9], s16, v10, v[14:15]
	v_mul_lo_u32 v11, s16, v11
	v_mul_lo_u32 v10, s17, v10
	v_add3_u32 v9, v10, v9, v11
	v_mad_u64_u32 v[10:11], s[8:9], s16, v12, v[14:15]
	v_mul_lo_u32 v13, s16, v13
	v_mul_lo_u32 v12, s17, v12
	v_lshl_add_u64 v[14:15], s[26:27], 0, v[6:7]
	v_add3_u32 v11, v12, v11, v13
	v_lshl_add_u64 v[12:13], v[14:15], 0, 64
	v_mul_lo_u32 v16, s25, v12
	v_mul_lo_u32 v17, s24, v13
	v_mad_u64_u32 v[12:13], s[8:9], s24, v12, 0
	s_mov_b64 s[8:9], 0x80
	s_nop 0
	v_lshl_add_u64 v[14:15], v[14:15], 0, s[8:9]
	v_add3_u32 v13, v13, v17, v16
	v_mul_lo_u32 v16, s25, v14
	v_mul_lo_u32 v17, s24, v15
	v_mad_u64_u32 v[14:15], s[12:13], s24, v14, 0
	v_lshlrev_b32_e32 v24, 2, v1
	v_or_b32_e32 v23, 16, v1
	v_lshlrev_b32_e32 v26, 2, v22
	v_add3_u32 v15, v15, v17, v16
	v_mov_b64_e32 v[16:17], s[38:39]
	v_mov_b32_e32 v29, v7
	v_mov_b32_e32 v28, v7
	;; [unrolled: 1-line block ×4, first 2 shown]
	v_lshl_add_u64 v[18:19], s[22:23], 0, v[12:13]
	global_load_dword v32, v[18:19], off
	s_and_saveexec_b64 s[12:13], s[18:19]
	s_cbranch_execz .LBB67_26
.LBB67_25:
	v_lshl_add_u64 v[20:21], v[10:11], 0, v[6:7]
	v_lshl_add_u64 v[18:19], v[8:9], 0, v[6:7]
	global_load_dword v30, v[20:21], off offset:64
	global_load_dword v31, v[18:19], off offset:64
.LBB67_26:                              ; =>This Inner Loop Header: Depth=1
	s_or_b64 exec, exec, s[12:13]
	ds_read_b64 v[20:21], v25
	s_cmp_eq_u32 s35, 1
	s_waitcnt vmcnt(1)
	v_mov_b32_e32 v33, v27
	v_mov_b64_e32 v[18:19], v[2:3]
	s_cbranch_scc1 .LBB67_30
; %bb.27:                               ;   in Loop: Header=BB67_26 Depth=1
	v_mov_b64_e32 v[18:19], v[2:3]
	s_and_saveexec_b64 s[12:13], s[18:19]
	s_cbranch_execz .LBB67_29
; %bb.28:                               ;   in Loop: Header=BB67_26 Depth=1
	v_lshl_add_u64 v[34:35], v[10:11], 0, v[6:7]
	v_lshl_add_u64 v[36:37], v[8:9], 0, v[6:7]
	global_load_dword v18, v[34:35], off offset:128
	global_load_dword v19, v[36:37], off offset:128
.LBB67_29:                              ;   in Loop: Header=BB67_26 Depth=1
	s_or_b64 exec, exec, s[12:13]
	v_lshl_add_u64 v[34:35], s[22:23], 0, v[14:15]
	global_load_dword v33, v[34:35], off
.LBB67_30:                              ;   in Loop: Header=BB67_26 Depth=1
	s_waitcnt lgkmcnt(0)
	v_fma_f32 v34, v2, v20, 0
	v_fma_f32 v20, v30, v20, 0
	v_fmac_f32_e32 v34, v3, v21
	s_waitcnt vmcnt(0)
	v_fmac_f32_e32 v20, v31, v21
	s_barrier
	ds_write2_b32 v24, v34, v20 offset1:16
	s_waitcnt lgkmcnt(0)
	s_barrier
	s_and_saveexec_b64 s[12:13], s[6:7]
	s_cbranch_execz .LBB67_32
; %bb.31:                               ;   in Loop: Header=BB67_26 Depth=1
	ds_read2_b32 v[20:21], v26 offset1:32
	ds_read2_b32 v[34:35], v26 offset0:64 offset1:96
	ds_read2_b32 v[36:37], v26 offset0:128 offset1:160
	;; [unrolled: 1-line block ×3, first 2 shown]
	v_add_u32_e32 v40, 0x400, v26
	s_waitcnt lgkmcnt(3)
	v_add_f32_e32 v20, 0, v20
	v_add_f32_e32 v20, v20, v21
	s_waitcnt lgkmcnt(2)
	v_add_f32_e32 v20, v20, v34
	v_add_f32_e32 v20, v20, v35
	s_waitcnt lgkmcnt(1)
	v_add_f32_e32 v34, v20, v36
	ds_read2_b32 v[20:21], v40 offset1:32
	v_add_f32_e32 v34, v34, v37
	s_waitcnt lgkmcnt(1)
	v_add_f32_e32 v34, v34, v38
	v_add_f32_e32 v36, v34, v39
	ds_read2_b32 v[34:35], v40 offset0:64 offset1:96
	s_waitcnt lgkmcnt(1)
	v_add_f32_e32 v20, v36, v20
	ds_read2_b32 v[36:37], v40 offset0:128 offset1:160
	v_add_f32_e32 v38, v20, v21
	ds_read2_b32 v[20:21], v40 offset0:192 offset1:224
	s_waitcnt lgkmcnt(2)
	v_add_f32_e32 v34, v38, v34
	v_add_f32_e32 v34, v34, v35
	s_waitcnt lgkmcnt(1)
	v_add_f32_e32 v34, v34, v36
	v_add_f32_e32 v34, v34, v37
	;; [unrolled: 3-line block ×3, first 2 shown]
	v_lshl_add_u64 v[20:21], v[4:5], 2, v[16:17]
	v_mul_f32_e32 v34, s33, v34
	global_atomic_add_f32 v[20:21], v34, off
	v_lshl_add_u64 v[16:17], v[16:17], 0, s[4:5]
.LBB67_32:                              ;   in Loop: Header=BB67_26 Depth=1
	s_or_b64 exec, exec, s[12:13]
	s_add_i32 s35, s35, -1
	s_add_u32 s22, s22, s0
	v_fmac_f32_e32 v29, v27, v2
	v_fmac_f32_e32 v28, v27, v3
	s_addc_u32 s23, s23, s1
	v_fmac_f32_e32 v29, v32, v30
	v_fmac_f32_e32 v28, v32, v31
	v_lshl_add_u64 v[8:9], v[8:9], 0, s[8:9]
	s_cmp_eq_u32 s35, 0
	v_lshl_add_u64 v[10:11], v[10:11], 0, s[8:9]
	s_cbranch_scc1 .LBB67_34
; %bb.33:                               ;   in Loop: Header=BB67_26 Depth=1
	v_mov_b32_e32 v27, v33
	v_mov_b64_e32 v[2:3], v[18:19]
	v_lshl_add_u64 v[18:19], s[22:23], 0, v[12:13]
	global_load_dword v32, v[18:19], off
	s_and_saveexec_b64 s[12:13], s[18:19]
	s_cbranch_execnz .LBB67_25
	s_branch .LBB67_26
.LBB67_34:
	v_mov_b32_e32 v4, v1
.LBB67_35:
	v_lshlrev_b32_e32 v1, 2, v4
	ds_write_b32 v1, v29 offset:2048
	v_lshlrev_b32_e32 v1, 2, v23
	ds_write_b32 v1, v28 offset:2048
	s_waitcnt lgkmcnt(0)
	s_barrier
	s_and_saveexec_b64 s[0:1], s[6:7]
	s_cbranch_execz .LBB67_38
; %bb.36:
	s_cmp_lt_u32 s2, s36
	v_cmp_gt_i32_e32 vcc, s34, v22
	s_cselect_b64 s[0:1], -1, 0
	s_or_b64 s[0:1], vcc, s[0:1]
	s_and_b64 exec, exec, s[0:1]
	s_cbranch_execz .LBB67_38
; %bb.37:
	v_lshlrev_b32_e32 v1, 4, v22
	s_waitcnt vmcnt(0)
	v_add_u32_e32 v3, 1, v22
	v_add_u32_e32 v4, 2, v22
	;; [unrolled: 1-line block ×7, first 2 shown]
	v_or_b32_e32 v0, v0, v1
	v_and_or_b32 v3, v3, 15, v1
	v_and_or_b32 v4, v4, 15, v1
	;; [unrolled: 1-line block ×7, first 2 shown]
	v_lshlrev_b32_e32 v2, 2, v0
	v_lshlrev_b32_e32 v3, 2, v3
	;; [unrolled: 1-line block ×8, first 2 shown]
	ds_read_b32 v2, v2 offset:2048
	ds_read_b32 v3, v3 offset:2048
	;; [unrolled: 1-line block ×8, first 2 shown]
	s_waitcnt lgkmcnt(7)
	v_add_f32_e32 v2, 0, v2
	s_waitcnt lgkmcnt(6)
	v_add_f32_e32 v2, v2, v3
	;; [unrolled: 2-line block ×8, first 2 shown]
	v_add_u32_e32 v3, 9, v22
	v_add_u32_e32 v4, 10, v22
	;; [unrolled: 1-line block ×6, first 2 shown]
	v_add_u32_e32 v9, -1, v22
	v_xor_b32_e32 v0, 8, v0
	v_and_or_b32 v3, v3, 15, v1
	v_and_or_b32 v4, v4, 15, v1
	;; [unrolled: 1-line block ×7, first 2 shown]
	v_lshlrev_b32_e32 v0, 2, v0
	v_lshlrev_b32_e32 v3, 2, v3
	;; [unrolled: 1-line block ×8, first 2 shown]
	ds_read_b32 v0, v0 offset:2048
	ds_read_b32 v3, v3 offset:2048
	ds_read_b32 v4, v4 offset:2048
	ds_read_b32 v5, v5 offset:2048
	ds_read_b32 v6, v6 offset:2048
	ds_read_b32 v7, v7 offset:2048
	ds_read_b32 v8, v8 offset:2048
	ds_read_b32 v1, v1 offset:2048
	s_waitcnt lgkmcnt(7)
	v_add_f32_e32 v0, v2, v0
	s_waitcnt lgkmcnt(6)
	v_add_f32_e32 v0, v0, v3
	;; [unrolled: 2-line block ×3, first 2 shown]
	s_mul_i32 s0, s20, s11
	s_mul_hi_u32 s1, s20, s10
	s_waitcnt lgkmcnt(4)
	v_add_f32_e32 v0, v0, v5
	s_add_i32 s0, s1, s0
	s_mul_i32 s1, s21, s10
	s_waitcnt lgkmcnt(3)
	v_add_f32_e32 v0, v0, v6
	s_add_i32 s1, s0, s1
	s_mul_i32 s0, s20, s10
	s_waitcnt lgkmcnt(2)
	v_add_f32_e32 v0, v0, v7
	s_lshl_b64 s[0:1], s[0:1], 2
	s_waitcnt lgkmcnt(1)
	v_add_f32_e32 v0, v0, v8
	s_add_u32 s0, s3, s0
	s_waitcnt lgkmcnt(0)
	v_add_f32_e32 v4, v0, v1
	v_mad_u64_u32 v[0:1], s[2:3], v22, s10, 0
	v_mov_b32_e32 v2, v1
	v_mad_u64_u32 v[2:3], s[2:3], v22, s11, v[2:3]
	s_addc_u32 s1, s30, s1
	v_mov_b32_e32 v1, v2
	v_lshl_add_u64 v[0:1], v[0:1], 2, s[0:1]
	v_mul_f32_e32 v2, s33, v4
	global_atomic_add_f32 v[0:1], v2, off
.LBB67_38:
	s_endpgm
	.section	.rodata,"a",@progbits
	.p2align	6, 0x0
	.amdhsa_kernel _ZL62rocblas_symv_kernel_upper_double_buffered_non_diagonal_genericILi32ELi8ELi2ELi0E24rocblas_internal_val_ptrIfEPKfPfEvbiT3_lT4_lllS6_lllT5_lllii
		.amdhsa_group_segment_fixed_size 4224
		.amdhsa_private_segment_fixed_size 0
		.amdhsa_kernarg_size 384
		.amdhsa_user_sgpr_count 2
		.amdhsa_user_sgpr_dispatch_ptr 0
		.amdhsa_user_sgpr_queue_ptr 0
		.amdhsa_user_sgpr_kernarg_segment_ptr 1
		.amdhsa_user_sgpr_dispatch_id 0
		.amdhsa_user_sgpr_kernarg_preload_length 0
		.amdhsa_user_sgpr_kernarg_preload_offset 0
		.amdhsa_user_sgpr_private_segment_size 0
		.amdhsa_uses_dynamic_stack 0
		.amdhsa_enable_private_segment 0
		.amdhsa_system_sgpr_workgroup_id_x 1
		.amdhsa_system_sgpr_workgroup_id_y 1
		.amdhsa_system_sgpr_workgroup_id_z 1
		.amdhsa_system_sgpr_workgroup_info 0
		.amdhsa_system_vgpr_workitem_id 1
		.amdhsa_next_free_vgpr 41
		.amdhsa_next_free_sgpr 40
		.amdhsa_accum_offset 44
		.amdhsa_reserve_vcc 1
		.amdhsa_float_round_mode_32 0
		.amdhsa_float_round_mode_16_64 0
		.amdhsa_float_denorm_mode_32 3
		.amdhsa_float_denorm_mode_16_64 3
		.amdhsa_dx10_clamp 1
		.amdhsa_ieee_mode 1
		.amdhsa_fp16_overflow 0
		.amdhsa_tg_split 0
		.amdhsa_exception_fp_ieee_invalid_op 0
		.amdhsa_exception_fp_denorm_src 0
		.amdhsa_exception_fp_ieee_div_zero 0
		.amdhsa_exception_fp_ieee_overflow 0
		.amdhsa_exception_fp_ieee_underflow 0
		.amdhsa_exception_fp_ieee_inexact 0
		.amdhsa_exception_int_div_zero 0
	.end_amdhsa_kernel
	.section	.text._ZL62rocblas_symv_kernel_upper_double_buffered_non_diagonal_genericILi32ELi8ELi2ELi0E24rocblas_internal_val_ptrIfEPKfPfEvbiT3_lT4_lllS6_lllT5_lllii,"axG",@progbits,_ZL62rocblas_symv_kernel_upper_double_buffered_non_diagonal_genericILi32ELi8ELi2ELi0E24rocblas_internal_val_ptrIfEPKfPfEvbiT3_lT4_lllS6_lllT5_lllii,comdat
.Lfunc_end67:
	.size	_ZL62rocblas_symv_kernel_upper_double_buffered_non_diagonal_genericILi32ELi8ELi2ELi0E24rocblas_internal_val_ptrIfEPKfPfEvbiT3_lT4_lllS6_lllT5_lllii, .Lfunc_end67-_ZL62rocblas_symv_kernel_upper_double_buffered_non_diagonal_genericILi32ELi8ELi2ELi0E24rocblas_internal_val_ptrIfEPKfPfEvbiT3_lT4_lllS6_lllT5_lllii
                                        ; -- End function
	.section	.AMDGPU.csdata,"",@progbits
; Kernel info:
; codeLenInByte = 2576
; NumSgprs: 46
; NumVgprs: 41
; NumAgprs: 0
; TotalNumVgprs: 41
; ScratchSize: 0
; MemoryBound: 0
; FloatMode: 240
; IeeeMode: 1
; LDSByteSize: 4224 bytes/workgroup (compile time only)
; SGPRBlocks: 5
; VGPRBlocks: 5
; NumSGPRsForWavesPerEU: 46
; NumVGPRsForWavesPerEU: 41
; AccumOffset: 44
; Occupancy: 8
; WaveLimiterHint : 0
; COMPUTE_PGM_RSRC2:SCRATCH_EN: 0
; COMPUTE_PGM_RSRC2:USER_SGPR: 2
; COMPUTE_PGM_RSRC2:TRAP_HANDLER: 0
; COMPUTE_PGM_RSRC2:TGID_X_EN: 1
; COMPUTE_PGM_RSRC2:TGID_Y_EN: 1
; COMPUTE_PGM_RSRC2:TGID_Z_EN: 1
; COMPUTE_PGM_RSRC2:TIDIG_COMP_CNT: 1
; COMPUTE_PGM_RSRC3_GFX90A:ACCUM_OFFSET: 10
; COMPUTE_PGM_RSRC3_GFX90A:TG_SPLIT: 0
	.section	.text._ZL62rocblas_symv_kernel_upper_double_buffered_non_diagonal_genericILi32ELi8ELi2ELi1E24rocblas_internal_val_ptrIfEPKfPfEvbiT3_lT4_lllS6_lllT5_lllii,"axG",@progbits,_ZL62rocblas_symv_kernel_upper_double_buffered_non_diagonal_genericILi32ELi8ELi2ELi1E24rocblas_internal_val_ptrIfEPKfPfEvbiT3_lT4_lllS6_lllT5_lllii,comdat
	.globl	_ZL62rocblas_symv_kernel_upper_double_buffered_non_diagonal_genericILi32ELi8ELi2ELi1E24rocblas_internal_val_ptrIfEPKfPfEvbiT3_lT4_lllS6_lllT5_lllii ; -- Begin function _ZL62rocblas_symv_kernel_upper_double_buffered_non_diagonal_genericILi32ELi8ELi2ELi1E24rocblas_internal_val_ptrIfEPKfPfEvbiT3_lT4_lllS6_lllT5_lllii
	.p2align	8
	.type	_ZL62rocblas_symv_kernel_upper_double_buffered_non_diagonal_genericILi32ELi8ELi2ELi1E24rocblas_internal_val_ptrIfEPKfPfEvbiT3_lT4_lllS6_lllT5_lllii,@function
_ZL62rocblas_symv_kernel_upper_double_buffered_non_diagonal_genericILi32ELi8ELi2ELi1E24rocblas_internal_val_ptrIfEPKfPfEvbiT3_lT4_lllS6_lllT5_lllii: ; @_ZL62rocblas_symv_kernel_upper_double_buffered_non_diagonal_genericILi32ELi8ELi2ELi1E24rocblas_internal_val_ptrIfEPKfPfEvbiT3_lT4_lllS6_lllT5_lllii
; %bb.0:
	s_load_dword s5, s[0:1], 0x0
	s_load_dwordx16 s[8:23], s[0:1], 0x8
	s_waitcnt lgkmcnt(0)
	s_bitcmp0_b32 s5, 0
	s_cbranch_scc0 .LBB68_2
; %bb.1:
	s_mul_i32 s5, s4, s11
	s_mul_hi_u32 s6, s4, s10
	s_add_i32 s7, s6, s5
	s_mul_i32 s6, s4, s10
	s_lshl_b64 s[6:7], s[6:7], 2
	s_add_u32 s6, s8, s6
	s_addc_u32 s7, s9, s7
	s_load_dword s33, s[6:7], 0x0
	s_cbranch_execz .LBB68_3
	s_branch .LBB68_4
.LBB68_2:
                                        ; implicit-def: $sgpr33
.LBB68_3:
	s_waitcnt lgkmcnt(0)
	s_mov_b32 s33, s8
.LBB68_4:
	s_waitcnt lgkmcnt(0)
	v_cmp_eq_f32_e64 s[6:7], s33, 0
	s_and_b64 vcc, exec, s[6:7]
	s_cbranch_vccnz .LBB68_62
; %bb.5:
	s_load_dword s5, s[0:1], 0x84
	s_add_u32 s6, s0, 0x80
	s_addc_u32 s7, s1, 0
	s_cmp_eq_u32 s2, 0
	s_waitcnt lgkmcnt(0)
	v_cvt_f32_u32_e32 v1, s5
	v_rcp_iflag_f32_e32 v1, v1
	s_nop 0
	v_mul_f32_e32 v1, 0x4f7ffffe, v1
	v_cvt_u32_f32_e32 v1, v1
	s_nop 0
	v_readfirstlane_b32 s8, v1
	s_cbranch_scc1 .LBB68_62
; %bb.6:
	s_sub_i32 s9, 0, s5
	s_mul_i32 s9, s9, s8
	s_mul_hi_u32 s9, s8, s9
	s_add_i32 s8, s8, s9
	s_mul_hi_u32 s8, s2, s8
	s_mul_i32 s9, s8, s5
	s_sub_i32 s9, s2, s9
	s_add_i32 s10, s8, 1
	s_sub_i32 s11, s9, s5
	s_cmp_ge_u32 s9, s5
	s_cselect_b32 s8, s10, s8
	s_cselect_b32 s9, s11, s9
	s_add_i32 s10, s8, 1
	s_cmp_ge_u32 s9, s5
	s_cselect_b32 s30, s10, s8
	s_add_i32 s8, s5, -1
	s_cmp_lg_u32 s3, s8
	s_mov_b32 s38, s30
	s_cbranch_scc1 .LBB68_8
; %bb.7:
	s_mul_i32 s5, s30, s5
	s_sub_i32 s5, s2, s5
	s_add_i32 s38, s5, s30
.LBB68_8:
	s_cmp_eq_u32 s38, 0
	s_cbranch_scc1 .LBB68_62
; %bb.9:
	s_load_dwordx4 s[24:27], s[0:1], 0x48
	s_load_dword s39, s[6:7], 0x0
	v_and_b32_e32 v22, 0x3ff, v0
	v_bfe_u32 v0, v0, 10, 10
	v_lshl_add_u32 v8, v0, 5, v22
	s_waitcnt lgkmcnt(0)
	s_mul_i32 s5, s4, s27
	s_mul_hi_u32 s9, s4, s26
	s_mul_i32 s8, s4, s26
	s_add_i32 s9, s9, s5
	s_lshl_b64 s[8:9], s[8:9], 2
	s_add_u32 s5, s20, s8
	s_addc_u32 s10, s21, s9
	s_lshl_b64 s[8:9], s[22:23], 2
	s_add_u32 s28, s5, s8
	s_addc_u32 s29, s10, s9
	s_lshl_b32 s26, s2, 5
	s_ashr_i32 s27, s26, 31
	s_mul_i32 s5, s26, s25
	s_mul_hi_u32 s8, s26, s24
	s_add_i32 s5, s8, s5
	s_mul_i32 s8, s27, s24
	s_add_i32 s9, s5, s8
	s_mul_i32 s8, s26, s24
	s_lshl_b64 s[6:7], s[8:9], 2
	s_add_u32 s8, s28, s6
	s_addc_u32 s9, s29, s7
	s_add_i32 s39, s39, -1
	s_cmp_lg_u32 s2, s39
	s_cselect_b64 s[6:7], -1, 0
	v_cmp_eq_u32_e64 s[10:11], 0, v0
	s_mov_b64 s[20:21], -1
	s_and_b64 vcc, exec, s[6:7]
	s_cbranch_vccz .LBB68_13
; %bb.10:
	s_and_saveexec_b64 s[20:21], s[10:11]
	s_cbranch_execz .LBB68_12
; %bb.11:
	v_mad_u64_u32 v[0:1], s[22:23], v22, s24, 0
	v_mov_b32_e32 v2, v1
	v_mad_u64_u32 v[2:3], s[22:23], v22, s25, v[2:3]
	v_mov_b32_e32 v1, v2
	v_lshl_add_u64 v[0:1], v[0:1], 2, s[8:9]
	global_load_dword v0, v[0:1], off
	v_lshlrev_b32_e32 v1, 2, v22
	s_waitcnt vmcnt(0)
	ds_write_b32 v1, v0 offset:4096
.LBB68_12:
	s_or_b64 exec, exec, s[20:21]
	s_mov_b64 s[20:21], 0
.LBB68_13:
	s_load_dword s40, s[0:1], 0x78
	v_and_b32_e32 v0, 15, v22
	s_andn2_b64 vcc, exec, s[20:21]
	v_lshrrev_b32_e32 v6, 4, v8
	s_cbranch_vccnz .LBB68_19
; %bb.14:
	s_and_saveexec_b64 s[20:21], s[10:11]
	s_cbranch_execz .LBB68_18
; %bb.15:
	s_waitcnt lgkmcnt(0)
	v_cmp_gt_i32_e32 vcc, s40, v22
	v_mov_b32_e32 v1, 0
	s_and_saveexec_b64 s[22:23], vcc
	s_cbranch_execz .LBB68_17
; %bb.16:
	v_mad_u64_u32 v[2:3], s[34:35], v22, s24, 0
	v_mov_b32_e32 v4, v3
	v_mad_u64_u32 v[4:5], s[34:35], v22, s25, v[4:5]
	v_mov_b32_e32 v3, v4
	v_lshl_add_u64 v[2:3], v[2:3], 2, s[8:9]
	global_load_dword v1, v[2:3], off
.LBB68_17:
	s_or_b64 exec, exec, s[22:23]
	v_lshlrev_b32_e32 v2, 2, v22
	s_waitcnt vmcnt(0)
	ds_write_b32 v2, v1 offset:4096
.LBB68_18:
	s_or_b64 exec, exec, s[20:21]
	v_lshlrev_b32_e32 v1, 2, v0
	v_lshl_or_b32 v1, v6, 7, v1
	v_mov_b32_e32 v2, 0
	ds_write2_b32 v1, v2, v2 offset1:16
	v_add_u32_e32 v1, 0x800, v1
	ds_write2_b32 v1, v2, v2 offset1:16
.LBB68_19:
	s_waitcnt lgkmcnt(0)
	s_lshr_b32 s5, s40, 31
	s_mul_i32 s8, s4, s19
	s_mul_hi_u32 s9, s4, s18
	s_add_i32 s5, s40, s5
	s_add_i32 s9, s9, s8
	s_mul_i32 s8, s4, s18
	s_ashr_i32 s5, s5, 1
	s_lshl_b64 s[18:19], s[8:9], 2
	s_add_u32 s8, s12, s18
	s_addc_u32 s9, s13, s19
	s_lshl_b64 s[34:35], s[14:15], 2
	s_add_u32 s14, s8, s34
	s_addc_u32 s15, s9, s35
	s_mul_i32 s8, s26, s17
	s_mul_hi_u32 s9, s26, s16
	s_add_i32 s8, s9, s8
	s_mul_i32 s9, s27, s16
	s_add_i32 s9, s8, s9
	s_mul_i32 s8, s26, s16
	s_lshl_b64 s[8:9], s[8:9], 2
	s_add_u32 s8, s14, s8
	s_mul_i32 s3, s3, s30
	s_addc_u32 s9, s15, s9
	s_lshl_b32 s14, s3, 5
	s_ashr_i32 s15, s14, 31
	s_lshl_b64 s[30:31], s[14:15], 2
	s_load_dwordx2 s[36:37], s[0:1], 0x58
	s_add_u32 s20, s8, s30
	v_lshlrev_b32_e32 v7, 1, v6
	v_mov_b32_e32 v1, 0
	s_addc_u32 s21, s9, s31
	v_mad_u64_u32 v[4:5], s[8:9], v7, s16, v[0:1]
	v_mov_b32_e32 v2, v5
	v_mad_u64_u32 v[2:3], s[8:9], v7, s17, v[2:3]
	v_cndmask_b32_e64 v1, 0, 1, s[6:7]
	v_cmp_ne_u32_e64 s[8:9], 1, v1
	s_andn2_b64 vcc, exec, s[6:7]
	v_mov_b32_e32 v5, v2
	s_waitcnt lgkmcnt(0)
	s_barrier
	s_cbranch_vccnz .LBB68_21
; %bb.20:
	v_lshl_add_u64 v[10:11], v[4:5], 2, s[20:21]
	v_lshl_add_u64 v[12:13], s[16:17], 2, v[10:11]
	global_load_dword v2, v[10:11], off
	global_load_dword v3, v[12:13], off
	v_cmp_le_i32_e64 s[6:7], s5, v6
	s_cbranch_execz .LBB68_22
	s_branch .LBB68_29
.LBB68_21:
                                        ; implicit-def: $vgpr2_vgpr3
	v_cmp_le_i32_e64 s[6:7], s5, v6
.LBB68_22:
                                        ; implicit-def: $vgpr2_vgpr3
	s_and_saveexec_b64 s[22:23], s[6:7]
	s_xor_b64 s[6:7], exec, s[22:23]
	s_cbranch_execz .LBB68_26
; %bb.23:
	s_mov_b32 s22, 0
	s_mov_b32 s23, s22
	v_cmp_eq_u32_e32 vcc, s5, v6
	s_waitcnt vmcnt(0)
	v_mov_b64_e32 v[2:3], s[22:23]
	s_and_saveexec_b64 s[22:23], vcc
	s_cbranch_execz .LBB68_25
; %bb.24:
	v_lshl_add_u64 v[2:3], v[4:5], 2, s[20:21]
	global_load_dword v2, v[2:3], off
	v_mov_b32_e32 v3, 0
.LBB68_25:
	s_or_b64 exec, exec, s[22:23]
                                        ; implicit-def: $vgpr4_vgpr5
.LBB68_26:
	s_andn2_saveexec_b64 s[6:7], s[6:7]
	s_cbranch_execz .LBB68_28
; %bb.27:
	v_lshl_add_u64 v[4:5], v[4:5], 2, s[20:21]
	v_lshl_add_u64 v[10:11], s[16:17], 2, v[4:5]
	global_load_dword v2, v[4:5], off
	global_load_dword v3, v[10:11], off
.LBB68_28:
	s_or_b64 exec, exec, s[6:7]
.LBB68_29:
	s_load_dwordx2 s[6:7], s[0:1], 0x70
	s_load_dwordx4 s[20:23], s[0:1], 0x60
	v_lshl_or_b32 v1, v6, 5, v0
	s_waitcnt lgkmcnt(0)
	s_mul_i32 s1, s4, s7
	s_mul_hi_u32 s3, s4, s6
	s_mul_i32 s0, s4, s6
	s_add_i32 s1, s3, s1
	s_lshl_b64 s[0:1], s[0:1], 2
	s_add_u32 s3, s36, s0
	s_addc_u32 s4, s37, s1
	s_lshl_b64 s[0:1], s[20:21], 2
	s_add_u32 s3, s3, s0
	s_addc_u32 s20, s4, s1
	s_mov_b32 s4, 0
	s_cmp_gt_i32 s38, 0
	s_cbranch_scc1 .LBB68_31
; %bb.30:
	v_lshl_or_b32 v4, v6, 5, v0
	v_or_b32_e32 v23, 16, v4
	v_mov_b32_e32 v28, s4
	v_mov_b32_e32 v29, s4
	s_cbranch_execz .LBB68_32
	s_branch .LBB68_59
.LBB68_31:
                                        ; implicit-def: $sgpr4
                                        ; implicit-def: $vgpr4
                                        ; implicit-def: $vgpr23
	v_mov_b32_e32 v28, s4
	v_mov_b32_e32 v29, s4
.LBB68_32:
	v_mad_u64_u32 v[4:5], s[0:1], v0, s24, 0
	v_mov_b32_e32 v10, v5
	v_mad_u64_u32 v[10:11], s[0:1], v0, s25, v[10:11]
	s_mul_i32 s0, s14, s25
	s_mul_hi_u32 s1, s14, s24
	s_add_i32 s0, s1, s0
	s_mul_i32 s1, s15, s24
	s_add_i32 s1, s0, s1
	s_mul_i32 s0, s14, s24
	s_lshl_b64 s[0:1], s[0:1], 2
	s_add_u32 s0, s28, s0
	v_mov_b32_e32 v5, v10
	s_addc_u32 s1, s29, s1
	v_lshl_add_u64 v[4:5], v[4:5], 2, s[0:1]
	global_load_dword v25, v[4:5], off
	s_mul_i32 s0, s14, s23
	s_mul_hi_u32 s1, s14, s22
	s_add_i32 s0, s1, s0
	s_mul_i32 s1, s15, s22
	s_add_i32 s1, s0, s1
	s_mul_i32 s0, s14, s22
	s_lshl_b64 s[0:1], s[0:1], 2
	s_add_u32 s36, s3, s0
	v_mad_u64_u32 v[4:5], s[14:15], v22, s22, 0
	s_addc_u32 s37, s20, s1
	v_cmp_le_i32_e64 s[0:1], s5, v6
	v_cmp_eq_u32_e64 s[6:7], s5, v6
	v_mov_b32_e32 v6, v5
	v_mad_u64_u32 v[10:11], s[14:15], v22, s23, v[6:7]
	s_lshl_b64 s[4:5], s[24:25], 7
	s_lshl_b64 s[14:15], s[22:23], 7
	s_add_u32 s12, s12, s30
	s_addc_u32 s13, s13, s31
	s_add_u32 s12, s12, s34
	v_mov_b32_e32 v6, 0x1000
	s_addc_u32 s13, s13, s35
	v_lshl_add_u32 v26, v7, 2, v6
	v_mov_b32_e32 v7, 0
	v_lshrrev_b32_e32 v8, 1, v8
	s_add_u32 s12, s12, s18
	v_and_b32_e32 v8, 0x7ff8, v8
	v_mov_b32_e32 v9, v7
	s_addc_u32 s13, s13, s19
	v_mov_b32_e32 v5, v10
	v_lshl_add_u64 v[10:11], s[26:27], 2, v[8:9]
	v_mov_b64_e32 v[12:13], s[12:13]
	v_mad_u64_u32 v[8:9], s[12:13], s16, v10, v[12:13]
	v_mul_lo_u32 v14, s16, v11
	v_mul_lo_u32 v15, s17, v10
	v_lshlrev_b32_e32 v6, 2, v0
	v_add3_u32 v9, v15, v9, v14
	v_lshl_add_u64 v[14:15], v[10:11], 0, 4
	v_mad_u64_u32 v[10:11], s[12:13], s16, v14, v[12:13]
	v_mul_lo_u32 v12, s16, v15
	v_mul_lo_u32 v13, s17, v14
	v_lshl_add_u64 v[14:15], s[30:31], 0, v[6:7]
	v_add3_u32 v11, v13, v11, v12
	v_lshl_add_u64 v[12:13], v[14:15], 0, 64
	v_mul_lo_u32 v16, s25, v12
	v_mul_lo_u32 v17, s24, v13
	v_mad_u64_u32 v[12:13], s[12:13], s24, v12, 0
	s_mov_b64 s[12:13], 0x80
	s_nop 0
	v_lshl_add_u64 v[14:15], v[14:15], 0, s[12:13]
	v_add3_u32 v13, v13, v17, v16
	v_mul_lo_u32 v16, s25, v14
	v_mul_lo_u32 v17, s24, v15
	v_mad_u64_u32 v[14:15], s[16:17], s24, v14, 0
	v_lshlrev_b32_e32 v24, 2, v1
	v_or_b32_e32 v23, 16, v1
	v_lshlrev_b32_e32 v27, 2, v22
	v_add3_u32 v15, v15, v17, v16
	v_mov_b64_e32 v[16:17], s[36:37]
	v_mov_b32_e32 v29, v7
	v_mov_b32_e32 v28, v7
	;; [unrolled: 1-line block ×4, first 2 shown]
	v_lshl_add_u64 v[20:21], s[28:29], 0, v[12:13]
	global_load_dword v30, v[20:21], off
	s_and_b64 vcc, exec, s[8:9]
	s_cbranch_vccnz .LBB68_34
.LBB68_33:
	v_lshl_add_u64 v[20:21], v[8:9], 0, v[6:7]
	global_load_dword v31, v[20:21], off offset:64
	v_lshl_add_u64 v[20:21], v[10:11], 0, v[6:7]
	global_load_dword v32, v[20:21], off offset:64
	s_cbranch_execz .LBB68_35
	s_branch .LBB68_42
.LBB68_34:
                                        ; implicit-def: $vgpr32
                                        ; implicit-def: $vgpr31
.LBB68_35:
	s_and_saveexec_b64 s[16:17], s[0:1]
	s_xor_b64 s[16:17], exec, s[16:17]
	s_cbranch_execz .LBB68_39
; %bb.36:
	s_and_saveexec_b64 s[18:19], s[6:7]
	s_cbranch_execz .LBB68_38
; %bb.37:
	v_lshl_add_u64 v[20:21], v[8:9], 0, v[6:7]
	global_load_dword v18, v[20:21], off offset:64
.LBB68_38:
	s_or_b64 exec, exec, s[18:19]
.LBB68_39:
	s_andn2_saveexec_b64 s[16:17], s[16:17]
	s_cbranch_execz .LBB68_41
; %bb.40:
	s_waitcnt vmcnt(0)
	v_lshl_add_u64 v[18:19], v[8:9], 0, v[6:7]
	v_lshl_add_u64 v[20:21], v[10:11], 0, v[6:7]
	global_load_dword v18, v[18:19], off offset:64
	s_nop 0
	global_load_dword v19, v[20:21], off offset:64
.LBB68_41:
	s_or_b64 exec, exec, s[16:17]
	s_waitcnt vmcnt(0)
	v_mov_b32_e32 v31, v18
	v_mov_b32_e32 v32, v19
.LBB68_42:
	ds_read_b64 v[20:21], v26
	s_cmp_eq_u32 s38, 1
	s_waitcnt vmcnt(1)
	v_mov_b32_e32 v33, v25
	v_mov_b64_e32 v[18:19], v[2:3]
	s_cbranch_scc1 .LBB68_54
; %bb.43:
	s_and_b64 vcc, exec, s[8:9]
	s_cbranch_vccnz .LBB68_45
; %bb.44:
	v_lshl_add_u64 v[18:19], v[8:9], 0, v[6:7]
	v_lshl_add_u64 v[34:35], v[10:11], 0, v[6:7]
	global_load_dword v18, v[18:19], off offset:128
	s_nop 0
	global_load_dword v19, v[34:35], off offset:128
	s_cbranch_execz .LBB68_46
	s_branch .LBB68_53
.LBB68_45:
                                        ; implicit-def: $vgpr18_vgpr19
.LBB68_46:
                                        ; implicit-def: $vgpr18_vgpr19
	s_and_saveexec_b64 s[16:17], s[0:1]
	s_xor_b64 s[16:17], exec, s[16:17]
	s_cbranch_execz .LBB68_50
; %bb.47:
	s_waitcnt vmcnt(0)
	v_mov_b64_e32 v[18:19], v[2:3]
	s_and_saveexec_b64 s[18:19], s[6:7]
	s_cbranch_execz .LBB68_49
; %bb.48:
	v_lshl_add_u64 v[18:19], v[8:9], 0, v[6:7]
	global_load_dword v18, v[18:19], off offset:128
	v_mov_b32_e32 v19, v3
.LBB68_49:
	s_or_b64 exec, exec, s[18:19]
.LBB68_50:
	s_andn2_saveexec_b64 s[16:17], s[16:17]
	s_cbranch_execz .LBB68_52
; %bb.51:
	s_waitcnt vmcnt(0)
	v_lshl_add_u64 v[18:19], v[8:9], 0, v[6:7]
	v_lshl_add_u64 v[34:35], v[10:11], 0, v[6:7]
	global_load_dword v18, v[18:19], off offset:128
	s_nop 0
	global_load_dword v19, v[34:35], off offset:128
.LBB68_52:
	s_or_b64 exec, exec, s[16:17]
.LBB68_53:
	v_lshl_add_u64 v[34:35], s[28:29], 0, v[14:15]
	global_load_dword v33, v[34:35], off
.LBB68_54:
	s_waitcnt lgkmcnt(0)
	v_fma_f32 v34, v2, v20, 0
	s_waitcnt vmcnt(1)
	v_fma_f32 v20, v31, v20, 0
	v_fmac_f32_e32 v34, v3, v21
	s_waitcnt vmcnt(0)
	v_fmac_f32_e32 v20, v32, v21
	s_barrier
	ds_write2_b32 v24, v34, v20 offset1:16
	s_waitcnt lgkmcnt(0)
	s_barrier
	s_and_saveexec_b64 s[16:17], s[10:11]
	s_cbranch_execz .LBB68_56
; %bb.55:
	ds_read2_b32 v[20:21], v27 offset1:32
	ds_read2_b32 v[34:35], v27 offset0:64 offset1:96
	ds_read2_b32 v[36:37], v27 offset0:128 offset1:160
	;; [unrolled: 1-line block ×3, first 2 shown]
	v_add_u32_e32 v40, 0x400, v27
	s_waitcnt lgkmcnt(3)
	v_add_f32_e32 v20, 0, v20
	v_add_f32_e32 v20, v20, v21
	s_waitcnt lgkmcnt(2)
	v_add_f32_e32 v20, v20, v34
	v_add_f32_e32 v20, v20, v35
	s_waitcnt lgkmcnt(1)
	v_add_f32_e32 v34, v20, v36
	ds_read2_b32 v[20:21], v40 offset1:32
	v_add_f32_e32 v34, v34, v37
	s_waitcnt lgkmcnt(1)
	v_add_f32_e32 v34, v34, v38
	v_add_f32_e32 v36, v34, v39
	ds_read2_b32 v[34:35], v40 offset0:64 offset1:96
	s_waitcnt lgkmcnt(1)
	v_add_f32_e32 v20, v36, v20
	ds_read2_b32 v[36:37], v40 offset0:128 offset1:160
	v_add_f32_e32 v38, v20, v21
	ds_read2_b32 v[20:21], v40 offset0:192 offset1:224
	s_waitcnt lgkmcnt(2)
	v_add_f32_e32 v34, v38, v34
	v_add_f32_e32 v34, v34, v35
	s_waitcnt lgkmcnt(1)
	v_add_f32_e32 v34, v34, v36
	v_add_f32_e32 v34, v34, v37
	;; [unrolled: 3-line block ×3, first 2 shown]
	v_lshl_add_u64 v[20:21], v[4:5], 2, v[16:17]
	v_mul_f32_e32 v34, s33, v34
	global_atomic_add_f32 v[20:21], v34, off
	v_lshl_add_u64 v[16:17], v[16:17], 0, s[14:15]
.LBB68_56:
	s_or_b64 exec, exec, s[16:17]
	s_add_i32 s38, s38, -1
	s_add_u32 s28, s28, s4
	v_fmac_f32_e32 v29, v25, v2
	v_fmac_f32_e32 v28, v25, v3
	s_addc_u32 s29, s29, s5
	v_fmac_f32_e32 v29, v30, v31
	v_fmac_f32_e32 v28, v30, v32
	v_lshl_add_u64 v[8:9], v[8:9], 0, s[12:13]
	s_cmp_eq_u32 s38, 0
	v_lshl_add_u64 v[10:11], v[10:11], 0, s[12:13]
	s_cbranch_scc1 .LBB68_58
; %bb.57:
	v_mov_b32_e32 v25, v33
	v_mov_b64_e32 v[2:3], v[18:19]
	v_mov_b32_e32 v18, v31
	v_mov_b32_e32 v19, v32
	v_lshl_add_u64 v[20:21], s[28:29], 0, v[12:13]
	global_load_dword v30, v[20:21], off
	s_and_b64 vcc, exec, s[8:9]
	s_cbranch_vccnz .LBB68_34
	s_branch .LBB68_33
.LBB68_58:
	v_mov_b32_e32 v4, v1
.LBB68_59:
	v_lshlrev_b32_e32 v1, 2, v4
	ds_write_b32 v1, v29 offset:2048
	v_lshlrev_b32_e32 v1, 2, v23
	ds_write_b32 v1, v28 offset:2048
	s_waitcnt lgkmcnt(0)
	s_barrier
	s_and_saveexec_b64 s[0:1], s[10:11]
	s_cbranch_execz .LBB68_62
; %bb.60:
	s_cmp_lt_u32 s2, s39
	v_cmp_gt_i32_e32 vcc, s40, v22
	s_cselect_b64 s[0:1], -1, 0
	s_or_b64 s[0:1], vcc, s[0:1]
	s_and_b64 exec, exec, s[0:1]
	s_cbranch_execz .LBB68_62
; %bb.61:
	v_lshlrev_b32_e32 v1, 4, v22
	s_waitcnt vmcnt(0)
	v_add_u32_e32 v3, 1, v22
	v_add_u32_e32 v4, 2, v22
	v_add_u32_e32 v5, 3, v22
	v_add_u32_e32 v6, 4, v22
	v_add_u32_e32 v7, 5, v22
	v_add_u32_e32 v8, 6, v22
	v_add_u32_e32 v9, 7, v22
	v_or_b32_e32 v0, v0, v1
	v_and_or_b32 v3, v3, 15, v1
	v_and_or_b32 v4, v4, 15, v1
	v_and_or_b32 v5, v5, 15, v1
	v_and_or_b32 v6, v6, 15, v1
	v_and_or_b32 v7, v7, 15, v1
	v_and_or_b32 v8, v8, 15, v1
	v_and_or_b32 v9, v9, 15, v1
	v_lshlrev_b32_e32 v2, 2, v0
	v_lshlrev_b32_e32 v3, 2, v3
	;; [unrolled: 1-line block ×8, first 2 shown]
	ds_read_b32 v2, v2 offset:2048
	ds_read_b32 v3, v3 offset:2048
	;; [unrolled: 1-line block ×8, first 2 shown]
	s_waitcnt lgkmcnt(7)
	v_add_f32_e32 v2, 0, v2
	s_waitcnt lgkmcnt(6)
	v_add_f32_e32 v2, v2, v3
	;; [unrolled: 2-line block ×8, first 2 shown]
	v_add_u32_e32 v3, 9, v22
	v_add_u32_e32 v4, 10, v22
	v_add_u32_e32 v5, 11, v22
	v_add_u32_e32 v6, 12, v22
	v_add_u32_e32 v7, 13, v22
	v_add_u32_e32 v8, 14, v22
	v_add_u32_e32 v9, -1, v22
	v_xor_b32_e32 v0, 8, v0
	v_and_or_b32 v3, v3, 15, v1
	v_and_or_b32 v4, v4, 15, v1
	;; [unrolled: 1-line block ×7, first 2 shown]
	v_lshlrev_b32_e32 v0, 2, v0
	v_lshlrev_b32_e32 v3, 2, v3
	;; [unrolled: 1-line block ×8, first 2 shown]
	ds_read_b32 v0, v0 offset:2048
	ds_read_b32 v3, v3 offset:2048
	;; [unrolled: 1-line block ×8, first 2 shown]
	s_waitcnt lgkmcnt(7)
	v_add_f32_e32 v0, v2, v0
	s_waitcnt lgkmcnt(6)
	v_add_f32_e32 v0, v0, v3
	;; [unrolled: 2-line block ×3, first 2 shown]
	s_mul_i32 s0, s26, s23
	s_mul_hi_u32 s1, s26, s22
	s_waitcnt lgkmcnt(4)
	v_add_f32_e32 v0, v0, v5
	s_add_i32 s0, s1, s0
	s_mul_i32 s1, s27, s22
	s_waitcnt lgkmcnt(3)
	v_add_f32_e32 v0, v0, v6
	s_add_i32 s1, s0, s1
	s_mul_i32 s0, s26, s22
	s_waitcnt lgkmcnt(2)
	v_add_f32_e32 v0, v0, v7
	s_lshl_b64 s[0:1], s[0:1], 2
	s_waitcnt lgkmcnt(1)
	v_add_f32_e32 v0, v0, v8
	s_add_u32 s0, s3, s0
	s_waitcnt lgkmcnt(0)
	v_add_f32_e32 v4, v0, v1
	v_mad_u64_u32 v[0:1], s[2:3], v22, s22, 0
	v_mov_b32_e32 v2, v1
	v_mad_u64_u32 v[2:3], s[2:3], v22, s23, v[2:3]
	s_addc_u32 s1, s20, s1
	v_mov_b32_e32 v1, v2
	v_lshl_add_u64 v[0:1], v[0:1], 2, s[0:1]
	v_mul_f32_e32 v2, s33, v4
	global_atomic_add_f32 v[0:1], v2, off
.LBB68_62:
	s_endpgm
	.section	.rodata,"a",@progbits
	.p2align	6, 0x0
	.amdhsa_kernel _ZL62rocblas_symv_kernel_upper_double_buffered_non_diagonal_genericILi32ELi8ELi2ELi1E24rocblas_internal_val_ptrIfEPKfPfEvbiT3_lT4_lllS6_lllT5_lllii
		.amdhsa_group_segment_fixed_size 4224
		.amdhsa_private_segment_fixed_size 0
		.amdhsa_kernarg_size 384
		.amdhsa_user_sgpr_count 2
		.amdhsa_user_sgpr_dispatch_ptr 0
		.amdhsa_user_sgpr_queue_ptr 0
		.amdhsa_user_sgpr_kernarg_segment_ptr 1
		.amdhsa_user_sgpr_dispatch_id 0
		.amdhsa_user_sgpr_kernarg_preload_length 0
		.amdhsa_user_sgpr_kernarg_preload_offset 0
		.amdhsa_user_sgpr_private_segment_size 0
		.amdhsa_uses_dynamic_stack 0
		.amdhsa_enable_private_segment 0
		.amdhsa_system_sgpr_workgroup_id_x 1
		.amdhsa_system_sgpr_workgroup_id_y 1
		.amdhsa_system_sgpr_workgroup_id_z 1
		.amdhsa_system_sgpr_workgroup_info 0
		.amdhsa_system_vgpr_workitem_id 1
		.amdhsa_next_free_vgpr 41
		.amdhsa_next_free_sgpr 41
		.amdhsa_accum_offset 44
		.amdhsa_reserve_vcc 1
		.amdhsa_float_round_mode_32 0
		.amdhsa_float_round_mode_16_64 0
		.amdhsa_float_denorm_mode_32 3
		.amdhsa_float_denorm_mode_16_64 3
		.amdhsa_dx10_clamp 1
		.amdhsa_ieee_mode 1
		.amdhsa_fp16_overflow 0
		.amdhsa_tg_split 0
		.amdhsa_exception_fp_ieee_invalid_op 0
		.amdhsa_exception_fp_denorm_src 0
		.amdhsa_exception_fp_ieee_div_zero 0
		.amdhsa_exception_fp_ieee_overflow 0
		.amdhsa_exception_fp_ieee_underflow 0
		.amdhsa_exception_fp_ieee_inexact 0
		.amdhsa_exception_int_div_zero 0
	.end_amdhsa_kernel
	.section	.text._ZL62rocblas_symv_kernel_upper_double_buffered_non_diagonal_genericILi32ELi8ELi2ELi1E24rocblas_internal_val_ptrIfEPKfPfEvbiT3_lT4_lllS6_lllT5_lllii,"axG",@progbits,_ZL62rocblas_symv_kernel_upper_double_buffered_non_diagonal_genericILi32ELi8ELi2ELi1E24rocblas_internal_val_ptrIfEPKfPfEvbiT3_lT4_lllS6_lllT5_lllii,comdat
.Lfunc_end68:
	.size	_ZL62rocblas_symv_kernel_upper_double_buffered_non_diagonal_genericILi32ELi8ELi2ELi1E24rocblas_internal_val_ptrIfEPKfPfEvbiT3_lT4_lllS6_lllT5_lllii, .Lfunc_end68-_ZL62rocblas_symv_kernel_upper_double_buffered_non_diagonal_genericILi32ELi8ELi2ELi1E24rocblas_internal_val_ptrIfEPKfPfEvbiT3_lT4_lllS6_lllT5_lllii
                                        ; -- End function
	.section	.AMDGPU.csdata,"",@progbits
; Kernel info:
; codeLenInByte = 2940
; NumSgprs: 47
; NumVgprs: 41
; NumAgprs: 0
; TotalNumVgprs: 41
; ScratchSize: 0
; MemoryBound: 0
; FloatMode: 240
; IeeeMode: 1
; LDSByteSize: 4224 bytes/workgroup (compile time only)
; SGPRBlocks: 5
; VGPRBlocks: 5
; NumSGPRsForWavesPerEU: 47
; NumVGPRsForWavesPerEU: 41
; AccumOffset: 44
; Occupancy: 8
; WaveLimiterHint : 0
; COMPUTE_PGM_RSRC2:SCRATCH_EN: 0
; COMPUTE_PGM_RSRC2:USER_SGPR: 2
; COMPUTE_PGM_RSRC2:TRAP_HANDLER: 0
; COMPUTE_PGM_RSRC2:TGID_X_EN: 1
; COMPUTE_PGM_RSRC2:TGID_Y_EN: 1
; COMPUTE_PGM_RSRC2:TGID_Z_EN: 1
; COMPUTE_PGM_RSRC2:TIDIG_COMP_CNT: 1
; COMPUTE_PGM_RSRC3_GFX90A:ACCUM_OFFSET: 10
; COMPUTE_PGM_RSRC3_GFX90A:TG_SPLIT: 0
	.section	.text._ZL26rocblas_hemvn_kernel_upperILb0ELi64ELi4ELi33ELi32ELi16ElPKfS1_PfEviT6_lT7_lT5_lS4_lS5_lS3_lT8_i,"axG",@progbits,_ZL26rocblas_hemvn_kernel_upperILb0ELi64ELi4ELi33ELi32ELi16ElPKfS1_PfEviT6_lT7_lT5_lS4_lS5_lS3_lT8_i,comdat
	.globl	_ZL26rocblas_hemvn_kernel_upperILb0ELi64ELi4ELi33ELi32ELi16ElPKfS1_PfEviT6_lT7_lT5_lS4_lS5_lS3_lT8_i ; -- Begin function _ZL26rocblas_hemvn_kernel_upperILb0ELi64ELi4ELi33ELi32ELi16ElPKfS1_PfEviT6_lT7_lT5_lS4_lS5_lS3_lT8_i
	.p2align	8
	.type	_ZL26rocblas_hemvn_kernel_upperILb0ELi64ELi4ELi33ELi32ELi16ElPKfS1_PfEviT6_lT7_lT5_lS4_lS5_lS3_lT8_i,@function
_ZL26rocblas_hemvn_kernel_upperILb0ELi64ELi4ELi33ELi32ELi16ElPKfS1_PfEviT6_lT7_lT5_lS4_lS5_lS3_lT8_i: ; @_ZL26rocblas_hemvn_kernel_upperILb0ELi64ELi4ELi33ELi32ELi16ElPKfS1_PfEviT6_lT7_lT5_lS4_lS5_lS3_lT8_i
; %bb.0:
	s_load_dwordx2 s[6:7], s[0:1], 0x84
	s_add_u32 s4, s0, 0x78
	s_addc_u32 s5, s1, 0
	s_waitcnt lgkmcnt(0)
	s_lshr_b32 s8, s6, 16
	s_and_b32 s6, s6, 0xffff
	s_and_b32 s7, s7, 0xffff
	s_mul_i32 s6, s8, s6
	s_mul_i32 s6, s6, s7
	s_cmpk_lg_i32 s6, 0x100
	s_cbranch_scc1 .LBB69_126
; %bb.1:
	s_load_dwordx16 s[8:23], s[0:1], 0x8
	s_load_dwordx8 s[24:31], s[0:1], 0x48
	s_waitcnt lgkmcnt(0)
	s_mul_i32 s7, s3, s11
	s_mul_hi_u32 s11, s3, s10
	s_mul_i32 s6, s3, s10
	s_add_i32 s7, s11, s7
	s_lshl_b64 s[6:7], s[6:7], 2
	s_add_u32 s6, s8, s6
	s_addc_u32 s7, s9, s7
	s_mul_i32 s10, s3, s31
	s_load_dword s8, s[6:7], 0x0
	s_mul_hi_u32 s6, s3, s30
	s_add_i32 s7, s6, s10
	s_mul_i32 s6, s3, s30
	s_lshl_b64 s[6:7], s[6:7], 2
	s_add_u32 s6, s28, s6
	s_addc_u32 s7, s29, s7
	s_load_dword s9, s[6:7], 0x0
	s_waitcnt lgkmcnt(0)
	v_cmp_eq_f32_e64 s[6:7], s8, 0
	v_cmp_eq_f32_e64 s[8:9], s9, 1.0
	s_and_b64 s[8:9], s[6:7], s[8:9]
	s_and_b64 vcc, exec, s[8:9]
	s_cbranch_vccnz .LBB69_126
; %bb.2:
	s_and_b64 vcc, exec, s[6:7]
	s_cbranch_vccnz .LBB69_126
; %bb.3:
	s_load_dword s33, s[4:5], 0x0
	s_load_dwordx2 s[28:29], s[0:1], 0x68
	s_load_dword s37, s[0:1], 0x0
	s_mul_i32 s0, s3, s27
	s_mul_hi_u32 s1, s3, s26
	s_add_i32 s1, s1, s0
	s_mul_i32 s0, s3, s26
	s_lshl_b64 s[0:1], s[0:1], 2
	s_add_u32 s4, s20, s0
	s_addc_u32 s5, s21, s1
	s_lshl_b64 s[0:1], s[22:23], 2
	s_add_u32 s0, s4, s0
	s_addc_u32 s1, s5, s1
	s_waitcnt lgkmcnt(0)
	s_ashr_i32 s38, s37, 31
	s_lshr_b32 s5, s38, 26
	v_and_b32_e32 v52, 0x3ff, v0
	s_lshl_b32 s22, s2, 6
	s_add_i32 s5, s37, s5
	s_andn2_b32 s5, s5, 63
	v_add_u32_e32 v4, s22, v52
	s_add_i32 s4, s33, -1
	s_sub_i32 s36, s37, s5
	v_ashrrev_i32_e32 v5, 31, v4
	v_bfe_u32 v53, v0, 10, 10
	s_cmp_eq_u32 s2, s4
	v_mul_lo_u32 v2, v5, s24
	v_mul_lo_u32 v3, v4, s25
	v_mad_u64_u32 v[0:1], s[4:5], v4, s24, 0
	v_add3_u32 v1, v1, v3, v2
	s_cselect_b32 s20, s36, 0
	v_lshl_add_u64 v[6:7], v[0:1], 2, s[0:1]
	v_cmp_eq_u32_e64 s[0:1], 0, v53
	s_and_saveexec_b64 s[4:5], s[0:1]
	s_cbranch_execz .LBB69_7
; %bb.4:
	s_cmp_eq_u32 s20, 0
	s_cselect_b64 s[6:7], -1, 0
	v_cmp_gt_i32_e32 vcc, s20, v52
	s_or_b64 s[8:9], s[6:7], vcc
	v_mov_b32_e32 v0, 0
	s_and_saveexec_b64 s[6:7], s[8:9]
	s_cbranch_execz .LBB69_6
; %bb.5:
	global_load_dword v0, v[6:7], off
.LBB69_6:
	s_or_b64 exec, exec, s[6:7]
	v_lshlrev_b32_e32 v1, 2, v52
	s_waitcnt vmcnt(0)
	ds_write_b32 v1, v0 offset:4544
.LBB69_7:
	s_or_b64 exec, exec, s[4:5]
	s_mul_i32 s4, s3, s19
	s_mul_hi_u32 s5, s3, s18
	s_add_i32 s5, s5, s4
	s_mul_i32 s4, s3, s18
	s_lshl_b64 s[4:5], s[4:5], 2
	s_add_u32 s6, s12, s4
	s_addc_u32 s7, s13, s5
	s_lshl_b64 s[4:5], s[14:15], 2
	s_add_u32 s6, s6, s4
	s_addc_u32 s7, s7, s5
	s_ashr_i32 s23, s22, 31
	v_lshl_add_u32 v16, v53, 6, v52
	s_lshl_b64 s[4:5], s[22:23], 2
	v_and_b32_e32 v0, 31, v52
	v_lshrrev_b32_e32 v17, 5, v16
	s_add_u32 s6, s6, s4
	v_mov_b32_e32 v1, 0
	s_addc_u32 s7, s7, s5
	v_mad_u64_u32 v[8:9], s[4:5], v17, s16, v[0:1]
	v_mov_b32_e32 v2, v9
	v_mad_u64_u32 v[2:3], s[4:5], v17, s17, v[2:3]
	s_mul_i32 s4, s22, s17
	s_mul_hi_u32 s5, s22, s16
	s_add_i32 s4, s5, s4
	s_mul_i32 s5, s23, s16
	s_add_i32 s5, s4, s5
	s_mul_i32 s4, s22, s16
	s_lshl_b64 s[4:5], s[4:5], 2
	s_add_u32 s4, s4, s6
	s_addc_u32 s5, s5, s7
	s_cmp_eq_u32 s20, 0
	s_cselect_b64 s[18:19], -1, 0
	s_cmp_lg_u32 s20, 0
	v_mov_b32_e32 v9, v2
	s_cselect_b64 s[26:27], -1, 0
	v_lshl_add_u64 v[12:13], v[8:9], 2, s[4:5]
	s_and_b64 vcc, exec, s[26:27]
	v_cmp_gt_i32_e64 s[4:5], s20, v0
	v_lshlrev_b32_e32 v2, 2, v0
	s_mul_i32 s39, s17, 0x60
	s_cbranch_vccz .LBB69_17
; %bb.8:
	v_sub_co_u32_e32 v10, vcc, v12, v2
	s_ashr_i32 s21, s20, 31
	s_nop 0
	v_subbrev_co_u32_e32 v11, vcc, 0, v13, vcc
	v_lshl_add_u64 v[10:11], s[20:21], 2, v[10:11]
	v_lshl_add_u64 v[10:11], v[10:11], 0, -4
	v_cndmask_b32_e64 v11, v11, v13, s[4:5]
	v_cndmask_b32_e64 v10, v10, v12, s[4:5]
	v_cmp_gt_i32_e32 vcc, s20, v17
	s_and_saveexec_b64 s[6:7], vcc
	s_cbranch_execz .LBB69_10
; %bb.9:
	global_load_dword v1, v[10:11], off
.LBB69_10:
	s_or_b64 exec, exec, s[6:7]
	v_mul_u32_u24_e32 v3, 33, v17
	v_add_lshl_u32 v14, v3, v0, 2
	s_waitcnt vmcnt(0)
	ds_write_b32 v14, v1
	v_add_u32_e32 v1, 8, v17
	v_cmp_gt_i32_e32 vcc, s20, v1
	v_mov_b32_e32 v1, 0
	v_mov_b32_e32 v3, 0
	s_and_saveexec_b64 s[6:7], vcc
	s_cbranch_execz .LBB69_12
; %bb.11:
	s_lshl_b64 s[8:9], s[16:17], 5
	v_lshl_add_u64 v[18:19], v[10:11], 0, s[8:9]
	global_load_dword v3, v[18:19], off
.LBB69_12:
	s_or_b64 exec, exec, s[6:7]
	s_waitcnt vmcnt(0)
	ds_write_b32 v14, v3 offset:1056
	v_add_u32_e32 v3, 16, v17
	v_cmp_gt_i32_e32 vcc, s20, v3
	s_and_saveexec_b64 s[6:7], vcc
	s_cbranch_execz .LBB69_14
; %bb.13:
	s_lshl_b64 s[8:9], s[16:17], 6
	v_lshl_add_u64 v[18:19], v[10:11], 0, s[8:9]
	global_load_dword v1, v[18:19], off
.LBB69_14:
	s_or_b64 exec, exec, s[6:7]
	s_waitcnt vmcnt(0)
	ds_write_b32 v14, v1 offset:2112
	v_add_u32_e32 v1, 24, v17
	v_cmp_gt_i32_e32 vcc, s20, v1
	v_mov_b32_e32 v3, 0
	v_mov_b32_e32 v1, 0
	s_and_saveexec_b64 s[6:7], vcc
	s_cbranch_execz .LBB69_16
; %bb.15:
	v_mov_b32_e32 v1, 0x60
	v_mad_u64_u32 v[18:19], s[8:9], s16, v1, v[10:11]
	v_add_u32_e32 v19, s39, v19
	global_load_dword v1, v[18:19], off
.LBB69_16:
	s_or_b64 exec, exec, s[6:7]
	v_lshl_add_u64 v[10:11], v[10:11], 0, v[2:3]
	s_lshl_b64 s[6:7], s[20:21], 2
	s_waitcnt vmcnt(0)
	ds_write_b32 v14, v1 offset:3168
	v_mov_b32_e32 v1, s7
	v_subrev_co_u32_e32 v10, vcc, s6, v10
	s_nop 1
	v_subb_co_u32_e32 v11, vcc, v11, v1, vcc
	v_lshl_add_u64 v[10:11], v[10:11], 0, 4
	v_cndmask_b32_e64 v11, v11, v13, s[4:5]
	v_cndmask_b32_e64 v10, v10, v12, s[4:5]
	v_mul_u32_u24_e32 v1, 33, v17
	s_branch .LBB69_19
.LBB69_17:
                                        ; implicit-def: $vgpr10_vgpr11
	v_mul_u32_u24_e32 v1, 33, v17
	s_cbranch_execz .LBB69_19
; %bb.18:
	s_lshl_b64 s[4:5], s[16:17], 5
	v_lshl_add_u64 v[10:11], v[12:13], 0, s[4:5]
	global_load_dword v3, v[12:13], off
	global_load_dword v14, v[10:11], off
	v_lshl_add_u64 v[10:11], v[10:11], 0, s[4:5]
	global_load_dword v15, v[10:11], off
	v_mov_b32_e32 v10, 0x60
	v_mad_u64_u32 v[10:11], s[4:5], s16, v10, v[12:13]
	v_add_u32_e32 v11, s39, v11
	global_load_dword v10, v[10:11], off
	v_add_lshl_u32 v11, v1, v0, 2
	s_waitcnt vmcnt(3)
	ds_write_b32 v11, v3
	s_waitcnt vmcnt(2)
	ds_write_b32 v11, v14 offset:1056
	s_waitcnt vmcnt(1)
	ds_write_b32 v11, v15 offset:2112
	;; [unrolled: 2-line block ×3, first 2 shown]
	v_mov_b64_e32 v[10:11], v[12:13]
.LBB69_19:
	v_lshlrev_b32_e32 v18, 2, v17
	v_mul_u32_u24_e32 v19, 33, v0
	v_cmp_gt_u32_e64 s[4:5], v18, v0
	v_add_lshl_u32 v25, v18, v19, 2
	s_waitcnt lgkmcnt(0)
	s_barrier
	s_and_saveexec_b64 s[6:7], s[4:5]
	s_cbranch_execz .LBB69_21
; %bb.20:
	v_mul_u32_u24_e32 v3, 0x84, v17
	v_add_lshl_u32 v3, v3, v0, 2
	ds_read_b32 v3, v3
	s_waitcnt lgkmcnt(0)
	ds_write_b32 v25, v3
.LBB69_21:
	s_or_b64 exec, exec, s[6:7]
	v_cmp_ge_u32_e64 s[6:7], v18, v0
	s_and_saveexec_b64 s[8:9], s[6:7]
	s_cbranch_execz .LBB69_23
; %bb.22:
	v_or_b32_e32 v3, 1, v18
	v_mul_u32_u24_e32 v3, 33, v3
	v_add_lshl_u32 v3, v3, v0, 2
	ds_read_b32 v3, v3
	s_waitcnt lgkmcnt(0)
	ds_write_b32 v25, v3 offset:4
.LBB69_23:
	s_or_b64 exec, exec, s[8:9]
	v_or_b32_e32 v3, 2, v18
	v_cmp_gt_u32_e64 s[8:9], v3, v0
	s_and_saveexec_b64 s[10:11], s[8:9]
	s_cbranch_execz .LBB69_25
; %bb.24:
	v_mul_u32_u24_e32 v3, 33, v3
	v_add_lshl_u32 v3, v3, v0, 2
	ds_read_b32 v3, v3
	s_waitcnt lgkmcnt(0)
	ds_write_b32 v25, v3 offset:8
.LBB69_25:
	s_or_b64 exec, exec, s[10:11]
	v_or_b32_e32 v3, 3, v18
	v_cmp_gt_u32_e64 s[10:11], v3, v0
	v_mad_u32_u24 v3, v3, 33, v0
	v_lshlrev_b32_e32 v22, 2, v3
	s_and_saveexec_b64 s[12:13], s[10:11]
	s_cbranch_execz .LBB69_27
; %bb.26:
	ds_read_b32 v3, v22
	s_waitcnt lgkmcnt(0)
	ds_write_b32 v25, v3 offset:12
.LBB69_27:
	s_or_b64 exec, exec, s[12:13]
	v_mul_u32_u24_e32 v3, 0x84, v17
	v_add_u32_e32 v24, 0xfffffef8, v22
	s_waitcnt lgkmcnt(0)
	s_barrier
	v_add_lshl_u32 v23, v3, v0, 2
	v_lshlrev_b32_e32 v26, 2, v18
	ds_read2_b32 v[20:21], v24 offset1:33
	ds_read_b32 v28, v23
	ds_read_b128 v[12:15], v26 offset:4544
	ds_read_b32 v31, v22
	v_cmp_gt_u32_e64 s[12:13], 32, v16
	s_waitcnt lgkmcnt(3)
	v_mov_b32_e32 v29, v20
	v_mov_b32_e32 v30, v21
	s_waitcnt lgkmcnt(1)
	v_pk_mul_f32 v[12:13], v[28:29], v[12:13]
	v_add_lshl_u32 v21, v17, v19, 2
	v_add_f32_e32 v3, 0, v12
	v_add_f32_e32 v3, v3, v13
	s_waitcnt lgkmcnt(0)
	v_pk_mul_f32 v[12:13], v[30:31], v[14:15]
	v_mov_b32_e32 v54, 0
	v_add_f32_e32 v3, v3, v12
	v_add_f32_e32 v3, v3, v13
	v_lshlrev_b32_e32 v20, 2, v19
	s_barrier
	ds_write_b32 v21, v3
	s_waitcnt lgkmcnt(0)
	s_barrier
	s_and_saveexec_b64 s[14:15], s[12:13]
	s_cbranch_execz .LBB69_29
; %bb.28:
	ds_read2_b32 v[12:13], v20 offset1:1
	ds_read2_b32 v[14:15], v20 offset0:2 offset1:3
	ds_read2_b32 v[28:29], v20 offset0:4 offset1:5
	;; [unrolled: 1-line block ×3, first 2 shown]
	s_waitcnt lgkmcnt(3)
	v_add_f32_e32 v3, v12, v13
	s_waitcnt lgkmcnt(2)
	v_add_f32_e32 v3, v3, v14
	v_add_f32_e32 v3, v3, v15
	s_waitcnt lgkmcnt(1)
	v_add_f32_e32 v3, v3, v28
	v_add_f32_e32 v3, v3, v29
	s_waitcnt lgkmcnt(0)
	v_add_f32_e32 v3, v3, v30
	v_add_f32_e32 v54, v3, v31
.LBB69_29:
	s_or_b64 exec, exec, s[14:15]
	s_lshl_b64 s[14:15], s[16:17], 7
	v_lshl_add_u64 v[14:15], v[10:11], 0, s[14:15]
	s_mov_b64 s[14:15], 0x80
	s_lshl_b64 s[30:31], s[16:17], 5
	v_lshl_add_u64 v[12:13], v[14:15], 0, s[14:15]
	s_and_b64 vcc, exec, s[26:27]
	s_barrier
	s_cbranch_vccz .LBB69_39
; %bb.30:
	v_sub_co_u32_e32 v10, vcc, v12, v2
	s_ashr_i32 s21, s20, 31
	s_nop 0
	v_subbrev_co_u32_e32 v11, vcc, 0, v13, vcc
	s_movk_i32 s14, 0xff7c
	v_or_b32_e32 v3, 32, v0
	v_lshl_add_u64 v[10:11], s[20:21], 2, v[10:11]
	s_mov_b32 s15, -1
	v_lshl_add_u64 v[10:11], v[10:11], 0, s[14:15]
	v_cmp_gt_i32_e32 vcc, s20, v3
	s_sub_i32 s40, s20, 32
	v_mov_b32_e32 v27, 0
	v_cndmask_b32_e32 v11, v11, v13, vcc
	v_cndmask_b32_e32 v10, v10, v12, vcc
	v_cmp_gt_i32_e64 s[14:15], s40, v17
	v_mov_b32_e32 v28, 0
	s_and_saveexec_b64 s[34:35], s[14:15]
	s_cbranch_execz .LBB69_32
; %bb.31:
	global_load_dword v28, v[10:11], off
.LBB69_32:
	s_or_b64 exec, exec, s[34:35]
	v_add_lshl_u32 v3, v1, v0, 2
	s_waitcnt vmcnt(0)
	ds_write_b32 v3, v28
	v_add_u32_e32 v28, 8, v17
	v_cmp_gt_i32_e64 s[14:15], s40, v28
	s_and_saveexec_b64 s[34:35], s[14:15]
	s_cbranch_execz .LBB69_34
; %bb.33:
	v_lshl_add_u64 v[28:29], v[10:11], 0, s[30:31]
	global_load_dword v27, v[28:29], off
.LBB69_34:
	s_or_b64 exec, exec, s[34:35]
	s_waitcnt vmcnt(0)
	ds_write_b32 v3, v27 offset:1056
	v_add_u32_e32 v27, 16, v17
	v_cmp_gt_i32_e64 s[14:15], s40, v27
	v_mov_b32_e32 v27, 0
	v_mov_b32_e32 v28, 0
	s_and_saveexec_b64 s[34:35], s[14:15]
	s_cbranch_execz .LBB69_36
; %bb.35:
	s_lshl_b64 s[14:15], s[16:17], 6
	v_lshl_add_u64 v[28:29], v[10:11], 0, s[14:15]
	global_load_dword v28, v[28:29], off
.LBB69_36:
	s_or_b64 exec, exec, s[34:35]
	s_waitcnt vmcnt(0)
	ds_write_b32 v3, v28 offset:2112
	v_add_u32_e32 v28, 24, v17
	v_cmp_gt_i32_e64 s[14:15], s40, v28
	s_and_saveexec_b64 s[34:35], s[14:15]
	s_cbranch_execz .LBB69_38
; %bb.37:
	v_mov_b32_e32 v27, 0x60
	v_mad_u64_u32 v[28:29], s[14:15], s16, v27, v[10:11]
	v_add_u32_e32 v29, s39, v29
	global_load_dword v27, v[28:29], off
.LBB69_38:
	s_or_b64 exec, exec, s[34:35]
	s_waitcnt vmcnt(0)
	ds_write_b32 v3, v27 offset:3168
	v_mov_b32_e32 v3, 0
	v_lshl_add_u64 v[10:11], v[10:11], 0, v[2:3]
	s_lshl_b64 s[14:15], s[20:21], 2
	v_mov_b32_e32 v3, s15
	v_subrev_co_u32_e64 v10, s[14:15], s14, v10
	s_nop 1
	v_subb_co_u32_e64 v11, s[14:15], v11, v3, s[14:15]
	s_mov_b64 s[14:15], 0x84
	s_nop 0
	v_lshl_add_u64 v[10:11], v[10:11], 0, s[14:15]
	v_cndmask_b32_e32 v11, v11, v13, vcc
	v_cndmask_b32_e32 v10, v10, v12, vcc
	s_branch .LBB69_41
.LBB69_39:
                                        ; implicit-def: $vgpr10_vgpr11
	s_cbranch_execz .LBB69_41
; %bb.40:
	v_mov_b32_e32 v3, 0x60
	v_lshl_add_u64 v[10:11], v[14:15], 0, s[30:31]
	v_mad_u64_u32 v[30:31], s[14:15], s16, v3, v[14:15]
	v_lshl_add_u64 v[28:29], v[10:11], 0, s[30:31]
	v_add_u32_e32 v31, s39, v31
	global_load_dword v3, v[14:15], off offset:128
	global_load_dword v27, v[10:11], off offset:128
	;; [unrolled: 1-line block ×4, first 2 shown]
	v_add_lshl_u32 v10, v1, v0, 2
	s_waitcnt vmcnt(3)
	ds_write_b32 v10, v3
	s_waitcnt vmcnt(2)
	ds_write_b32 v10, v27 offset:1056
	s_waitcnt vmcnt(1)
	ds_write_b32 v10, v32 offset:2112
	;; [unrolled: 2-line block ×3, first 2 shown]
	v_mov_b64_e32 v[10:11], v[12:13]
.LBB69_41:
	s_waitcnt lgkmcnt(0)
	s_barrier
	s_and_saveexec_b64 s[14:15], s[4:5]
	s_cbranch_execnz .LBB69_58
; %bb.42:
	s_or_b64 exec, exec, s[14:15]
	s_and_saveexec_b64 s[4:5], s[6:7]
	s_cbranch_execnz .LBB69_59
.LBB69_43:
	s_or_b64 exec, exec, s[4:5]
	s_and_saveexec_b64 s[4:5], s[8:9]
	s_cbranch_execnz .LBB69_60
.LBB69_44:
	s_or_b64 exec, exec, s[4:5]
	v_add_u32_e32 v26, 0x11c0, v26
	s_and_saveexec_b64 s[4:5], s[10:11]
	s_cbranch_execz .LBB69_46
.LBB69_45:
	ds_read_b32 v3, v22
	s_waitcnt lgkmcnt(0)
	ds_write_b32 v25, v3 offset:12
.LBB69_46:
	s_or_b64 exec, exec, s[4:5]
	s_waitcnt lgkmcnt(0)
	s_barrier
	ds_read_b32 v3, v23
	ds_read_b128 v[12:15], v26 offset:128
	ds_read2_b32 v[28:29], v24 offset1:33
	ds_read_b32 v25, v22
	v_cmp_eq_u32_e64 s[4:5], 1, v17
	s_waitcnt lgkmcnt(0)
	v_fma_f32 v3, v3, v12, 0
	v_fmac_f32_e32 v3, v28, v13
	v_fmac_f32_e32 v3, v29, v14
	;; [unrolled: 1-line block ×3, first 2 shown]
	s_barrier
	ds_write_b32 v21, v3
	s_waitcnt lgkmcnt(0)
	s_barrier
	s_and_saveexec_b64 s[6:7], s[4:5]
	s_cbranch_execz .LBB69_48
; %bb.47:
	ds_read2_b32 v[12:13], v20 offset1:1
	ds_read2_b32 v[14:15], v20 offset0:2 offset1:3
	ds_read2_b32 v[28:29], v20 offset0:4 offset1:5
	;; [unrolled: 1-line block ×3, first 2 shown]
	s_waitcnt lgkmcnt(3)
	v_add_f32_e32 v3, v12, v13
	s_waitcnt lgkmcnt(2)
	v_add_f32_e32 v3, v3, v14
	v_add_f32_e32 v3, v3, v15
	s_waitcnt lgkmcnt(1)
	v_add_f32_e32 v3, v3, v28
	;; [unrolled: 3-line block ×3, first 2 shown]
	v_add_f32_e32 v54, v3, v31
.LBB69_48:
	s_or_b64 exec, exec, s[6:7]
	s_movk_i32 s6, 0xff80
	s_mov_b32 s7, -1
	v_lshl_add_u64 v[12:13], v[10:11], 0, s[6:7]
	s_and_b64 vcc, exec, s[26:27]
	s_barrier
	s_cbranch_vccz .LBB69_61
; %bb.49:
	v_sub_co_u32_e32 v14, vcc, v10, v2
	s_ashr_i32 s21, s20, 31
	s_nop 0
	v_subbrev_co_u32_e32 v15, vcc, 0, v11, vcc
	s_movk_i32 s6, 0xff7c
	v_lshl_add_u64 v[14:15], s[20:21], 2, v[14:15]
	s_mov_b32 s7, -1
	v_lshl_add_u64 v[14:15], v[14:15], 0, s[6:7]
	v_cmp_gt_i32_e32 vcc, s20, v0
	s_sub_i32 s10, s20, 32
	v_mov_b32_e32 v27, 0
	v_cndmask_b32_e32 v15, v15, v13, vcc
	v_cndmask_b32_e32 v14, v14, v12, vcc
	v_cmp_gt_i32_e64 s[6:7], s10, v17
	v_mov_b32_e32 v25, 0
	s_and_saveexec_b64 s[8:9], s[6:7]
	s_cbranch_execz .LBB69_51
; %bb.50:
	global_load_dword v25, v[14:15], off
.LBB69_51:
	s_or_b64 exec, exec, s[8:9]
	v_add_lshl_u32 v3, v1, v0, 2
	s_waitcnt vmcnt(0)
	ds_write_b32 v3, v25
	v_add_u32_e32 v25, 8, v17
	v_cmp_gt_i32_e64 s[6:7], s10, v25
	s_and_saveexec_b64 s[8:9], s[6:7]
	s_cbranch_execz .LBB69_53
; %bb.52:
	v_lshl_add_u64 v[28:29], v[14:15], 0, s[30:31]
	global_load_dword v27, v[28:29], off
.LBB69_53:
	s_or_b64 exec, exec, s[8:9]
	s_waitcnt vmcnt(0)
	ds_write_b32 v3, v27 offset:1056
	v_add_u32_e32 v27, 16, v17
	v_cmp_gt_i32_e64 s[6:7], s10, v27
	v_mov_b32_e32 v29, 0
	v_mov_b32_e32 v28, 0
	s_and_saveexec_b64 s[8:9], s[6:7]
	s_cbranch_execz .LBB69_55
; %bb.54:
	s_lshl_b64 s[6:7], s[16:17], 6
	v_lshl_add_u64 v[30:31], v[14:15], 0, s[6:7]
	global_load_dword v28, v[30:31], off
.LBB69_55:
	s_or_b64 exec, exec, s[8:9]
	s_waitcnt vmcnt(0)
	ds_write_b32 v3, v28 offset:2112
	v_add_u32_e32 v28, 24, v17
	v_cmp_gt_i32_e64 s[6:7], s10, v28
	s_and_saveexec_b64 s[8:9], s[6:7]
	s_cbranch_execz .LBB69_57
; %bb.56:
	v_mov_b32_e32 v29, 0x60
	v_mad_u64_u32 v[30:31], s[6:7], s16, v29, v[14:15]
	v_add_u32_e32 v31, s39, v31
	global_load_dword v29, v[30:31], off
.LBB69_57:
	s_or_b64 exec, exec, s[8:9]
	s_waitcnt vmcnt(0)
	ds_write_b32 v3, v29 offset:3168
	v_mov_b32_e32 v3, 0
	v_lshl_add_u64 v[2:3], v[14:15], 0, v[2:3]
	s_lshl_b64 s[6:7], s[20:21], 2
	v_mov_b32_e32 v14, s7
	v_subrev_co_u32_e64 v2, s[6:7], s6, v2
	s_nop 1
	v_subb_co_u32_e64 v3, s[6:7], v3, v14, s[6:7]
	v_lshl_add_u64 v[2:3], v[2:3], 0, 4
	v_cndmask_b32_e32 v37, v3, v13, vcc
	v_cndmask_b32_e32 v36, v2, v12, vcc
	s_branch .LBB69_63
.LBB69_58:
	ds_read_b32 v3, v23
	s_waitcnt lgkmcnt(0)
	ds_write_b32 v25, v3
	s_or_b64 exec, exec, s[14:15]
	s_and_saveexec_b64 s[4:5], s[6:7]
	s_cbranch_execz .LBB69_43
.LBB69_59:
	ds_read_b32 v3, v24
	s_waitcnt lgkmcnt(0)
	ds_write_b32 v25, v3 offset:4
	s_or_b64 exec, exec, s[4:5]
	s_and_saveexec_b64 s[4:5], s[8:9]
	s_cbranch_execz .LBB69_44
.LBB69_60:
	ds_read_b32 v3, v24 offset:132
	s_waitcnt lgkmcnt(0)
	ds_write_b32 v25, v3 offset:8
	s_or_b64 exec, exec, s[4:5]
	v_add_u32_e32 v26, 0x11c0, v26
	s_and_saveexec_b64 s[4:5], s[10:11]
	s_cbranch_execnz .LBB69_45
	s_branch .LBB69_46
.LBB69_61:
                                        ; implicit-def: $vgpr36_vgpr37
                                        ; implicit-def: $vgpr25
                                        ; implicit-def: $vgpr27
                                        ; implicit-def: $vgpr28
	s_cbranch_execz .LBB69_63
; %bb.62:
	v_lshl_add_u64 v[2:3], v[10:11], 0, s[30:31]
	v_lshl_add_u64 v[14:15], v[2:3], 0, s[30:31]
	global_load_dword v29, v[2:3], off offset:-128
	global_load_dword v30, v[14:15], off offset:-128
	v_mov_b32_e32 v2, 0x60
	global_load_dword v14, v[10:11], off offset:-128
	v_mad_u64_u32 v[2:3], s[6:7], s16, v2, v[10:11]
	v_add_u32_e32 v3, s39, v3
	global_load_dword v2, v[2:3], off offset:-128
	v_add_lshl_u32 v0, v1, v0, 2
	v_add_u32_e32 v25, 8, v17
	v_add_u32_e32 v27, 16, v17
	;; [unrolled: 1-line block ×3, first 2 shown]
	v_mov_b64_e32 v[36:37], v[12:13]
	s_waitcnt vmcnt(1)
	ds_write_b32 v0, v14
	ds_write_b32 v0, v29 offset:1056
	ds_write_b32 v0, v30 offset:2112
	s_waitcnt vmcnt(0)
	ds_write_b32 v0, v2 offset:3168
.LBB69_63:
	v_add_lshl_u32 v13, v25, v19, 2
	v_lshlrev_b32_e32 v14, 2, v25
	v_add_lshl_u32 v15, v27, v19, 2
	v_lshlrev_b32_e32 v17, 2, v27
	;; [unrolled: 2-line block ×3, first 2 shown]
	s_waitcnt lgkmcnt(0)
	s_barrier
	ds_read_b32 v18, v18 offset:4544
	ds_read_b32 v12, v23
	ds_read_b32 v23, v21
	ds_read_b128 v[0:3], v26 offset:128
	ds_read2_b32 v[10:11], v24 offset1:33
	ds_read_b32 v24, v13
	ds_read_b32 v14, v14 offset:4544
	ds_read_b32 v15, v15
	ds_read_b32 v17, v17 offset:4544
	;; [unrolled: 2-line block ×3, first 2 shown]
	ds_read_b32 v13, v22
	s_waitcnt lgkmcnt(9)
	v_fma_f32 v18, v23, v18, 0
	s_waitcnt lgkmcnt(5)
	v_fmac_f32_e32 v18, v24, v14
	s_waitcnt lgkmcnt(3)
	v_fmac_f32_e32 v18, v15, v17
	;; [unrolled: 2-line block ×3, first 2 shown]
	s_waitcnt lgkmcnt(0)
	s_barrier
	ds_write_b32 v21, v18
	s_waitcnt lgkmcnt(0)
	s_barrier
	s_and_saveexec_b64 s[6:7], s[4:5]
	s_cbranch_execz .LBB69_65
; %bb.64:
	ds_read2_b32 v[14:15], v20 offset1:1
	ds_read2_b32 v[18:19], v20 offset0:2 offset1:3
	ds_read2_b32 v[22:23], v20 offset0:4 offset1:5
	;; [unrolled: 1-line block ×3, first 2 shown]
	s_waitcnt lgkmcnt(3)
	v_add_f32_e32 v14, v54, v14
	v_add_f32_e32 v14, v14, v15
	s_waitcnt lgkmcnt(2)
	v_add_f32_e32 v14, v14, v18
	v_add_f32_e32 v14, v14, v19
	;; [unrolled: 3-line block ×4, first 2 shown]
.LBB69_65:
	s_or_b64 exec, exec, s[6:7]
	v_fma_f32 v0, v12, v0, 0
	v_fmac_f32_e32 v0, v10, v1
	v_fmac_f32_e32 v0, v11, v2
	;; [unrolled: 1-line block ×3, first 2 shown]
	s_barrier
	ds_write_b32 v21, v0
	s_waitcnt lgkmcnt(0)
	s_barrier
	s_and_saveexec_b64 s[4:5], s[12:13]
	s_cbranch_execz .LBB69_67
; %bb.66:
	ds_read2_b32 v[0:1], v20 offset1:1
	ds_read2_b32 v[2:3], v20 offset0:2 offset1:3
	ds_read2_b32 v[10:11], v20 offset0:4 offset1:5
	;; [unrolled: 1-line block ×3, first 2 shown]
	s_waitcnt lgkmcnt(3)
	v_add_f32_e32 v0, v54, v0
	v_add_f32_e32 v0, v0, v1
	s_waitcnt lgkmcnt(2)
	v_add_f32_e32 v0, v0, v2
	v_add_f32_e32 v0, v0, v3
	s_waitcnt lgkmcnt(1)
	v_add_f32_e32 v0, v0, v10
	v_add_f32_e32 v0, v0, v11
	s_waitcnt lgkmcnt(0)
	v_add_f32_e32 v0, v0, v12
	v_add_f32_e32 v54, v0, v13
.LBB69_67:
	s_or_b64 exec, exec, s[4:5]
	s_mul_hi_u32 s4, s37, s3
	s_mul_i32 s38, s38, s3
	s_add_i32 s4, s4, s38
	s_mul_i32 s3, s37, s3
	s_mul_i32 s4, s4, s33
	s_mul_hi_u32 s5, s3, s33
	s_add_i32 s5, s5, s4
	s_mul_i32 s4, s3, s33
	s_lshl_b64 s[4:5], s[4:5], 2
	s_add_u32 s3, s28, s4
	s_addc_u32 s6, s29, s5
	s_mul_hi_i32 s5, s37, s2
	s_mul_i32 s4, s37, s2
	s_lshl_b64 s[4:5], s[4:5], 2
	s_add_u32 s8, s3, s4
	s_addc_u32 s9, s6, s5
	s_add_i32 s3, s2, 1
	s_cmp_ge_u32 s3, s33
	v_lshlrev_b32_e32 v0, 2, v52
	s_barrier
	s_cbranch_scc1 .LBB69_124
; %bb.68:
	s_mul_i32 s3, s22, s25
	s_mul_hi_u32 s4, s22, s24
	s_add_i32 s3, s4, s3
	s_mul_i32 s4, s23, s24
	s_add_i32 s5, s3, s4
	s_mul_i32 s4, s22, s24
	s_lshl_b64 s[4:5], s[4:5], 2
	v_mov_b32_e32 v1, s5
	v_subrev_co_u32_e32 v2, vcc, s4, v6
	v_and_b32_e32 v46, 48, v52
	s_nop 0
	v_subb_co_u32_e32 v3, vcc, v7, v1, vcc
	v_and_b32_e32 v44, 15, v52
	v_lshlrev_b32_e32 v1, 2, v46
	s_movk_i32 s4, 0x10c
	v_mad_u32_u24 v58, v44, s4, v1
	v_or_b32_e32 v1, 60, v0
	v_mad_u32_u24 v59, v44, s4, v1
	v_and_b32_e32 v1, 0x1fff0, v16
	v_lshlrev_b32_e32 v42, 4, v53
	v_mad_u32_u24 v60, v44, s4, v1
	s_movk_i32 s4, 0x430
	v_add_u32_e32 v1, 0x80, v42
	v_mad_u32_u24 v65, v53, s4, v0
	v_mad_u64_u32 v[6:7], s[4:5], s16, v1, 0
	v_mov_b32_e32 v10, v7
	v_mad_u64_u32 v[10:11], s[4:5], s17, v1, v[10:11]
	v_lshlrev_b64 v[8:9], 2, v[8:9]
	v_mov_b32_e32 v1, v10
	v_sub_co_u32_e32 v6, vcc, v6, v8
	v_lshrrev_b32_e32 v45, 4, v16
	s_nop 0
	v_subb_co_u32_e32 v7, vcc, v1, v9, vcc
	v_add_u32_e32 v1, 0x88, v42
	v_mad_u64_u32 v[10:11], s[4:5], s16, v1, 0
	v_mov_b32_e32 v12, v11
	v_mad_u64_u32 v[12:13], s[4:5], s17, v1, v[12:13]
	v_mov_b32_e32 v1, v12
	v_sub_co_u32_e32 v10, vcc, v10, v8
	v_cmp_gt_u32_e64 s[6:7], 64, v16
	s_nop 0
	v_subb_co_u32_e32 v11, vcc, v1, v9, vcc
	v_add_u32_e32 v1, 0x84, v42
	v_mad_u64_u32 v[12:13], s[4:5], s16, v1, 0
	v_mov_b32_e32 v14, v13
	v_mad_u64_u32 v[14:15], s[4:5], s17, v1, v[14:15]
	v_mov_b32_e32 v1, v14
	v_sub_co_u32_e32 v12, vcc, v12, v8
	v_add_u32_e32 v64, 0x10c0, v42
	s_nop 0
	v_subb_co_u32_e32 v13, vcc, v1, v9, vcc
	v_add_u32_e32 v1, 0x8c, v42
	v_mad_u64_u32 v[14:15], s[4:5], s16, v1, 0
	v_mov_b32_e32 v16, v15
	v_mad_u64_u32 v[16:17], s[4:5], s17, v1, v[16:17]
	v_mov_b32_e32 v1, v16
	v_sub_co_u32_e32 v14, vcc, v14, v8
	v_lshlrev_b32_e32 v55, 2, v53
	s_nop 0
	v_subb_co_u32_e32 v15, vcc, v1, v9, vcc
	v_add_u32_e32 v1, 0xc0, v42
	v_mad_u64_u32 v[16:17], s[4:5], s16, v1, 0
	v_mov_b32_e32 v18, v17
	v_mad_u64_u32 v[18:19], s[4:5], s17, v1, v[18:19]
	v_mov_b32_e32 v1, v18
	v_sub_co_u32_e32 v16, vcc, v16, v8
	s_add_i32 s3, s33, -2
	s_nop 0
	v_subb_co_u32_e32 v17, vcc, v1, v9, vcc
	v_add_u32_e32 v1, 0xc4, v42
	v_mad_u64_u32 v[18:19], s[4:5], s16, v1, 0
	v_mov_b32_e32 v20, v19
	v_mad_u64_u32 v[20:21], s[4:5], s17, v1, v[20:21]
	v_mov_b32_e32 v1, v20
	v_sub_co_u32_e32 v18, vcc, v18, v8
	v_add_u32_e32 v56, 0x10c0, v0
	s_nop 0
	v_subb_co_u32_e32 v19, vcc, v1, v9, vcc
	v_add_u32_e32 v1, 0xc8, v42
	v_mad_u64_u32 v[20:21], s[4:5], s16, v1, 0
	v_mov_b32_e32 v22, v21
	v_mad_u64_u32 v[22:23], s[4:5], s17, v1, v[22:23]
	v_mov_b32_e32 v1, v22
	v_sub_co_u32_e32 v20, vcc, v20, v8
	v_add_u32_e32 v57, 0x11c0, v0
	s_nop 0
	v_subb_co_u32_e32 v21, vcc, v1, v9, vcc
	v_add_u32_e32 v1, 0xcc, v42
	v_mad_u64_u32 v[22:23], s[4:5], s16, v1, 0
	v_mov_b32_e32 v24, v23
	v_mad_u64_u32 v[24:25], s[4:5], s17, v1, v[24:25]
	v_mov_b32_e32 v1, v24
	v_sub_co_u32_e32 v22, vcc, v22, v8
	v_or_b32_e32 v61, 1, v55
	s_nop 0
	v_subb_co_u32_e32 v23, vcc, v1, v9, vcc
	v_add_u32_e32 v1, 0x100, v42
	v_mad_u64_u32 v[24:25], s[4:5], s16, v1, 0
	v_mov_b32_e32 v26, v25
	v_mad_u64_u32 v[26:27], s[4:5], s17, v1, v[26:27]
	v_mov_b32_e32 v1, v26
	v_sub_co_u32_e32 v24, vcc, v24, v8
	v_or_b32_e32 v62, 2, v55
	;; [unrolled: 9-line block ×3, first 2 shown]
	s_nop 0
	v_subb_co_u32_e32 v27, vcc, v1, v9, vcc
	v_add_u32_e32 v1, 0x108, v42
	v_mad_u64_u32 v[28:29], s[4:5], s16, v1, 0
	v_mov_b32_e32 v30, v29
	v_mad_u64_u32 v[30:31], s[4:5], s17, v1, v[30:31]
	v_mov_b32_e32 v1, v30
	v_sub_co_u32_e32 v28, vcc, v28, v8
	v_add_u32_e32 v66, 16, v55
	s_nop 0
	v_subb_co_u32_e32 v29, vcc, v1, v9, vcc
	v_add_u32_e32 v1, 0x10c, v42
	v_mad_u64_u32 v[30:31], s[4:5], s16, v1, 0
	v_mov_b32_e32 v32, v31
	v_mad_u64_u32 v[32:33], s[4:5], s17, v1, v[32:33]
	v_mov_b32_e32 v1, v32
	v_sub_co_u32_e32 v30, vcc, v30, v8
	v_add_u32_e32 v67, 17, v55
	;; [unrolled: 9-line block ×6, first 2 shown]
	s_nop 0
	v_subb_co_u32_e32 v41, vcc, v1, v9, vcc
	v_lshl_add_u64 v[8:9], v[36:37], 0, v[10:11]
	v_lshl_add_u64 v[10:11], v[36:37], 0, v[12:13]
	;; [unrolled: 1-line block ×14, first 2 shown]
	v_mul_i32_i24_e32 v38, -12, v45
	v_lshl_add_u64 v[6:7], v[36:37], 0, v[6:7]
	v_lshl_add_u64 v[36:37], v[36:37], 0, v[40:41]
	v_add_u32_e32 v72, 34, v55
	v_add_u32_e32 v73, 35, v55
	v_or_b32_e32 v74, v46, v44
	v_add_u32_e32 v75, 48, v55
	s_add_i32 s21, s22, 64
	v_mov_b32_e32 v1, 0
	s_lshl_b64 s[10:11], s[16:17], 8
	v_add_u32_e32 v76, v60, v38
	v_add_u32_e32 v77, 49, v55
	;; [unrolled: 1-line block ×4, first 2 shown]
	s_cmp_eq_u32 s3, s2
	s_cselect_b32 s16, s36, 0
	s_and_saveexec_b64 s[4:5], s[0:1]
	s_cbranch_execz .LBB69_72
.LBB69_69:
	s_cmp_eq_u32 s16, 0
	s_cselect_b64 s[12:13], -1, 0
	v_cmp_gt_i32_e32 vcc, s16, v52
	s_or_b64 s[14:15], s[12:13], vcc
	v_mov_b32_e32 v38, 0
	s_and_saveexec_b64 s[12:13], s[14:15]
	s_cbranch_execz .LBB69_71
; %bb.70:
	s_ashr_i32 s14, s21, 31
	s_mul_i32 s15, s21, s25
	s_mul_hi_u32 s17, s21, s24
	s_add_i32 s15, s17, s15
	s_mul_i32 s14, s14, s24
	s_add_i32 s15, s15, s14
	s_mul_i32 s14, s21, s24
	v_lshl_add_u64 v[38:39], s[14:15], 2, v[2:3]
	global_load_dword v38, v[38:39], off
.LBB69_71:
	s_or_b64 exec, exec, s[12:13]
	s_waitcnt vmcnt(0)
	ds_write_b32 v56, v38
.LBB69_72:                              ; =>This Inner Loop Header: Depth=1
	s_or_b64 exec, exec, s[4:5]
	s_cmp_eq_u32 s16, 0
	s_cselect_b64 s[12:13], -1, 0
	s_cmp_lg_u32 s16, 0
	s_cselect_b64 s[14:15], -1, 0
	v_lshl_add_u64 v[38:39], v[6:7], 0, v[0:1]
	s_and_b64 vcc, exec, s[14:15]
	s_waitcnt lgkmcnt(0)
	s_barrier
	s_cbranch_vccz .LBB69_120
; %bb.73:                               ;   in Loop: Header=BB69_72 Depth=1
	v_cmp_gt_i32_e32 vcc, s16, v55
	v_mov_b32_e32 v80, 0
	v_mov_b32_e32 v81, 0
	s_and_saveexec_b64 s[4:5], vcc
	s_cbranch_execz .LBB69_75
; %bb.74:                               ;   in Loop: Header=BB69_72 Depth=1
	global_load_dword v81, v[38:39], off
.LBB69_75:                              ;   in Loop: Header=BB69_72 Depth=1
	s_or_b64 exec, exec, s[4:5]
	v_cmp_gt_i32_e32 vcc, s16, v61
	s_and_saveexec_b64 s[4:5], vcc
	s_cbranch_execz .LBB69_77
; %bb.76:                               ;   in Loop: Header=BB69_72 Depth=1
	v_lshl_add_u64 v[40:41], v[10:11], 0, v[0:1]
	global_load_dword v80, v[40:41], off
.LBB69_77:                              ;   in Loop: Header=BB69_72 Depth=1
	s_or_b64 exec, exec, s[4:5]
	v_cmp_gt_i32_e32 vcc, s16, v62
	v_mov_b32_e32 v82, 0
	v_mov_b32_e32 v83, 0
	s_and_saveexec_b64 s[4:5], vcc
	s_cbranch_execz .LBB69_79
; %bb.78:                               ;   in Loop: Header=BB69_72 Depth=1
	v_lshl_add_u64 v[40:41], v[8:9], 0, v[0:1]
	global_load_dword v83, v[40:41], off
.LBB69_79:                              ;   in Loop: Header=BB69_72 Depth=1
	s_or_b64 exec, exec, s[4:5]
	v_cmp_gt_i32_e32 vcc, s16, v63
	s_and_saveexec_b64 s[4:5], vcc
	s_cbranch_execz .LBB69_81
; %bb.80:                               ;   in Loop: Header=BB69_72 Depth=1
	v_lshl_add_u64 v[40:41], v[12:13], 0, v[0:1]
	global_load_dword v82, v[40:41], off
.LBB69_81:                              ;   in Loop: Header=BB69_72 Depth=1
	s_or_b64 exec, exec, s[4:5]
	s_branch .LBB69_83
.LBB69_82:                              ;   in Loop: Header=BB69_72 Depth=1
	global_load_dword v81, v[38:39], off
	v_lshl_add_u64 v[38:39], v[10:11], 0, v[0:1]
	global_load_dword v80, v[38:39], off
	v_lshl_add_u64 v[38:39], v[8:9], 0, v[0:1]
	;; [unrolled: 2-line block ×3, first 2 shown]
	global_load_dword v82, v[38:39], off
.LBB69_83:                              ;   in Loop: Header=BB69_72 Depth=1
	ds_read_b32 v38, v57
	ds_read_b32 v84, v64
	v_cndmask_b32_e64 v42, 0, 1, s[14:15]
	v_cmp_ne_u32_e64 s[4:5], 1, v42
	s_andn2_b64 vcc, exec, s[14:15]
	s_waitcnt vmcnt(0) lgkmcnt(1)
	v_mul_f32_e32 v39, v81, v38
	v_mul_f32_e32 v40, v80, v38
	ds_write_b32 v65, v39
	v_mul_f32_e32 v41, v83, v38
	ds_read_b32 v85, v64 offset:4
	ds_write_b32 v65, v40 offset:268
	ds_read_b32 v86, v64 offset:8
	ds_write_b32 v65, v41 offset:536
	v_mul_f32_e32 v38, v82, v38
	ds_read_b32 v87, v64 offset:12
	ds_write_b32 v65, v38 offset:804
	s_waitcnt lgkmcnt(0)
	s_barrier
	ds_read2_b32 v[40:41], v60 offset1:1
	ds_read2_b32 v[38:39], v60 offset0:2 offset1:3
	v_lshl_add_u64 v[42:43], v[14:15], 0, v[0:1]
	s_waitcnt lgkmcnt(0)
	s_barrier
	s_cbranch_vccnz .LBB69_121
; %bb.84:                               ;   in Loop: Header=BB69_72 Depth=1
	v_cmp_gt_i32_e32 vcc, s16, v66
	v_mov_b32_e32 v88, 0
	v_mov_b32_e32 v89, 0
	s_and_saveexec_b64 s[14:15], vcc
	s_cbranch_execz .LBB69_86
; %bb.85:                               ;   in Loop: Header=BB69_72 Depth=1
	global_load_dword v89, v[42:43], off
.LBB69_86:                              ;   in Loop: Header=BB69_72 Depth=1
	s_or_b64 exec, exec, s[14:15]
	v_cmp_gt_i32_e32 vcc, s16, v67
	s_and_saveexec_b64 s[14:15], vcc
	s_cbranch_execz .LBB69_88
; %bb.87:                               ;   in Loop: Header=BB69_72 Depth=1
	v_lshl_add_u64 v[44:45], v[16:17], 0, v[0:1]
	global_load_dword v88, v[44:45], off
.LBB69_88:                              ;   in Loop: Header=BB69_72 Depth=1
	s_or_b64 exec, exec, s[14:15]
	v_cmp_gt_i32_e32 vcc, s16, v68
	v_mov_b32_e32 v90, 0
	v_mov_b32_e32 v91, 0
	s_and_saveexec_b64 s[14:15], vcc
	s_cbranch_execz .LBB69_90
; %bb.89:                               ;   in Loop: Header=BB69_72 Depth=1
	v_lshl_add_u64 v[44:45], v[18:19], 0, v[0:1]
	global_load_dword v91, v[44:45], off
.LBB69_90:                              ;   in Loop: Header=BB69_72 Depth=1
	s_or_b64 exec, exec, s[14:15]
	v_cmp_gt_i32_e32 vcc, s16, v69
	s_and_saveexec_b64 s[14:15], vcc
	s_cbranch_execz .LBB69_92
; %bb.91:                               ;   in Loop: Header=BB69_72 Depth=1
	v_lshl_add_u64 v[44:45], v[20:21], 0, v[0:1]
	global_load_dword v90, v[44:45], off
.LBB69_92:                              ;   in Loop: Header=BB69_72 Depth=1
	s_or_b64 exec, exec, s[14:15]
	s_branch .LBB69_94
.LBB69_93:                              ;   in Loop: Header=BB69_72 Depth=1
	global_load_dword v89, v[42:43], off
	v_lshl_add_u64 v[42:43], v[16:17], 0, v[0:1]
	global_load_dword v88, v[42:43], off
	v_lshl_add_u64 v[42:43], v[18:19], 0, v[0:1]
	;; [unrolled: 2-line block ×3, first 2 shown]
	global_load_dword v90, v[42:43], off
.LBB69_94:                              ;   in Loop: Header=BB69_72 Depth=1
	ds_read_b32 v42, v57
	ds_read_b32 v92, v64 offset:64
	s_and_b64 vcc, exec, s[4:5]
	v_lshl_add_u64 v[46:47], v[22:23], 0, v[0:1]
	s_waitcnt vmcnt(0) lgkmcnt(1)
	v_mul_f32_e32 v43, v89, v42
	v_mul_f32_e32 v44, v88, v42
	ds_write_b32 v65, v43
	v_mul_f32_e32 v45, v91, v42
	ds_read_b32 v93, v64 offset:68
	ds_write_b32 v65, v44 offset:268
	ds_read_b32 v94, v64 offset:72
	ds_write_b32 v65, v45 offset:536
	v_mul_f32_e32 v42, v90, v42
	ds_read_b32 v95, v64 offset:76
	ds_write_b32 v65, v42 offset:804
	s_waitcnt lgkmcnt(0)
	s_barrier
	ds_read2_b32 v[44:45], v60 offset1:1
	ds_read2_b32 v[42:43], v60 offset0:2 offset1:3
	s_waitcnt lgkmcnt(0)
	s_barrier
	s_cbranch_vccnz .LBB69_122
; %bb.95:                               ;   in Loop: Header=BB69_72 Depth=1
	v_cmp_gt_i32_e32 vcc, s16, v70
	v_mov_b32_e32 v96, 0
	v_mov_b32_e32 v97, 0
	s_and_saveexec_b64 s[14:15], vcc
	s_cbranch_execz .LBB69_97
; %bb.96:                               ;   in Loop: Header=BB69_72 Depth=1
	global_load_dword v97, v[46:47], off
.LBB69_97:                              ;   in Loop: Header=BB69_72 Depth=1
	s_or_b64 exec, exec, s[14:15]
	v_cmp_gt_i32_e32 vcc, s16, v71
	s_and_saveexec_b64 s[14:15], vcc
	s_cbranch_execz .LBB69_99
; %bb.98:                               ;   in Loop: Header=BB69_72 Depth=1
	v_lshl_add_u64 v[48:49], v[24:25], 0, v[0:1]
	global_load_dword v96, v[48:49], off
.LBB69_99:                              ;   in Loop: Header=BB69_72 Depth=1
	s_or_b64 exec, exec, s[14:15]
	v_cmp_gt_i32_e32 vcc, s16, v72
	v_mov_b32_e32 v98, 0
	v_mov_b32_e32 v99, 0
	s_and_saveexec_b64 s[14:15], vcc
	s_cbranch_execz .LBB69_101
; %bb.100:                              ;   in Loop: Header=BB69_72 Depth=1
	v_lshl_add_u64 v[48:49], v[26:27], 0, v[0:1]
	global_load_dword v99, v[48:49], off
.LBB69_101:                             ;   in Loop: Header=BB69_72 Depth=1
	s_or_b64 exec, exec, s[14:15]
	v_cmp_gt_i32_e32 vcc, s16, v73
	s_and_saveexec_b64 s[14:15], vcc
	s_cbranch_execz .LBB69_103
; %bb.102:                              ;   in Loop: Header=BB69_72 Depth=1
	v_lshl_add_u64 v[48:49], v[28:29], 0, v[0:1]
	global_load_dword v98, v[48:49], off
.LBB69_103:                             ;   in Loop: Header=BB69_72 Depth=1
	s_or_b64 exec, exec, s[14:15]
	s_branch .LBB69_105
.LBB69_104:                             ;   in Loop: Header=BB69_72 Depth=1
	global_load_dword v97, v[46:47], off
	v_lshl_add_u64 v[46:47], v[24:25], 0, v[0:1]
	global_load_dword v96, v[46:47], off
	v_lshl_add_u64 v[46:47], v[26:27], 0, v[0:1]
	;; [unrolled: 2-line block ×3, first 2 shown]
	global_load_dword v98, v[46:47], off
.LBB69_105:                             ;   in Loop: Header=BB69_72 Depth=1
	ds_read_b32 v46, v57
	ds_read_b32 v100, v64 offset:128
	s_and_b64 vcc, exec, s[4:5]
	v_lshl_add_u64 v[50:51], v[30:31], 0, v[0:1]
	s_waitcnt vmcnt(0) lgkmcnt(1)
	v_mul_f32_e32 v47, v97, v46
	v_mul_f32_e32 v48, v96, v46
	ds_write_b32 v65, v47
	v_mul_f32_e32 v49, v99, v46
	ds_read_b32 v101, v64 offset:132
	ds_write_b32 v65, v48 offset:268
	ds_read_b32 v102, v64 offset:136
	ds_write_b32 v65, v49 offset:536
	v_mul_f32_e32 v46, v98, v46
	ds_read_b32 v103, v64 offset:140
	ds_write_b32 v65, v46 offset:804
	s_waitcnt lgkmcnt(0)
	s_barrier
	ds_read2_b32 v[48:49], v60 offset1:1
	ds_read2_b32 v[46:47], v60 offset0:2 offset1:3
	s_waitcnt lgkmcnt(0)
	s_barrier
	s_cbranch_vccnz .LBB69_123
; %bb.106:                              ;   in Loop: Header=BB69_72 Depth=1
	v_cmp_gt_i32_e32 vcc, s16, v75
	v_mov_b32_e32 v104, 0
	v_mov_b32_e32 v105, 0
	s_and_saveexec_b64 s[4:5], vcc
	s_cbranch_execz .LBB69_108
; %bb.107:                              ;   in Loop: Header=BB69_72 Depth=1
	global_load_dword v105, v[50:51], off
.LBB69_108:                             ;   in Loop: Header=BB69_72 Depth=1
	s_or_b64 exec, exec, s[4:5]
	v_cmp_gt_i32_e32 vcc, s16, v77
	s_and_saveexec_b64 s[4:5], vcc
	s_cbranch_execz .LBB69_110
; %bb.109:                              ;   in Loop: Header=BB69_72 Depth=1
	v_lshl_add_u64 v[106:107], v[32:33], 0, v[0:1]
	global_load_dword v104, v[106:107], off
.LBB69_110:                             ;   in Loop: Header=BB69_72 Depth=1
	s_or_b64 exec, exec, s[4:5]
	v_cmp_gt_i32_e32 vcc, s16, v78
	v_mov_b32_e32 v106, 0
	v_mov_b32_e32 v107, 0
	s_and_saveexec_b64 s[4:5], vcc
	s_cbranch_execz .LBB69_112
; %bb.111:                              ;   in Loop: Header=BB69_72 Depth=1
	v_lshl_add_u64 v[108:109], v[34:35], 0, v[0:1]
	global_load_dword v107, v[108:109], off
.LBB69_112:                             ;   in Loop: Header=BB69_72 Depth=1
	s_or_b64 exec, exec, s[4:5]
	v_cmp_gt_i32_e32 vcc, s16, v79
	s_and_saveexec_b64 s[4:5], vcc
	s_cbranch_execz .LBB69_114
; %bb.113:                              ;   in Loop: Header=BB69_72 Depth=1
	v_lshl_add_u64 v[108:109], v[36:37], 0, v[0:1]
	global_load_dword v106, v[108:109], off
.LBB69_114:                             ;   in Loop: Header=BB69_72 Depth=1
	s_or_b64 exec, exec, s[4:5]
	s_branch .LBB69_116
.LBB69_115:                             ;   in Loop: Header=BB69_72 Depth=1
	global_load_dword v105, v[50:51], off
	v_lshl_add_u64 v[50:51], v[32:33], 0, v[0:1]
	global_load_dword v104, v[50:51], off
	v_lshl_add_u64 v[50:51], v[34:35], 0, v[0:1]
	;; [unrolled: 2-line block ×3, first 2 shown]
	global_load_dword v106, v[50:51], off
.LBB69_116:                             ;   in Loop: Header=BB69_72 Depth=1
	v_add_f32_e32 v44, 0, v44
	v_add_f32_e32 v44, v44, v45
	ds_read_b32 v45, v57
	v_add_f32_e32 v48, 0, v48
	v_add_f32_e32 v48, v48, v49
	;; [unrolled: 1-line block ×6, first 2 shown]
	ds_read_b32 v40, v64 offset:192
	s_waitcnt vmcnt(0) lgkmcnt(1)
	v_mul_f32_e32 v42, v105, v45
	ds_write_b32 v65, v42
	v_mul_f32_e32 v43, v104, v45
	ds_read_b32 v42, v64 offset:196
	ds_write_b32 v65, v43 offset:268
	v_mul_f32_e32 v44, v107, v45
	ds_read_b32 v43, v64 offset:200
	ds_write_b32 v65, v44 offset:536
	v_mul_f32_e32 v45, v106, v45
	v_add_f32_e32 v50, v46, v47
	ds_read_b32 v44, v64 offset:204
	ds_write_b32 v65, v45 offset:804
	s_waitcnt lgkmcnt(0)
	s_barrier
	ds_read2_b32 v[46:47], v60 offset1:1
	v_add_f32_e32 v41, v48, v41
	ds_read2_b32 v[48:49], v60 offset0:2 offset1:3
	v_add_f32_e32 v38, v41, v38
	v_add_f32_e32 v38, v38, v39
	s_waitcnt lgkmcnt(1)
	v_add_f32_e32 v39, 0, v46
	v_cmp_gt_i32_e32 vcc, s16, v52
	v_add_f32_e32 v39, v39, v47
	s_or_b64 s[4:5], s[12:13], vcc
	s_waitcnt lgkmcnt(0)
	v_add_f32_e32 v39, v39, v48
	s_and_b64 s[12:13], s[6:7], s[4:5]
	v_add_f32_e32 v39, v39, v49
	s_barrier
	ds_write2_b32 v76, v38, v51 offset1:16
	ds_write2_b32 v76, v50, v39 offset0:32 offset1:48
	s_waitcnt lgkmcnt(0)
	s_barrier
	s_and_saveexec_b64 s[4:5], s[12:13]
	s_cbranch_execz .LBB69_118
; %bb.117:                              ;   in Loop: Header=BB69_72 Depth=1
	ds_read2_b32 v[38:39], v58 offset1:1
	ds_read2_b32 v[46:47], v58 offset0:2 offset1:3
	ds_read2_b32 v[48:49], v58 offset0:4 offset1:5
	;; [unrolled: 1-line block ×3, first 2 shown]
	s_waitcnt lgkmcnt(3)
	v_add_f32_e32 v38, v38, v39
	s_waitcnt lgkmcnt(2)
	v_add_f32_e32 v38, v38, v46
	v_add_f32_e32 v38, v38, v47
	s_waitcnt lgkmcnt(1)
	v_add_f32_e32 v38, v38, v48
	;; [unrolled: 3-line block ×3, first 2 shown]
	ds_read2_b32 v[38:39], v58 offset0:8 offset1:9
	v_add_f32_e32 v41, v41, v51
	ds_read2_b32 v[46:47], v58 offset0:10 offset1:11
	ds_read2_b32 v[48:49], v58 offset0:12 offset1:13
	ds_read_b32 v45, v58 offset:56
	s_waitcnt lgkmcnt(3)
	v_add_f32_e32 v38, v41, v38
	v_add_f32_e32 v38, v38, v39
	s_waitcnt lgkmcnt(2)
	v_add_f32_e32 v38, v38, v46
	ds_read_b32 v39, v59
	v_add_f32_e32 v38, v38, v47
	s_waitcnt lgkmcnt(2)
	v_add_f32_e32 v38, v38, v48
	v_add_f32_e32 v38, v38, v49
	s_waitcnt lgkmcnt(1)
	v_add_f32_e32 v38, v38, v45
	s_waitcnt lgkmcnt(0)
	v_add_f32_e32 v41, v38, v39
	v_add_u32_e32 v38, s21, v74
	v_ashrrev_i32_e32 v39, 31, v38
	v_lshl_add_u64 v[38:39], v[38:39], 2, s[8:9]
	global_store_dword v[38:39], v41, off
.LBB69_118:                             ;   in Loop: Header=BB69_72 Depth=1
	s_or_b64 exec, exec, s[4:5]
	v_fmac_f32_e32 v54, v81, v84
	v_fmac_f32_e32 v54, v80, v85
	;; [unrolled: 1-line block ×15, first 2 shown]
	s_add_i32 s4, s2, 1
	s_add_i32 s21, s21, 64
	s_add_i32 s2, s2, 2
	v_fmac_f32_e32 v54, v106, v44
	v_lshl_add_u64 v[6:7], v[6:7], 0, s[10:11]
	v_lshl_add_u64 v[8:9], v[8:9], 0, s[10:11]
	v_lshl_add_u64 v[10:11], v[10:11], 0, s[10:11]
	v_lshl_add_u64 v[12:13], v[12:13], 0, s[10:11]
	v_lshl_add_u64 v[14:15], v[14:15], 0, s[10:11]
	v_lshl_add_u64 v[16:17], v[16:17], 0, s[10:11]
	v_lshl_add_u64 v[18:19], v[18:19], 0, s[10:11]
	v_lshl_add_u64 v[20:21], v[20:21], 0, s[10:11]
	v_lshl_add_u64 v[22:23], v[22:23], 0, s[10:11]
	v_lshl_add_u64 v[24:25], v[24:25], 0, s[10:11]
	v_lshl_add_u64 v[26:27], v[26:27], 0, s[10:11]
	v_lshl_add_u64 v[28:29], v[28:29], 0, s[10:11]
	v_lshl_add_u64 v[30:31], v[30:31], 0, s[10:11]
	v_lshl_add_u64 v[32:33], v[32:33], 0, s[10:11]
	v_lshl_add_u64 v[34:35], v[34:35], 0, s[10:11]
	s_cmp_ge_u32 s2, s33
	v_lshl_add_u64 v[36:37], v[36:37], 0, s[10:11]
	s_barrier
	s_cbranch_scc1 .LBB69_124
; %bb.119:                              ;   in Loop: Header=BB69_72 Depth=1
	s_mov_b32 s2, s4
	s_cmp_eq_u32 s3, s2
	s_cselect_b32 s16, s36, 0
	s_and_saveexec_b64 s[4:5], s[0:1]
	s_cbranch_execnz .LBB69_69
	s_branch .LBB69_72
.LBB69_120:                             ;   in Loop: Header=BB69_72 Depth=1
                                        ; implicit-def: $vgpr82
                                        ; implicit-def: $vgpr83
                                        ; implicit-def: $vgpr80
                                        ; implicit-def: $vgpr81
	s_cbranch_execnz .LBB69_82
	s_branch .LBB69_83
.LBB69_121:                             ;   in Loop: Header=BB69_72 Depth=1
                                        ; implicit-def: $vgpr90
                                        ; implicit-def: $vgpr91
                                        ; implicit-def: $vgpr88
                                        ; implicit-def: $vgpr89
	s_cbranch_execnz .LBB69_93
	s_branch .LBB69_94
.LBB69_122:                             ;   in Loop: Header=BB69_72 Depth=1
                                        ; implicit-def: $vgpr98
                                        ; implicit-def: $vgpr99
                                        ; implicit-def: $vgpr96
                                        ; implicit-def: $vgpr97
	s_cbranch_execnz .LBB69_104
	s_branch .LBB69_105
.LBB69_123:                             ;   in Loop: Header=BB69_72 Depth=1
                                        ; implicit-def: $vgpr106
                                        ; implicit-def: $vgpr107
                                        ; implicit-def: $vgpr104
                                        ; implicit-def: $vgpr105
	s_cbranch_execnz .LBB69_115
	s_branch .LBB69_116
.LBB69_124:
	s_movk_i32 s2, 0x10c
	v_cmp_gt_i32_e32 vcc, s20, v52
	v_mad_u32_u24 v1, v53, s2, v0
	s_or_b64 s[2:3], s[18:19], vcc
	s_and_b64 s[0:1], s[0:1], s[2:3]
	ds_write_b32 v1, v54
	s_waitcnt lgkmcnt(0)
	s_barrier
	s_and_saveexec_b64 s[2:3], s[0:1]
	s_cbranch_execz .LBB69_126
; %bb.125:
	ds_read2_b32 v[2:3], v0 offset1:67
	ds_read2_b32 v[0:1], v0 offset0:134 offset1:201
	s_waitcnt lgkmcnt(1)
	v_add_f32_e32 v2, v2, v3
	s_waitcnt lgkmcnt(0)
	v_add_f32_e32 v0, v2, v0
	v_add_f32_e32 v2, v0, v1
	v_lshl_add_u64 v[0:1], v[4:5], 2, s[8:9]
	global_store_dword v[0:1], v2, off
.LBB69_126:
	s_endpgm
	.section	.rodata,"a",@progbits
	.p2align	6, 0x0
	.amdhsa_kernel _ZL26rocblas_hemvn_kernel_upperILb0ELi64ELi4ELi33ELi32ELi16ElPKfS1_PfEviT6_lT7_lT5_lS4_lS5_lS3_lT8_i
		.amdhsa_group_segment_fixed_size 4800
		.amdhsa_private_segment_fixed_size 0
		.amdhsa_kernarg_size 376
		.amdhsa_user_sgpr_count 2
		.amdhsa_user_sgpr_dispatch_ptr 0
		.amdhsa_user_sgpr_queue_ptr 0
		.amdhsa_user_sgpr_kernarg_segment_ptr 1
		.amdhsa_user_sgpr_dispatch_id 0
		.amdhsa_user_sgpr_kernarg_preload_length 0
		.amdhsa_user_sgpr_kernarg_preload_offset 0
		.amdhsa_user_sgpr_private_segment_size 0
		.amdhsa_uses_dynamic_stack 0
		.amdhsa_enable_private_segment 0
		.amdhsa_system_sgpr_workgroup_id_x 1
		.amdhsa_system_sgpr_workgroup_id_y 0
		.amdhsa_system_sgpr_workgroup_id_z 1
		.amdhsa_system_sgpr_workgroup_info 0
		.amdhsa_system_vgpr_workitem_id 1
		.amdhsa_next_free_vgpr 110
		.amdhsa_next_free_sgpr 41
		.amdhsa_accum_offset 112
		.amdhsa_reserve_vcc 1
		.amdhsa_float_round_mode_32 0
		.amdhsa_float_round_mode_16_64 0
		.amdhsa_float_denorm_mode_32 3
		.amdhsa_float_denorm_mode_16_64 3
		.amdhsa_dx10_clamp 1
		.amdhsa_ieee_mode 1
		.amdhsa_fp16_overflow 0
		.amdhsa_tg_split 0
		.amdhsa_exception_fp_ieee_invalid_op 0
		.amdhsa_exception_fp_denorm_src 0
		.amdhsa_exception_fp_ieee_div_zero 0
		.amdhsa_exception_fp_ieee_overflow 0
		.amdhsa_exception_fp_ieee_underflow 0
		.amdhsa_exception_fp_ieee_inexact 0
		.amdhsa_exception_int_div_zero 0
	.end_amdhsa_kernel
	.section	.text._ZL26rocblas_hemvn_kernel_upperILb0ELi64ELi4ELi33ELi32ELi16ElPKfS1_PfEviT6_lT7_lT5_lS4_lS5_lS3_lT8_i,"axG",@progbits,_ZL26rocblas_hemvn_kernel_upperILb0ELi64ELi4ELi33ELi32ELi16ElPKfS1_PfEviT6_lT7_lT5_lS4_lS5_lS3_lT8_i,comdat
.Lfunc_end69:
	.size	_ZL26rocblas_hemvn_kernel_upperILb0ELi64ELi4ELi33ELi32ELi16ElPKfS1_PfEviT6_lT7_lT5_lS4_lS5_lS3_lT8_i, .Lfunc_end69-_ZL26rocblas_hemvn_kernel_upperILb0ELi64ELi4ELi33ELi32ELi16ElPKfS1_PfEviT6_lT7_lT5_lS4_lS5_lS3_lT8_i
                                        ; -- End function
	.section	.AMDGPU.csdata,"",@progbits
; Kernel info:
; codeLenInByte = 6796
; NumSgprs: 47
; NumVgprs: 110
; NumAgprs: 0
; TotalNumVgprs: 110
; ScratchSize: 0
; MemoryBound: 0
; FloatMode: 240
; IeeeMode: 1
; LDSByteSize: 4800 bytes/workgroup (compile time only)
; SGPRBlocks: 5
; VGPRBlocks: 13
; NumSGPRsForWavesPerEU: 47
; NumVGPRsForWavesPerEU: 110
; AccumOffset: 112
; Occupancy: 4
; WaveLimiterHint : 0
; COMPUTE_PGM_RSRC2:SCRATCH_EN: 0
; COMPUTE_PGM_RSRC2:USER_SGPR: 2
; COMPUTE_PGM_RSRC2:TRAP_HANDLER: 0
; COMPUTE_PGM_RSRC2:TGID_X_EN: 1
; COMPUTE_PGM_RSRC2:TGID_Y_EN: 0
; COMPUTE_PGM_RSRC2:TGID_Z_EN: 1
; COMPUTE_PGM_RSRC2:TIDIG_COMP_CNT: 1
; COMPUTE_PGM_RSRC3_GFX90A:ACCUM_OFFSET: 27
; COMPUTE_PGM_RSRC3_GFX90A:TG_SPLIT: 0
	.section	.text._ZL36rocblas_hemvn_kernel_upper_block_sumILi64ElPKfPffEviT1_lS3_lT2_lT0_lPT3_i,"axG",@progbits,_ZL36rocblas_hemvn_kernel_upper_block_sumILi64ElPKfPffEviT1_lS3_lT2_lT0_lPT3_i,comdat
	.globl	_ZL36rocblas_hemvn_kernel_upper_block_sumILi64ElPKfPffEviT1_lS3_lT2_lT0_lPT3_i ; -- Begin function _ZL36rocblas_hemvn_kernel_upper_block_sumILi64ElPKfPffEviT1_lS3_lT2_lT0_lPT3_i
	.p2align	8
	.type	_ZL36rocblas_hemvn_kernel_upper_block_sumILi64ElPKfPffEviT1_lS3_lT2_lT0_lPT3_i,@function
_ZL36rocblas_hemvn_kernel_upper_block_sumILi64ElPKfPffEviT1_lS3_lT2_lT0_lPT3_i: ; @_ZL36rocblas_hemvn_kernel_upper_block_sumILi64ElPKfPffEviT1_lS3_lT2_lT0_lPT3_i
; %bb.0:
	s_load_dwordx8 s[4:11], s[0:1], 0x8
	s_waitcnt lgkmcnt(0)
	s_mul_i32 s7, s3, s7
	s_mul_hi_u32 s12, s3, s6
	s_add_i32 s7, s12, s7
	s_mul_i32 s6, s3, s6
	s_lshl_b64 s[6:7], s[6:7], 2
	s_add_u32 s4, s4, s6
	s_addc_u32 s5, s5, s7
	s_load_dword s20, s[4:5], 0x0
	s_mul_i32 s4, s3, s11
	s_mul_hi_u32 s5, s3, s10
	s_add_i32 s5, s5, s4
	s_mul_i32 s4, s3, s10
	s_lshl_b64 s[4:5], s[4:5], 2
	s_add_u32 s4, s8, s4
	s_addc_u32 s5, s9, s5
	s_load_dword s21, s[4:5], 0x0
	s_waitcnt lgkmcnt(0)
	v_cmp_eq_f32_e64 s[4:5], s20, 0
	v_cmp_eq_f32_e64 s[6:7], s21, 1.0
	s_and_b64 s[4:5], s[4:5], s[6:7]
	s_and_b64 vcc, exec, s[4:5]
	s_cbranch_vccnz .LBB70_19
; %bb.1:
	s_load_dwordx8 s[4:11], s[0:1], 0x30
	s_load_dwordx2 s[12:13], s[0:1], 0x28
	s_load_dword s14, s[0:1], 0x0
	v_lshl_or_b32 v0, s2, 6, v0
	s_waitcnt lgkmcnt(0)
	s_mul_i32 s9, s3, s9
	s_mul_hi_u32 s15, s3, s8
	s_mul_i32 s8, s3, s8
	s_add_i32 s9, s15, s9
	s_lshl_b64 s[8:9], s[8:9], 2
	s_add_u32 s8, s12, s8
	s_addc_u32 s9, s13, s9
	s_lshl_b64 s[4:5], s[4:5], 2
	s_add_u32 s8, s8, s4
	s_addc_u32 s9, s9, s5
	v_cmp_neq_f32_e64 s[4:5], s20, 0
	s_and_b64 vcc, exec, s[4:5]
	v_cmp_gt_i32_e64 s[4:5], s14, v0
	s_cbranch_vccnz .LBB70_6
; %bb.2:
	s_mov_b64 s[16:17], 0
	s_mov_b64 s[12:13], 0
                                        ; implicit-def: $vgpr1
                                        ; implicit-def: $vgpr2_vgpr3
	s_and_saveexec_b64 s[18:19], s[4:5]
	s_cbranch_execz .LBB70_7
; %bb.3:
	v_ashrrev_i32_e32 v2, 31, v0
	v_cmp_eq_f32_e64 s[4:5], s21, 0
	v_mul_lo_u32 v4, v0, s7
	v_mul_lo_u32 v5, v2, s6
	v_mad_u64_u32 v[2:3], s[12:13], v0, s6, 0
	v_mov_b32_e32 v1, 0
	v_add3_u32 v3, v3, v4, v5
	s_and_b64 vcc, exec, s[4:5]
	s_cbranch_vccnz .LBB70_5
; %bb.4:
	v_lshl_add_u64 v[4:5], v[2:3], 2, s[8:9]
	global_load_dword v1, v[4:5], off
	s_waitcnt vmcnt(0)
	v_mul_f32_e32 v1, s21, v1
.LBB70_5:
	s_mov_b64 s[12:13], exec
	s_or_b64 exec, exec, s[18:19]
	s_and_b64 vcc, exec, s[16:17]
	s_cbranch_vccnz .LBB70_8
	s_branch .LBB70_17
.LBB70_6:
	s_mov_b64 s[12:13], 0
                                        ; implicit-def: $vgpr1
                                        ; implicit-def: $vgpr2_vgpr3
	s_cbranch_execnz .LBB70_8
	s_branch .LBB70_17
.LBB70_7:
	s_or_b64 exec, exec, s[18:19]
	s_and_b64 vcc, exec, s[16:17]
	s_cbranch_vccz .LBB70_17
.LBB70_8:
	v_cmp_gt_i32_e32 vcc, s14, v0
                                        ; implicit-def: $vgpr1
                                        ; implicit-def: $vgpr2_vgpr3
	s_and_saveexec_b64 s[4:5], vcc
	s_cbranch_execz .LBB70_16
; %bb.9:
	v_ashrrev_i32_e32 v1, 31, v0
	s_cmp_lt_i32 s2, 0
	v_mov_b32_e32 v4, 0
	s_cbranch_scc1 .LBB70_12
; %bb.10:
	s_load_dword s0, s[0:1], 0x58
	s_ashr_i32 s15, s14, 31
	s_mul_hi_u32 s1, s14, s3
	s_mul_i32 s16, s15, s3
	s_add_i32 s1, s1, s16
	s_mul_i32 s3, s14, s3
	s_waitcnt lgkmcnt(0)
	s_mul_i32 s1, s1, s0
	s_mul_hi_u32 s16, s3, s0
	s_add_i32 s1, s16, s1
	s_mul_i32 s0, s3, s0
	s_lshl_b64 s[0:1], s[0:1], 2
	s_add_u32 s0, s10, s0
	s_addc_u32 s1, s11, s1
	v_lshl_add_u64 v[2:3], v[0:1], 2, s[0:1]
	s_add_i32 s2, s2, 1
	s_lshl_b64 s[0:1], s[14:15], 2
	v_mov_b32_e32 v4, 0
.LBB70_11:                              ; =>This Inner Loop Header: Depth=1
	global_load_dword v5, v[2:3], off
	s_add_i32 s2, s2, -1
	v_lshl_add_u64 v[2:3], v[2:3], 0, s[0:1]
	s_cmp_eq_u32 s2, 0
	s_waitcnt vmcnt(0)
	v_add_f32_e32 v4, v4, v5
	s_cbranch_scc0 .LBB70_11
.LBB70_12:
	v_cmp_eq_f32_e64 s[0:1], s21, 0
	s_and_b64 vcc, exec, s[0:1]
	v_mul_lo_u32 v5, v1, s6
	v_mul_lo_u32 v6, v0, s7
	s_cbranch_vccz .LBB70_20
; %bb.13:
	v_mad_u64_u32 v[2:3], s[0:1], v0, s6, 0
	v_mul_f32_e32 v1, s20, v4
	v_add3_u32 v3, v3, v6, v5
	s_cbranch_execnz .LBB70_15
.LBB70_14:
	v_mad_u64_u32 v[2:3], s[0:1], v0, s6, 0
	v_add3_u32 v3, v3, v6, v5
	v_lshl_add_u64 v[0:1], v[2:3], 2, s[8:9]
	global_load_dword v0, v[0:1], off
	s_waitcnt vmcnt(0)
	v_mul_f32_e32 v1, s21, v0
	v_fmac_f32_e32 v1, s20, v4
.LBB70_15:
	s_or_b64 s[12:13], s[12:13], exec
.LBB70_16:
	s_or_b64 exec, exec, s[4:5]
.LBB70_17:
	s_and_saveexec_b64 s[0:1], s[12:13]
	s_cbranch_execz .LBB70_19
; %bb.18:
	v_lshl_add_u64 v[2:3], v[2:3], 2, s[8:9]
	global_store_dword v[2:3], v1, off
.LBB70_19:
	s_endpgm
.LBB70_20:
                                        ; implicit-def: $vgpr1
                                        ; implicit-def: $vgpr2_vgpr3
	s_branch .LBB70_14
	.section	.rodata,"a",@progbits
	.p2align	6, 0x0
	.amdhsa_kernel _ZL36rocblas_hemvn_kernel_upper_block_sumILi64ElPKfPffEviT1_lS3_lT2_lT0_lPT3_i
		.amdhsa_group_segment_fixed_size 0
		.amdhsa_private_segment_fixed_size 0
		.amdhsa_kernarg_size 344
		.amdhsa_user_sgpr_count 2
		.amdhsa_user_sgpr_dispatch_ptr 0
		.amdhsa_user_sgpr_queue_ptr 0
		.amdhsa_user_sgpr_kernarg_segment_ptr 1
		.amdhsa_user_sgpr_dispatch_id 0
		.amdhsa_user_sgpr_kernarg_preload_length 0
		.amdhsa_user_sgpr_kernarg_preload_offset 0
		.amdhsa_user_sgpr_private_segment_size 0
		.amdhsa_uses_dynamic_stack 0
		.amdhsa_enable_private_segment 0
		.amdhsa_system_sgpr_workgroup_id_x 1
		.amdhsa_system_sgpr_workgroup_id_y 0
		.amdhsa_system_sgpr_workgroup_id_z 1
		.amdhsa_system_sgpr_workgroup_info 0
		.amdhsa_system_vgpr_workitem_id 0
		.amdhsa_next_free_vgpr 7
		.amdhsa_next_free_sgpr 22
		.amdhsa_accum_offset 8
		.amdhsa_reserve_vcc 1
		.amdhsa_float_round_mode_32 0
		.amdhsa_float_round_mode_16_64 0
		.amdhsa_float_denorm_mode_32 3
		.amdhsa_float_denorm_mode_16_64 3
		.amdhsa_dx10_clamp 1
		.amdhsa_ieee_mode 1
		.amdhsa_fp16_overflow 0
		.amdhsa_tg_split 0
		.amdhsa_exception_fp_ieee_invalid_op 0
		.amdhsa_exception_fp_denorm_src 0
		.amdhsa_exception_fp_ieee_div_zero 0
		.amdhsa_exception_fp_ieee_overflow 0
		.amdhsa_exception_fp_ieee_underflow 0
		.amdhsa_exception_fp_ieee_inexact 0
		.amdhsa_exception_int_div_zero 0
	.end_amdhsa_kernel
	.section	.text._ZL36rocblas_hemvn_kernel_upper_block_sumILi64ElPKfPffEviT1_lS3_lT2_lT0_lPT3_i,"axG",@progbits,_ZL36rocblas_hemvn_kernel_upper_block_sumILi64ElPKfPffEviT1_lS3_lT2_lT0_lPT3_i,comdat
.Lfunc_end70:
	.size	_ZL36rocblas_hemvn_kernel_upper_block_sumILi64ElPKfPffEviT1_lS3_lT2_lT0_lPT3_i, .Lfunc_end70-_ZL36rocblas_hemvn_kernel_upper_block_sumILi64ElPKfPffEviT1_lS3_lT2_lT0_lPT3_i
                                        ; -- End function
	.section	.AMDGPU.csdata,"",@progbits
; Kernel info:
; codeLenInByte = 640
; NumSgprs: 28
; NumVgprs: 7
; NumAgprs: 0
; TotalNumVgprs: 7
; ScratchSize: 0
; MemoryBound: 0
; FloatMode: 240
; IeeeMode: 1
; LDSByteSize: 0 bytes/workgroup (compile time only)
; SGPRBlocks: 3
; VGPRBlocks: 0
; NumSGPRsForWavesPerEU: 28
; NumVGPRsForWavesPerEU: 7
; AccumOffset: 8
; Occupancy: 8
; WaveLimiterHint : 0
; COMPUTE_PGM_RSRC2:SCRATCH_EN: 0
; COMPUTE_PGM_RSRC2:USER_SGPR: 2
; COMPUTE_PGM_RSRC2:TRAP_HANDLER: 0
; COMPUTE_PGM_RSRC2:TGID_X_EN: 1
; COMPUTE_PGM_RSRC2:TGID_Y_EN: 0
; COMPUTE_PGM_RSRC2:TGID_Z_EN: 1
; COMPUTE_PGM_RSRC2:TIDIG_COMP_CNT: 0
; COMPUTE_PGM_RSRC3_GFX90A:ACCUM_OFFSET: 1
; COMPUTE_PGM_RSRC3_GFX90A:TG_SPLIT: 0
	.section	.text._ZL26rocblas_hemvn_kernel_upperILb0ELi64ELi4ELi33ELi32ELi16EiPKfS1_PfEviT6_lT7_lT5_lS4_lS5_lS3_lT8_i,"axG",@progbits,_ZL26rocblas_hemvn_kernel_upperILb0ELi64ELi4ELi33ELi32ELi16EiPKfS1_PfEviT6_lT7_lT5_lS4_lS5_lS3_lT8_i,comdat
	.globl	_ZL26rocblas_hemvn_kernel_upperILb0ELi64ELi4ELi33ELi32ELi16EiPKfS1_PfEviT6_lT7_lT5_lS4_lS5_lS3_lT8_i ; -- Begin function _ZL26rocblas_hemvn_kernel_upperILb0ELi64ELi4ELi33ELi32ELi16EiPKfS1_PfEviT6_lT7_lT5_lS4_lS5_lS3_lT8_i
	.p2align	8
	.type	_ZL26rocblas_hemvn_kernel_upperILb0ELi64ELi4ELi33ELi32ELi16EiPKfS1_PfEviT6_lT7_lT5_lS4_lS5_lS3_lT8_i,@function
_ZL26rocblas_hemvn_kernel_upperILb0ELi64ELi4ELi33ELi32ELi16EiPKfS1_PfEviT6_lT7_lT5_lS4_lS5_lS3_lT8_i: ; @_ZL26rocblas_hemvn_kernel_upperILb0ELi64ELi4ELi33ELi32ELi16EiPKfS1_PfEviT6_lT7_lT5_lS4_lS5_lS3_lT8_i
; %bb.0:
	s_load_dwordx2 s[4:5], s[0:1], 0x84
	s_add_u32 s20, s0, 0x78
	s_addc_u32 s21, s1, 0
	s_waitcnt lgkmcnt(0)
	s_lshr_b32 s6, s4, 16
	s_and_b32 s4, s4, 0xffff
	s_and_b32 s5, s5, 0xffff
	s_mul_i32 s4, s6, s4
	s_mul_i32 s4, s4, s5
	s_cmpk_lg_i32 s4, 0x100
	s_cbranch_scc1 .LBB71_126
; %bb.1:
	s_load_dwordx8 s[4:11], s[0:1], 0x8
	s_load_dwordx8 s[12:19], s[0:1], 0x50
	s_waitcnt lgkmcnt(0)
	s_mul_i32 s7, s3, s7
	s_mul_hi_u32 s22, s3, s6
	s_mul_i32 s6, s3, s6
	s_add_i32 s7, s22, s7
	s_lshl_b64 s[6:7], s[6:7], 2
	s_add_u32 s4, s4, s6
	s_addc_u32 s5, s5, s7
	s_mul_i32 s17, s3, s17
	s_load_dword s6, s[4:5], 0x0
	s_mul_hi_u32 s4, s3, s16
	s_add_i32 s5, s4, s17
	s_mul_i32 s4, s3, s16
	s_lshl_b64 s[4:5], s[4:5], 2
	s_add_u32 s4, s14, s4
	s_addc_u32 s5, s15, s5
	s_load_dword s7, s[4:5], 0x0
	s_waitcnt lgkmcnt(0)
	v_cmp_eq_f32_e64 s[4:5], s6, 0
	v_cmp_eq_f32_e64 s[6:7], s7, 1.0
	s_and_b64 s[6:7], s[4:5], s[6:7]
	s_and_b64 vcc, exec, s[6:7]
	s_cbranch_vccnz .LBB71_126
; %bb.2:
	s_and_b64 vcc, exec, s[4:5]
	s_cbranch_vccnz .LBB71_126
; %bb.3:
	s_load_dword s33, s[20:21], 0x0
	s_load_dword s36, s[0:1], 0x0
	s_load_dwordx4 s[4:7], s[0:1], 0x30
	s_load_dwordx2 s[14:15], s[0:1], 0x40
	s_load_dword s35, s[0:1], 0x48
	s_mul_i32 s13, s3, s13
	s_mul_hi_u32 s16, s3, s12
	s_add_i32 s13, s16, s13
	s_mul_i32 s12, s3, s12
	s_lshl_b64 s[12:13], s[12:13], 2
	s_waitcnt lgkmcnt(0)
	s_add_u32 s12, s6, s12
	s_addc_u32 s13, s7, s13
	s_lshl_b64 s[6:7], s[14:15], 2
	s_add_u32 s6, s12, s6
	s_addc_u32 s7, s13, s7
	s_ashr_i32 s37, s36, 31
	s_lshr_b32 s13, s37, 26
	v_and_b32_e32 v6, 0x3ff, v0
	s_lshl_b32 s24, s2, 6
	s_add_i32 s13, s36, s13
	s_andn2_b32 s13, s13, 63
	v_add_u32_e32 v4, s24, v6
	v_bfe_u32 v5, v0, 10, 10
	s_add_i32 s12, s33, -1
	s_sub_i32 s34, s36, s13
	v_mul_lo_u32 v0, v4, s35
	s_cmp_eq_u32 s2, s12
	v_ashrrev_i32_e32 v1, 31, v0
	s_cselect_b32 s16, s34, 0
	v_lshl_add_u64 v[10:11], v[0:1], 2, s[6:7]
	v_cmp_eq_u32_e64 s[12:13], 0, v5
	s_and_saveexec_b64 s[6:7], s[12:13]
	s_cbranch_execz .LBB71_7
; %bb.4:
	s_cmp_eq_u32 s16, 0
	s_cselect_b64 s[14:15], -1, 0
	v_cmp_gt_i32_e32 vcc, s16, v6
	s_or_b64 s[20:21], s[14:15], vcc
	v_mov_b32_e32 v0, 0
	s_and_saveexec_b64 s[14:15], s[20:21]
	s_cbranch_execz .LBB71_6
; %bb.5:
	global_load_dword v0, v[10:11], off
.LBB71_6:
	s_or_b64 exec, exec, s[14:15]
	v_lshlrev_b32_e32 v1, 2, v6
	s_waitcnt vmcnt(0)
	ds_write_b32 v1, v0 offset:4544
.LBB71_7:
	s_or_b64 exec, exec, s[6:7]
	s_mul_i32 s5, s3, s5
	s_mul_hi_u32 s6, s3, s4
	s_add_i32 s5, s6, s5
	s_mul_i32 s4, s3, s4
	s_lshl_b64 s[4:5], s[4:5], 2
	s_add_u32 s6, s8, s4
	s_addc_u32 s7, s9, s5
	s_lshl_b64 s[4:5], s[10:11], 2
	s_load_dword s22, s[0:1], 0x28
	s_add_u32 s4, s6, s4
	s_addc_u32 s5, s7, s5
	s_ashr_i32 s25, s24, 31
	v_lshl_add_u32 v18, v5, 6, v6
	s_lshl_b64 s[0:1], s[24:25], 2
	v_and_b32_e32 v0, 31, v6
	v_lshrrev_b32_e32 v1, 5, v18
	s_add_u32 s4, s4, s0
	s_addc_u32 s5, s5, s1
	s_waitcnt lgkmcnt(0)
	v_mad_u64_u32 v[8:9], s[0:1], v1, s22, v[0:1]
	s_mul_i32 s0, s24, s22
	s_ashr_i32 s1, s0, 31
	s_lshl_b64 s[0:1], s[0:1], 2
	s_add_u32 s0, s0, s4
	s_addc_u32 s1, s1, s5
	s_cmp_eq_u32 s16, 0
	s_cselect_b64 s[20:21], -1, 0
	s_cmp_lg_u32 s16, 0
	v_ashrrev_i32_e32 v9, 31, v8
	s_cselect_b64 s[28:29], -1, 0
	v_lshl_add_u64 v[12:13], v[8:9], 2, s[0:1]
	s_and_b64 vcc, exec, s[28:29]
	v_cmp_gt_i32_e64 s[0:1], s16, v0
	v_lshlrev_b32_e32 v2, 2, v0
	s_cbranch_vccz .LBB71_17
; %bb.8:
	v_sub_co_u32_e32 v14, vcc, v12, v2
	s_ashr_i32 s17, s16, 31
	s_nop 0
	v_subbrev_co_u32_e32 v15, vcc, 0, v13, vcc
	v_lshl_add_u64 v[14:15], s[16:17], 2, v[14:15]
	v_lshl_add_u64 v[14:15], v[14:15], 0, -4
	v_cndmask_b32_e64 v15, v15, v13, s[0:1]
	v_cndmask_b32_e64 v14, v14, v12, s[0:1]
	v_cmp_gt_i32_e32 vcc, s16, v1
	v_mov_b32_e32 v7, 0
	v_mov_b32_e32 v16, 0
	s_and_saveexec_b64 s[4:5], vcc
	s_cbranch_execz .LBB71_10
; %bb.9:
	global_load_dword v16, v[14:15], off
.LBB71_10:
	s_or_b64 exec, exec, s[4:5]
	v_mul_u32_u24_e32 v3, 33, v1
	v_add_lshl_u32 v3, v3, v0, 2
	s_waitcnt vmcnt(0)
	ds_write_b32 v3, v16
	v_add_u32_e32 v16, 8, v1
	v_cmp_gt_i32_e32 vcc, s16, v16
	s_and_saveexec_b64 s[4:5], vcc
	s_cbranch_execz .LBB71_12
; %bb.11:
	s_lshl_b32 s6, s22, 3
	s_ashr_i32 s7, s6, 31
	v_lshl_add_u64 v[16:17], s[6:7], 2, v[14:15]
	global_load_dword v7, v[16:17], off
.LBB71_12:
	s_or_b64 exec, exec, s[4:5]
	s_waitcnt vmcnt(0)
	ds_write_b32 v3, v7 offset:1056
	v_add_u32_e32 v7, 16, v1
	v_cmp_gt_i32_e32 vcc, s16, v7
	v_mov_b32_e32 v7, 0
	v_mov_b32_e32 v16, 0
	s_and_saveexec_b64 s[4:5], vcc
	s_cbranch_execz .LBB71_14
; %bb.13:
	s_lshl_b32 s6, s22, 4
	s_ashr_i32 s7, s6, 31
	v_lshl_add_u64 v[16:17], s[6:7], 2, v[14:15]
	global_load_dword v16, v[16:17], off
.LBB71_14:
	s_or_b64 exec, exec, s[4:5]
	s_waitcnt vmcnt(0)
	ds_write_b32 v3, v16 offset:2112
	v_add_u32_e32 v16, 24, v1
	v_cmp_gt_i32_e32 vcc, s16, v16
	s_and_saveexec_b64 s[4:5], vcc
	s_cbranch_execz .LBB71_16
; %bb.15:
	s_mul_i32 s6, s22, 24
	s_ashr_i32 s7, s6, 31
	v_lshl_add_u64 v[16:17], s[6:7], 2, v[14:15]
	global_load_dword v7, v[16:17], off
.LBB71_16:
	s_or_b64 exec, exec, s[4:5]
	s_waitcnt vmcnt(0)
	ds_write_b32 v3, v7 offset:3168
	v_mov_b32_e32 v3, 0
	v_lshl_add_u64 v[14:15], v[14:15], 0, v[2:3]
	s_lshl_b64 s[4:5], s[16:17], 2
	v_mov_b32_e32 v3, s5
	v_subrev_co_u32_e32 v14, vcc, s4, v14
	s_nop 1
	v_subb_co_u32_e32 v15, vcc, v15, v3, vcc
	v_lshl_add_u64 v[14:15], v[14:15], 0, 4
	v_cndmask_b32_e64 v15, v15, v13, s[0:1]
	v_cndmask_b32_e64 v14, v14, v12, s[0:1]
	v_mul_u32_u24_e32 v19, 33, v1
	s_branch .LBB71_19
.LBB71_17:
                                        ; implicit-def: $vgpr14_vgpr15
	v_mul_u32_u24_e32 v19, 33, v1
	s_cbranch_execz .LBB71_19
; %bb.18:
	s_lshl_b32 s0, s22, 3
	s_ashr_i32 s1, s0, 31
	s_ashr_i32 s23, s22, 31
	v_lshl_add_u64 v[14:15], s[0:1], 2, v[12:13]
	global_load_dword v3, v[12:13], off
	global_load_dword v7, v[14:15], off
	s_lshl_b64 s[0:1], s[22:23], 5
	v_lshl_add_u64 v[14:15], v[14:15], 0, s[0:1]
	global_load_dword v16, v[14:15], off
	v_lshl_add_u64 v[14:15], v[14:15], 0, s[0:1]
	global_load_dword v14, v[14:15], off
	v_add_lshl_u32 v15, v19, v0, 2
	s_waitcnt vmcnt(3)
	ds_write_b32 v15, v3
	s_waitcnt vmcnt(2)
	ds_write_b32 v15, v7 offset:1056
	s_waitcnt vmcnt(1)
	ds_write_b32 v15, v16 offset:2112
	;; [unrolled: 2-line block ×3, first 2 shown]
	v_mov_b64_e32 v[14:15], v[12:13]
.LBB71_19:
	v_lshlrev_b32_e32 v20, 2, v1
	v_mul_u32_u24_e32 v21, 33, v0
	v_cmp_gt_u32_e64 s[4:5], v20, v0
	v_add_lshl_u32 v27, v20, v21, 2
	s_waitcnt lgkmcnt(0)
	s_barrier
	s_and_saveexec_b64 s[0:1], s[4:5]
	s_cbranch_execz .LBB71_21
; %bb.20:
	v_mul_u32_u24_e32 v3, 0x84, v1
	v_add_lshl_u32 v3, v3, v0, 2
	ds_read_b32 v3, v3
	s_waitcnt lgkmcnt(0)
	ds_write_b32 v27, v3
.LBB71_21:
	s_or_b64 exec, exec, s[0:1]
	v_cmp_ge_u32_e64 s[6:7], v20, v0
	s_and_saveexec_b64 s[0:1], s[6:7]
	s_cbranch_execz .LBB71_23
; %bb.22:
	v_or_b32_e32 v3, 1, v20
	v_mul_u32_u24_e32 v3, 33, v3
	v_add_lshl_u32 v3, v3, v0, 2
	ds_read_b32 v3, v3
	s_waitcnt lgkmcnt(0)
	ds_write_b32 v27, v3 offset:4
.LBB71_23:
	s_or_b64 exec, exec, s[0:1]
	v_or_b32_e32 v3, 2, v20
	v_cmp_gt_u32_e64 s[8:9], v3, v0
	s_and_saveexec_b64 s[0:1], s[8:9]
	s_cbranch_execz .LBB71_25
; %bb.24:
	v_mul_u32_u24_e32 v3, 33, v3
	v_add_lshl_u32 v3, v3, v0, 2
	ds_read_b32 v3, v3
	s_waitcnt lgkmcnt(0)
	ds_write_b32 v27, v3 offset:8
.LBB71_25:
	s_or_b64 exec, exec, s[0:1]
	v_or_b32_e32 v3, 3, v20
	v_cmp_gt_u32_e64 s[10:11], v3, v0
	v_mad_u32_u24 v3, v3, 33, v0
	v_lshlrev_b32_e32 v24, 2, v3
	s_and_saveexec_b64 s[0:1], s[10:11]
	s_cbranch_execz .LBB71_27
; %bb.26:
	ds_read_b32 v3, v24
	s_waitcnt lgkmcnt(0)
	ds_write_b32 v27, v3 offset:12
.LBB71_27:
	s_or_b64 exec, exec, s[0:1]
	v_mul_u32_u24_e32 v3, 0x84, v1
	v_add_u32_e32 v26, 0xfffffef8, v24
	s_waitcnt lgkmcnt(0)
	s_barrier
	v_add_lshl_u32 v25, v3, v0, 2
	v_lshlrev_b32_e32 v28, 2, v20
	ds_read2_b32 v[12:13], v26 offset1:33
	ds_read_b32 v16, v25
	ds_read_b128 v[30:33], v28 offset:4544
	ds_read_b32 v23, v24
	v_cmp_gt_u32_e64 s[0:1], 32, v18
	s_waitcnt lgkmcnt(3)
	v_mov_b32_e32 v17, v12
	v_mov_b32_e32 v22, v13
	s_waitcnt lgkmcnt(1)
	v_pk_mul_f32 v[16:17], v[16:17], v[30:31]
	s_waitcnt lgkmcnt(0)
	v_pk_mul_f32 v[12:13], v[22:23], v[32:33]
	v_add_f32_e32 v3, 0, v16
	v_add_f32_e32 v3, v3, v17
	;; [unrolled: 1-line block ×4, first 2 shown]
	v_add_lshl_u32 v23, v1, v21, 2
	v_mov_b32_e32 v7, 0
	v_lshlrev_b32_e32 v22, 2, v21
	s_barrier
	ds_write_b32 v23, v3
	s_waitcnt lgkmcnt(0)
	s_barrier
	s_and_saveexec_b64 s[14:15], s[0:1]
	s_cbranch_execz .LBB71_29
; %bb.28:
	ds_read2_b32 v[12:13], v22 offset1:1
	ds_read2_b32 v[16:17], v22 offset0:2 offset1:3
	ds_read2_b32 v[30:31], v22 offset0:4 offset1:5
	;; [unrolled: 1-line block ×3, first 2 shown]
	s_waitcnt lgkmcnt(3)
	v_add_f32_e32 v3, v12, v13
	s_waitcnt lgkmcnt(2)
	v_add_f32_e32 v3, v3, v16
	v_add_f32_e32 v3, v3, v17
	s_waitcnt lgkmcnt(1)
	v_add_f32_e32 v3, v3, v30
	;; [unrolled: 3-line block ×3, first 2 shown]
	v_add_f32_e32 v7, v3, v33
.LBB71_29:
	s_or_b64 exec, exec, s[14:15]
	s_lshl_b32 s26, s22, 5
	s_ashr_i32 s27, s26, 31
	v_lshl_add_u64 v[16:17], s[26:27], 2, v[14:15]
	s_mov_b64 s[14:15], 0x80
	v_lshl_add_u64 v[14:15], v[16:17], 0, s[14:15]
	s_and_b64 vcc, exec, s[28:29]
	s_barrier
	s_cbranch_vccz .LBB71_39
; %bb.30:
	v_sub_co_u32_e32 v12, vcc, v14, v2
	s_ashr_i32 s17, s16, 31
	s_nop 0
	v_subbrev_co_u32_e32 v13, vcc, 0, v15, vcc
	s_movk_i32 s14, 0xff7c
	v_or_b32_e32 v3, 32, v0
	v_lshl_add_u64 v[12:13], s[16:17], 2, v[12:13]
	s_mov_b32 s15, -1
	v_lshl_add_u64 v[12:13], v[12:13], 0, s[14:15]
	v_cmp_gt_i32_e32 vcc, s16, v3
	s_sub_i32 s23, s16, 32
	v_cmp_gt_i32_e64 s[14:15], s23, v1
	v_cndmask_b32_e32 v13, v13, v15, vcc
	v_cndmask_b32_e32 v12, v12, v14, vcc
	v_mov_b32_e32 v29, 0
	v_mov_b32_e32 v30, 0
	s_and_saveexec_b64 s[30:31], s[14:15]
	s_cbranch_execz .LBB71_32
; %bb.31:
	global_load_dword v30, v[12:13], off
.LBB71_32:
	s_or_b64 exec, exec, s[30:31]
	v_add_lshl_u32 v3, v19, v0, 2
	s_waitcnt vmcnt(0)
	ds_write_b32 v3, v30
	v_add_u32_e32 v30, 8, v1
	v_cmp_gt_i32_e64 s[14:15], s23, v30
	s_and_saveexec_b64 s[30:31], s[14:15]
	s_cbranch_execz .LBB71_34
; %bb.33:
	s_lshl_b32 s14, s22, 3
	s_ashr_i32 s15, s14, 31
	v_lshl_add_u64 v[30:31], s[14:15], 2, v[12:13]
	global_load_dword v29, v[30:31], off
.LBB71_34:
	s_or_b64 exec, exec, s[30:31]
	s_waitcnt vmcnt(0)
	ds_write_b32 v3, v29 offset:1056
	v_add_u32_e32 v29, 16, v1
	v_cmp_gt_i32_e64 s[14:15], s23, v29
	v_mov_b32_e32 v29, 0
	v_mov_b32_e32 v30, 0
	s_and_saveexec_b64 s[30:31], s[14:15]
	s_cbranch_execz .LBB71_36
; %bb.35:
	s_lshl_b32 s14, s22, 4
	s_ashr_i32 s15, s14, 31
	v_lshl_add_u64 v[30:31], s[14:15], 2, v[12:13]
	global_load_dword v30, v[30:31], off
.LBB71_36:
	s_or_b64 exec, exec, s[30:31]
	s_waitcnt vmcnt(0)
	ds_write_b32 v3, v30 offset:2112
	v_add_u32_e32 v30, 24, v1
	v_cmp_gt_i32_e64 s[14:15], s23, v30
	s_and_saveexec_b64 s[30:31], s[14:15]
	s_cbranch_execz .LBB71_38
; %bb.37:
	s_mul_i32 s14, s22, 24
	s_ashr_i32 s15, s14, 31
	v_lshl_add_u64 v[30:31], s[14:15], 2, v[12:13]
	global_load_dword v29, v[30:31], off
.LBB71_38:
	s_or_b64 exec, exec, s[30:31]
	s_waitcnt vmcnt(0)
	ds_write_b32 v3, v29 offset:3168
	v_mov_b32_e32 v3, 0
	v_lshl_add_u64 v[12:13], v[12:13], 0, v[2:3]
	s_lshl_b64 s[14:15], s[16:17], 2
	v_mov_b32_e32 v3, s15
	v_subrev_co_u32_e64 v12, s[14:15], s14, v12
	s_nop 1
	v_subb_co_u32_e64 v13, s[14:15], v13, v3, s[14:15]
	s_mov_b64 s[14:15], 0x84
	s_nop 0
	v_lshl_add_u64 v[12:13], v[12:13], 0, s[14:15]
	v_cndmask_b32_e32 v13, v13, v15, vcc
	v_cndmask_b32_e32 v12, v12, v14, vcc
	s_branch .LBB71_41
.LBB71_39:
                                        ; implicit-def: $vgpr12_vgpr13
	s_cbranch_execz .LBB71_41
; %bb.40:
	s_lshl_b32 s14, s22, 3
	s_ashr_i32 s15, s14, 31
	s_ashr_i32 s23, s22, 31
	v_lshl_add_u64 v[12:13], s[14:15], 2, v[16:17]
	s_lshl_b64 s[14:15], s[22:23], 5
	v_lshl_add_u64 v[30:31], v[12:13], 0, s[14:15]
	v_lshl_add_u64 v[32:33], v[30:31], 0, s[14:15]
	global_load_dword v3, v[16:17], off offset:128
	global_load_dword v29, v[12:13], off offset:128
	;; [unrolled: 1-line block ×4, first 2 shown]
	v_add_lshl_u32 v12, v19, v0, 2
	s_waitcnt vmcnt(3)
	ds_write_b32 v12, v3
	s_waitcnt vmcnt(2)
	ds_write_b32 v12, v29 offset:1056
	s_waitcnt vmcnt(1)
	ds_write_b32 v12, v34 offset:2112
	;; [unrolled: 2-line block ×3, first 2 shown]
	v_mov_b64_e32 v[12:13], v[14:15]
.LBB71_41:
	s_waitcnt lgkmcnt(0)
	s_barrier
	s_and_saveexec_b64 s[14:15], s[4:5]
	s_cbranch_execnz .LBB71_58
; %bb.42:
	s_or_b64 exec, exec, s[14:15]
	s_and_saveexec_b64 s[4:5], s[6:7]
	s_cbranch_execnz .LBB71_59
.LBB71_43:
	s_or_b64 exec, exec, s[4:5]
	s_and_saveexec_b64 s[4:5], s[8:9]
	s_cbranch_execnz .LBB71_60
.LBB71_44:
	s_or_b64 exec, exec, s[4:5]
	v_add_u32_e32 v28, 0x11c0, v28
	s_and_saveexec_b64 s[4:5], s[10:11]
	s_cbranch_execz .LBB71_46
.LBB71_45:
	ds_read_b32 v3, v24
	s_waitcnt lgkmcnt(0)
	ds_write_b32 v27, v3 offset:12
.LBB71_46:
	s_or_b64 exec, exec, s[4:5]
	s_waitcnt lgkmcnt(0)
	s_barrier
	ds_read_b32 v3, v25
	ds_read_b128 v[14:17], v28 offset:128
	ds_read2_b32 v[30:31], v26 offset1:33
	ds_read_b32 v27, v24
	v_cmp_eq_u32_e64 s[4:5], 1, v1
	s_waitcnt lgkmcnt(0)
	v_fma_f32 v3, v3, v14, 0
	v_fmac_f32_e32 v3, v30, v15
	v_fmac_f32_e32 v3, v31, v16
	;; [unrolled: 1-line block ×3, first 2 shown]
	s_barrier
	ds_write_b32 v23, v3
	s_waitcnt lgkmcnt(0)
	s_barrier
	s_and_saveexec_b64 s[6:7], s[4:5]
	s_cbranch_execz .LBB71_48
; %bb.47:
	ds_read2_b32 v[14:15], v22 offset1:1
	ds_read2_b32 v[16:17], v22 offset0:2 offset1:3
	ds_read2_b32 v[30:31], v22 offset0:4 offset1:5
	;; [unrolled: 1-line block ×3, first 2 shown]
	s_waitcnt lgkmcnt(3)
	v_add_f32_e32 v3, v14, v15
	s_waitcnt lgkmcnt(2)
	v_add_f32_e32 v3, v3, v16
	v_add_f32_e32 v3, v3, v17
	s_waitcnt lgkmcnt(1)
	v_add_f32_e32 v3, v3, v30
	;; [unrolled: 3-line block ×3, first 2 shown]
	v_add_f32_e32 v7, v3, v33
.LBB71_48:
	s_or_b64 exec, exec, s[6:7]
	s_movk_i32 s6, 0xff80
	s_mov_b32 s7, -1
	v_lshl_add_u64 v[14:15], v[12:13], 0, s[6:7]
	s_and_b64 vcc, exec, s[28:29]
	s_barrier
	s_cbranch_vccz .LBB71_61
; %bb.49:
	v_sub_co_u32_e32 v16, vcc, v12, v2
	s_ashr_i32 s17, s16, 31
	s_nop 0
	v_subbrev_co_u32_e32 v17, vcc, 0, v13, vcc
	s_movk_i32 s6, 0xff7c
	v_lshl_add_u64 v[16:17], s[16:17], 2, v[16:17]
	s_mov_b32 s7, -1
	v_lshl_add_u64 v[16:17], v[16:17], 0, s[6:7]
	v_cmp_gt_i32_e32 vcc, s16, v0
	s_sub_i32 s10, s16, 32
	v_cmp_gt_i32_e64 s[6:7], s10, v1
	v_cndmask_b32_e32 v17, v17, v15, vcc
	v_cndmask_b32_e32 v16, v16, v14, vcc
	v_mov_b32_e32 v29, 0
	v_mov_b32_e32 v27, 0
	s_and_saveexec_b64 s[8:9], s[6:7]
	s_cbranch_execz .LBB71_51
; %bb.50:
	global_load_dword v27, v[16:17], off
.LBB71_51:
	s_or_b64 exec, exec, s[8:9]
	v_add_lshl_u32 v3, v19, v0, 2
	s_waitcnt vmcnt(0)
	ds_write_b32 v3, v27
	v_add_u32_e32 v27, 8, v1
	v_cmp_gt_i32_e64 s[6:7], s10, v27
	s_and_saveexec_b64 s[8:9], s[6:7]
	s_cbranch_execz .LBB71_53
; %bb.52:
	s_lshl_b32 s6, s22, 3
	s_ashr_i32 s7, s6, 31
	v_lshl_add_u64 v[30:31], s[6:7], 2, v[16:17]
	global_load_dword v29, v[30:31], off
.LBB71_53:
	s_or_b64 exec, exec, s[8:9]
	s_waitcnt vmcnt(0)
	ds_write_b32 v3, v29 offset:1056
	v_add_u32_e32 v29, 16, v1
	v_cmp_gt_i32_e64 s[6:7], s10, v29
	v_mov_b32_e32 v31, 0
	v_mov_b32_e32 v30, 0
	s_and_saveexec_b64 s[8:9], s[6:7]
	s_cbranch_execz .LBB71_55
; %bb.54:
	s_lshl_b32 s6, s22, 4
	s_ashr_i32 s7, s6, 31
	v_lshl_add_u64 v[32:33], s[6:7], 2, v[16:17]
	global_load_dword v30, v[32:33], off
.LBB71_55:
	s_or_b64 exec, exec, s[8:9]
	s_waitcnt vmcnt(0)
	ds_write_b32 v3, v30 offset:2112
	v_add_u32_e32 v30, 24, v1
	v_cmp_gt_i32_e64 s[6:7], s10, v30
	s_and_saveexec_b64 s[8:9], s[6:7]
	s_cbranch_execz .LBB71_57
; %bb.56:
	s_mul_i32 s6, s22, 24
	s_ashr_i32 s7, s6, 31
	v_lshl_add_u64 v[32:33], s[6:7], 2, v[16:17]
	global_load_dword v31, v[32:33], off
.LBB71_57:
	s_or_b64 exec, exec, s[8:9]
	s_waitcnt vmcnt(0)
	ds_write_b32 v3, v31 offset:3168
	v_mov_b32_e32 v3, 0
	v_lshl_add_u64 v[2:3], v[16:17], 0, v[2:3]
	s_lshl_b64 s[6:7], s[16:17], 2
	v_mov_b32_e32 v16, s7
	v_subrev_co_u32_e64 v2, s[6:7], s6, v2
	s_nop 1
	v_subb_co_u32_e64 v3, s[6:7], v3, v16, s[6:7]
	v_lshl_add_u64 v[2:3], v[2:3], 0, 4
	v_cndmask_b32_e32 v59, v3, v15, vcc
	v_cndmask_b32_e32 v58, v2, v14, vcc
	s_branch .LBB71_63
.LBB71_58:
	ds_read_b32 v3, v25
	s_waitcnt lgkmcnt(0)
	ds_write_b32 v27, v3
	s_or_b64 exec, exec, s[14:15]
	s_and_saveexec_b64 s[4:5], s[6:7]
	s_cbranch_execz .LBB71_43
.LBB71_59:
	ds_read_b32 v3, v26
	s_waitcnt lgkmcnt(0)
	ds_write_b32 v27, v3 offset:4
	s_or_b64 exec, exec, s[4:5]
	s_and_saveexec_b64 s[4:5], s[8:9]
	s_cbranch_execz .LBB71_44
.LBB71_60:
	ds_read_b32 v3, v26 offset:132
	s_waitcnt lgkmcnt(0)
	ds_write_b32 v27, v3 offset:8
	s_or_b64 exec, exec, s[4:5]
	v_add_u32_e32 v28, 0x11c0, v28
	s_and_saveexec_b64 s[4:5], s[10:11]
	s_cbranch_execnz .LBB71_45
	s_branch .LBB71_46
.LBB71_61:
                                        ; implicit-def: $vgpr58_vgpr59
                                        ; implicit-def: $vgpr27
                                        ; implicit-def: $vgpr29
                                        ; implicit-def: $vgpr30
	s_cbranch_execz .LBB71_63
; %bb.62:
	s_lshl_b32 s6, s22, 3
	s_ashr_i32 s7, s6, 31
	s_ashr_i32 s23, s22, 31
	v_lshl_add_u64 v[2:3], s[6:7], 2, v[12:13]
	s_lshl_b64 s[6:7], s[22:23], 5
	global_load_dword v16, v[12:13], off offset:-128
	v_lshl_add_u64 v[12:13], v[2:3], 0, s[6:7]
	global_load_dword v17, v[2:3], off offset:-128
	global_load_dword v31, v[12:13], off offset:-128
	v_lshl_add_u64 v[2:3], v[12:13], 0, s[6:7]
	global_load_dword v2, v[2:3], off offset:-128
	v_add_lshl_u32 v0, v19, v0, 2
	v_add_u32_e32 v27, 8, v1
	v_add_u32_e32 v29, 16, v1
	;; [unrolled: 1-line block ×3, first 2 shown]
	v_mov_b64_e32 v[58:59], v[14:15]
	s_waitcnt vmcnt(3)
	ds_write_b32 v0, v16
	s_waitcnt vmcnt(2)
	ds_write_b32 v0, v17 offset:1056
	s_waitcnt vmcnt(1)
	ds_write_b32 v0, v31 offset:2112
	s_waitcnt vmcnt(0)
	ds_write_b32 v0, v2 offset:3168
.LBB71_63:
	v_add_lshl_u32 v15, v27, v21, 2
	v_lshlrev_b32_e32 v16, 2, v27
	v_add_lshl_u32 v17, v29, v21, 2
	v_lshlrev_b32_e32 v19, 2, v29
	;; [unrolled: 2-line block ×3, first 2 shown]
	s_waitcnt lgkmcnt(0)
	s_barrier
	ds_read_b32 v20, v20 offset:4544
	ds_read_b32 v14, v25
	ds_read_b32 v25, v23
	ds_read_b128 v[0:3], v28 offset:128
	ds_read2_b32 v[12:13], v26 offset1:33
	ds_read_b32 v26, v15
	ds_read_b32 v16, v16 offset:4544
	ds_read_b32 v17, v17
	ds_read_b32 v19, v19 offset:4544
	;; [unrolled: 2-line block ×3, first 2 shown]
	ds_read_b32 v15, v24
	s_waitcnt lgkmcnt(9)
	v_fma_f32 v20, v25, v20, 0
	s_waitcnt lgkmcnt(5)
	v_fmac_f32_e32 v20, v26, v16
	s_waitcnt lgkmcnt(3)
	v_fmac_f32_e32 v20, v17, v19
	;; [unrolled: 2-line block ×3, first 2 shown]
	s_waitcnt lgkmcnt(0)
	s_barrier
	ds_write_b32 v23, v20
	s_waitcnt lgkmcnt(0)
	s_barrier
	s_and_saveexec_b64 s[6:7], s[4:5]
	s_cbranch_execz .LBB71_65
; %bb.64:
	ds_read2_b32 v[16:17], v22 offset1:1
	ds_read2_b32 v[20:21], v22 offset0:2 offset1:3
	ds_read2_b32 v[24:25], v22 offset0:4 offset1:5
	;; [unrolled: 1-line block ×3, first 2 shown]
	s_waitcnt lgkmcnt(3)
	v_add_f32_e32 v7, v7, v16
	v_add_f32_e32 v7, v7, v17
	s_waitcnt lgkmcnt(2)
	v_add_f32_e32 v7, v7, v20
	v_add_f32_e32 v7, v7, v21
	;; [unrolled: 3-line block ×4, first 2 shown]
.LBB71_65:
	s_or_b64 exec, exec, s[6:7]
	v_fma_f32 v0, v14, v0, 0
	v_fmac_f32_e32 v0, v12, v1
	v_fmac_f32_e32 v0, v13, v2
	;; [unrolled: 1-line block ×3, first 2 shown]
	s_barrier
	ds_write_b32 v23, v0
	s_waitcnt lgkmcnt(0)
	s_barrier
	s_and_saveexec_b64 s[4:5], s[0:1]
	s_cbranch_execz .LBB71_67
; %bb.66:
	ds_read2_b32 v[0:1], v22 offset1:1
	ds_read2_b32 v[2:3], v22 offset0:2 offset1:3
	ds_read2_b32 v[12:13], v22 offset0:4 offset1:5
	ds_read2_b32 v[14:15], v22 offset0:6 offset1:7
	s_waitcnt lgkmcnt(3)
	v_add_f32_e32 v0, v7, v0
	v_add_f32_e32 v0, v0, v1
	s_waitcnt lgkmcnt(2)
	v_add_f32_e32 v0, v0, v2
	v_add_f32_e32 v0, v0, v3
	;; [unrolled: 3-line block ×4, first 2 shown]
.LBB71_67:
	s_or_b64 exec, exec, s[4:5]
	s_mul_hi_u32 s0, s36, s3
	s_mul_i32 s37, s37, s3
	s_add_i32 s0, s0, s37
	s_mul_i32 s3, s36, s3
	s_mul_i32 s0, s0, s33
	s_mul_hi_u32 s1, s3, s33
	s_add_i32 s1, s1, s0
	s_mul_i32 s0, s3, s33
	s_lshl_b64 s[0:1], s[0:1], 2
	s_add_u32 s3, s18, s0
	s_addc_u32 s4, s19, s1
	s_mul_hi_i32 s1, s36, s2
	s_mul_i32 s0, s36, s2
	s_lshl_b64 s[0:1], s[0:1], 2
	s_add_u32 s6, s3, s0
	s_addc_u32 s7, s4, s1
	s_add_i32 s8, s2, 1
	s_cmp_ge_u32 s8, s33
	v_lshlrev_b32_e32 v74, 2, v6
	s_barrier
	s_cbranch_scc1 .LBB71_124
; %bb.68:
	s_mul_i32 s0, s24, s35
	s_ashr_i32 s1, s0, 31
	s_lshl_b64 s[0:1], s[0:1], 2
	v_and_b32_e32 v12, 48, v6
	v_lshlrev_b32_e32 v75, 2, v5
	v_subrev_co_u32_e32 v0, vcc, s0, v10
	v_and_b32_e32 v10, 15, v6
	v_lshlrev_b32_e32 v13, 2, v12
	s_movk_i32 s9, 0x10c
	v_mov_b32_e32 v1, s1
	v_mad_u64_u32 v[34:35], s[0:1], v75, s22, v[6:7]
	v_mad_u32_u24 v76, v10, s9, v13
	v_or_b32_e32 v13, 60, v74
	v_ashrrev_i32_e32 v35, 31, v34
	v_mad_u32_u24 v77, v10, s9, v13
	v_and_b32_e32 v13, 0x1fff0, v18
	s_lshl_b32 s4, s22, 4
	v_mad_u32_u24 v78, v10, s9, v13
	v_mov_b32_e32 v13, 0x10c0
	v_add_u32_e32 v12, s24, v12
	v_lshlrev_b64 v[14:15], 2, v[34:35]
	s_lshl_b32 s17, s35, 6
	s_ashr_i32 s5, s4, 31
	s_ashr_i32 s23, s22, 31
	s_lshl_b32 s28, s22, 1
	s_mul_i32 s30, s22, 3
	v_lshl_add_u32 v79, v5, 4, v13
	s_mul_i32 s35, s35, s8
	v_add3_u32 v10, v12, v10, 64
	v_lshlrev_b64 v[12:13], 2, v[8:9]
	v_mad_i64_i32 v[8:9], s[24:25], v8, -4, v[14:15]
	s_lshl_b64 s[14:15], s[26:27], 2
	s_add_i32 s3, s33, -2
	s_ashr_i32 s29, s28, 31
	s_ashr_i32 s31, s30, 31
	s_lshl_b64 s[18:19], s[22:23], 2
	s_lshl_b32 s8, s35, 6
	s_lshl_b64 s[10:11], s[4:5], 4
	s_lshl_b64 s[24:25], s[22:23], 3
	v_lshl_add_u64 v[16:17], s[26:27], 0, v[34:35]
	s_add_u32 s36, s24, s14
	v_lshlrev_b64 v[48:49], 2, v[16:17]
	s_addc_u32 s37, s25, s15
	v_mad_i64_i32 v[16:17], s[38:39], s22, 12, v[48:49]
	s_add_u32 s38, s18, s14
	s_addc_u32 s39, s19, s15
	s_lshl_b64 s[28:29], s[28:29], 2
	s_add_u32 s40, s14, s28
	s_addc_u32 s41, s15, s29
	s_lshl_b64 s[30:31], s[30:31], 2
	v_lshl_add_u64 v[20:21], v[58:59], 0, s[40:41]
	s_add_u32 s40, s14, s30
	s_addc_u32 s41, s15, s31
	v_lshl_add_u64 v[22:23], v[58:59], 0, s[40:41]
	s_lshl_b64 s[40:41], s[4:5], 2
	s_add_u32 s42, s14, s40
	s_addc_u32 s43, s15, s41
	v_subb_co_u32_e32 v1, vcc, v11, v1, vcc
	v_lshrrev_b32_e32 v11, 4, v18
	v_cmp_gt_u32_e64 s[0:1], 64, v18
	v_lshl_add_u64 v[18:19], v[58:59], 0, s[38:39]
	s_add_u32 s38, s38, s40
	s_addc_u32 s39, s39, s41
	v_lshl_add_u64 v[26:27], v[58:59], 0, s[38:39]
	s_add_u32 s38, s42, s28
	s_addc_u32 s39, s43, s29
	;; [unrolled: 3-line block ×4, first 2 shown]
	s_add_u32 s26, s26, s4
	s_addc_u32 s27, s27, s5
	v_lshl_add_u64 v[34:35], s[26:27], 0, v[34:35]
	v_lshlrev_b64 v[34:35], 2, v[34:35]
	v_mad_i64_i32 v[34:35], s[26:27], s22, 12, v[34:35]
	s_lshl_b64 s[26:27], s[4:5], 3
	v_lshl_add_u64 v[2:3], v[58:59], 0, s[14:15]
	s_add_u32 s14, s26, s14
	s_addc_u32 s15, s27, s15
	v_lshl_add_u64 v[32:33], v[58:59], 0, s[38:39]
	s_add_u32 s38, s14, s18
	s_addc_u32 s39, s15, s19
	s_add_u32 s40, s14, s28
	s_addc_u32 s41, s15, s29
	v_lshl_add_u64 v[36:37], v[58:59], 0, s[14:15]
	s_add_u32 s14, s14, s30
	s_addc_u32 s15, s15, s31
	v_lshl_add_u64 v[14:15], v[58:59], 0, s[36:37]
	s_add_u32 s36, s36, s26
	s_mul_i32 s44, s22, 12
	s_addc_u32 s37, s37, s27
	s_mul_hi_i32 s35, s22, 12
	s_add_u32 s26, s44, s26
	s_addc_u32 s27, s35, s27
	v_lshl_add_u64 v[38:39], s[26:27], 0, v[48:49]
	s_mul_i32 s35, s22, 0xc0
	v_mad_i64_i32 v[46:47], s[26:27], s4, 12, v[48:49]
	v_lshl_add_u64 v[24:25], v[58:59], 0, s[42:43]
	s_mul_hi_i32 s42, s4, 12
	v_lshl_add_u64 v[42:43], v[46:47], 0, s[18:19]
	s_add_u32 s18, s35, s24
	s_addc_u32 s19, s42, s25
	s_add_u32 s4, s22, s4
	s_addc_u32 s22, s23, s5
	v_mad_u64_u32 v[50:51], s[4:5], s4, 12, v[48:49]
	v_mov_b32_e32 v44, v51
	v_mad_u64_u32 v[44:45], s[4:5], s22, 12, v[44:45]
	s_movk_i32 s9, 0x430
	v_mul_i32_i24_e32 v11, -12, v11
	v_sub_co_u32_e32 v12, vcc, 0, v12
	v_lshl_add_u64 v[40:41], v[58:59], 0, v[46:47]
	v_mov_b32_e32 v51, v44
	v_lshl_add_u64 v[44:45], v[46:47], 0, s[28:29]
	v_lshl_add_u64 v[46:47], v[46:47], 0, s[30:31]
	v_lshl_add_u64 v[48:49], s[18:19], 0, v[48:49]
	v_subb_co_u32_e32 v13, vcc, 0, v13, vcc
	v_lshl_add_u64 v[16:17], v[58:59], 0, v[16:17]
	v_lshl_add_u64 v[34:35], v[58:59], 0, v[34:35]
	;; [unrolled: 1-line block ×12, first 2 shown]
	v_add_u32_e32 v80, v78, v11
	v_add_u32_e32 v81, 0x10c0, v74
	;; [unrolled: 1-line block ×3, first 2 shown]
	v_or_b32_e32 v83, 1, v75
	v_or_b32_e32 v84, 2, v75
	v_or_b32_e32 v85, 3, v75
	v_mad_u32_u24 v86, v5, s9, v74
	v_add_u32_e32 v87, 16, v75
	v_add_u32_e32 v88, 17, v75
	;; [unrolled: 1-line block ×12, first 2 shown]
	s_cmp_eq_u32 s3, s2
	s_cselect_b32 s22, s34, 0
	s_and_saveexec_b64 s[4:5], s[12:13]
	s_cbranch_execz .LBB71_72
.LBB71_69:
	s_cmp_eq_u32 s22, 0
	s_cselect_b64 s[14:15], -1, 0
	v_cmp_gt_i32_e32 vcc, s22, v6
	s_or_b64 s[18:19], s[14:15], vcc
	v_mov_b32_e32 v11, 0
	s_and_saveexec_b64 s[14:15], s[18:19]
	s_cbranch_execz .LBB71_71
; %bb.70:
	s_ashr_i32 s9, s8, 31
	v_lshl_add_u64 v[60:61], s[8:9], 2, v[0:1]
	global_load_dword v11, v[60:61], off
.LBB71_71:
	s_or_b64 exec, exec, s[14:15]
	s_waitcnt vmcnt(0)
	ds_write_b32 v81, v11
.LBB71_72:                              ; =>This Inner Loop Header: Depth=1
	s_or_b64 exec, exec, s[4:5]
	s_cmp_eq_u32 s22, 0
	s_cselect_b64 s[14:15], -1, 0
	s_cmp_lg_u32 s22, 0
	s_cselect_b64 s[18:19], -1, 0
	v_lshl_add_u64 v[60:61], v[2:3], 0, v[8:9]
	s_and_b64 vcc, exec, s[18:19]
	s_waitcnt lgkmcnt(0)
	s_barrier
	s_cbranch_vccz .LBB71_120
; %bb.73:                               ;   in Loop: Header=BB71_72 Depth=1
	v_cmp_gt_i32_e32 vcc, s22, v75
	v_mov_b32_e32 v99, 0
	v_mov_b32_e32 v100, 0
	s_and_saveexec_b64 s[4:5], vcc
	s_cbranch_execz .LBB71_75
; %bb.74:                               ;   in Loop: Header=BB71_72 Depth=1
	global_load_dword v100, v[60:61], off
.LBB71_75:                              ;   in Loop: Header=BB71_72 Depth=1
	s_or_b64 exec, exec, s[4:5]
	v_cmp_gt_i32_e32 vcc, s22, v83
	s_and_saveexec_b64 s[4:5], vcc
	s_cbranch_execz .LBB71_77
; %bb.76:                               ;   in Loop: Header=BB71_72 Depth=1
	v_lshl_add_u64 v[62:63], v[18:19], 0, v[8:9]
	global_load_dword v99, v[62:63], off
.LBB71_77:                              ;   in Loop: Header=BB71_72 Depth=1
	s_or_b64 exec, exec, s[4:5]
	v_cmp_gt_i32_e32 vcc, s22, v84
	v_mov_b32_e32 v101, 0
	v_mov_b32_e32 v102, 0
	s_and_saveexec_b64 s[4:5], vcc
	s_cbranch_execz .LBB71_79
; %bb.78:                               ;   in Loop: Header=BB71_72 Depth=1
	v_lshl_add_u64 v[62:63], v[20:21], 0, v[8:9]
	global_load_dword v102, v[62:63], off
.LBB71_79:                              ;   in Loop: Header=BB71_72 Depth=1
	s_or_b64 exec, exec, s[4:5]
	v_cmp_gt_i32_e32 vcc, s22, v85
	s_and_saveexec_b64 s[4:5], vcc
	s_cbranch_execz .LBB71_81
; %bb.80:                               ;   in Loop: Header=BB71_72 Depth=1
	v_lshl_add_u64 v[62:63], v[22:23], 0, v[8:9]
	global_load_dword v101, v[62:63], off
.LBB71_81:                              ;   in Loop: Header=BB71_72 Depth=1
	s_or_b64 exec, exec, s[4:5]
	s_branch .LBB71_83
.LBB71_82:                              ;   in Loop: Header=BB71_72 Depth=1
	global_load_dword v100, v[60:61], off
	v_lshl_add_u64 v[60:61], v[18:19], 0, v[8:9]
	global_load_dword v99, v[60:61], off
	v_lshl_add_u64 v[60:61], v[14:15], 0, v[8:9]
	global_load_dword v102, v[60:61], off
	v_lshl_add_u64 v[60:61], v[16:17], 0, v[12:13]
	global_load_dword v101, v[60:61], off
.LBB71_83:                              ;   in Loop: Header=BB71_72 Depth=1
	ds_read_b32 v11, v82
	ds_read_b32 v103, v79
	s_andn2_b64 vcc, exec, s[18:19]
	v_lshl_add_u64 v[64:65], v[24:25], 0, v[8:9]
	s_waitcnt vmcnt(0) lgkmcnt(1)
	v_mul_f32_e32 v60, v100, v11
	v_mul_f32_e32 v61, v99, v11
	ds_write_b32 v86, v60
	v_mul_f32_e32 v62, v102, v11
	ds_read_b32 v104, v79 offset:4
	ds_write_b32 v86, v61 offset:268
	ds_read_b32 v105, v79 offset:8
	ds_write_b32 v86, v62 offset:536
	v_mul_f32_e32 v11, v101, v11
	ds_read_b32 v106, v79 offset:12
	ds_write_b32 v86, v11 offset:804
	s_waitcnt lgkmcnt(0)
	s_barrier
	ds_read2_b32 v[62:63], v78 offset1:1
	ds_read2_b32 v[60:61], v78 offset0:2 offset1:3
	v_cndmask_b32_e64 v11, 0, 1, s[18:19]
	v_cmp_ne_u32_e64 s[4:5], 1, v11
	s_waitcnt lgkmcnt(0)
	s_barrier
	s_cbranch_vccnz .LBB71_121
; %bb.84:                               ;   in Loop: Header=BB71_72 Depth=1
	v_cmp_gt_i32_e32 vcc, s22, v87
	v_mov_b32_e32 v107, 0
	v_mov_b32_e32 v108, 0
	s_and_saveexec_b64 s[18:19], vcc
	s_cbranch_execz .LBB71_86
; %bb.85:                               ;   in Loop: Header=BB71_72 Depth=1
	global_load_dword v108, v[64:65], off
.LBB71_86:                              ;   in Loop: Header=BB71_72 Depth=1
	s_or_b64 exec, exec, s[18:19]
	v_cmp_gt_i32_e32 vcc, s22, v88
	s_and_saveexec_b64 s[18:19], vcc
	s_cbranch_execz .LBB71_88
; %bb.87:                               ;   in Loop: Header=BB71_72 Depth=1
	v_lshl_add_u64 v[66:67], v[26:27], 0, v[8:9]
	global_load_dword v107, v[66:67], off
.LBB71_88:                              ;   in Loop: Header=BB71_72 Depth=1
	s_or_b64 exec, exec, s[18:19]
	v_cmp_gt_i32_e32 vcc, s22, v89
	v_mov_b32_e32 v109, 0
	v_mov_b32_e32 v110, 0
	s_and_saveexec_b64 s[18:19], vcc
	s_cbranch_execz .LBB71_90
; %bb.89:                               ;   in Loop: Header=BB71_72 Depth=1
	v_lshl_add_u64 v[66:67], v[28:29], 0, v[8:9]
	global_load_dword v110, v[66:67], off
.LBB71_90:                              ;   in Loop: Header=BB71_72 Depth=1
	s_or_b64 exec, exec, s[18:19]
	v_cmp_gt_i32_e32 vcc, s22, v90
	s_and_saveexec_b64 s[18:19], vcc
	s_cbranch_execz .LBB71_92
; %bb.91:                               ;   in Loop: Header=BB71_72 Depth=1
	v_lshl_add_u64 v[66:67], v[30:31], 0, v[8:9]
	global_load_dword v109, v[66:67], off
.LBB71_92:                              ;   in Loop: Header=BB71_72 Depth=1
	s_or_b64 exec, exec, s[18:19]
	s_branch .LBB71_94
.LBB71_93:                              ;   in Loop: Header=BB71_72 Depth=1
	global_load_dword v108, v[64:65], off
	v_lshl_add_u64 v[64:65], v[26:27], 0, v[8:9]
	global_load_dword v107, v[64:65], off
	v_lshl_add_u64 v[64:65], v[32:33], 0, v[8:9]
	;; [unrolled: 2-line block ×3, first 2 shown]
	global_load_dword v109, v[64:65], off
.LBB71_94:                              ;   in Loop: Header=BB71_72 Depth=1
	ds_read_b32 v11, v82
	ds_read_b32 v111, v79 offset:64
	s_and_b64 vcc, exec, s[4:5]
	v_lshl_add_u64 v[68:69], v[36:37], 0, v[8:9]
	s_waitcnt vmcnt(0) lgkmcnt(1)
	v_mul_f32_e32 v64, v108, v11
	v_mul_f32_e32 v65, v107, v11
	ds_write_b32 v86, v64
	v_mul_f32_e32 v66, v110, v11
	ds_read_b32 v112, v79 offset:68
	ds_write_b32 v86, v65 offset:268
	ds_read_b32 v113, v79 offset:72
	ds_write_b32 v86, v66 offset:536
	v_mul_f32_e32 v11, v109, v11
	ds_read_b32 v114, v79 offset:76
	ds_write_b32 v86, v11 offset:804
	s_waitcnt lgkmcnt(0)
	s_barrier
	ds_read2_b32 v[66:67], v78 offset1:1
	ds_read2_b32 v[64:65], v78 offset0:2 offset1:3
	s_waitcnt lgkmcnt(0)
	s_barrier
	s_cbranch_vccnz .LBB71_122
; %bb.95:                               ;   in Loop: Header=BB71_72 Depth=1
	v_cmp_gt_i32_e32 vcc, s22, v91
	v_mov_b32_e32 v115, 0
	v_mov_b32_e32 v116, 0
	s_and_saveexec_b64 s[18:19], vcc
	s_cbranch_execz .LBB71_97
; %bb.96:                               ;   in Loop: Header=BB71_72 Depth=1
	global_load_dword v116, v[68:69], off
.LBB71_97:                              ;   in Loop: Header=BB71_72 Depth=1
	s_or_b64 exec, exec, s[18:19]
	v_cmp_gt_i32_e32 vcc, s22, v92
	s_and_saveexec_b64 s[18:19], vcc
	s_cbranch_execz .LBB71_99
; %bb.98:                               ;   in Loop: Header=BB71_72 Depth=1
	v_lshl_add_u64 v[70:71], v[52:53], 0, v[8:9]
	global_load_dword v115, v[70:71], off
.LBB71_99:                              ;   in Loop: Header=BB71_72 Depth=1
	s_or_b64 exec, exec, s[18:19]
	v_cmp_gt_i32_e32 vcc, s22, v93
	v_mov_b32_e32 v117, 0
	v_mov_b32_e32 v118, 0
	s_and_saveexec_b64 s[18:19], vcc
	s_cbranch_execz .LBB71_101
; %bb.100:                              ;   in Loop: Header=BB71_72 Depth=1
	v_lshl_add_u64 v[70:71], v[54:55], 0, v[8:9]
	global_load_dword v118, v[70:71], off
.LBB71_101:                             ;   in Loop: Header=BB71_72 Depth=1
	s_or_b64 exec, exec, s[18:19]
	v_cmp_gt_i32_e32 vcc, s22, v94
	s_and_saveexec_b64 s[18:19], vcc
	s_cbranch_execz .LBB71_103
; %bb.102:                              ;   in Loop: Header=BB71_72 Depth=1
	v_lshl_add_u64 v[70:71], v[56:57], 0, v[8:9]
	global_load_dword v117, v[70:71], off
.LBB71_103:                             ;   in Loop: Header=BB71_72 Depth=1
	s_or_b64 exec, exec, s[18:19]
	s_branch .LBB71_105
.LBB71_104:                             ;   in Loop: Header=BB71_72 Depth=1
	global_load_dword v116, v[68:69], off
	v_lshl_add_u64 v[68:69], v[52:53], 0, v[8:9]
	global_load_dword v115, v[68:69], off
	v_lshl_add_u64 v[68:69], v[58:59], 0, v[8:9]
	;; [unrolled: 2-line block ×3, first 2 shown]
	global_load_dword v117, v[68:69], off
.LBB71_105:                             ;   in Loop: Header=BB71_72 Depth=1
	ds_read_b32 v11, v82
	ds_read_b32 v119, v79 offset:128
	s_and_b64 vcc, exec, s[4:5]
	v_lshl_add_u64 v[72:73], v[40:41], 0, v[12:13]
	s_waitcnt vmcnt(0) lgkmcnt(1)
	v_mul_f32_e32 v68, v116, v11
	v_mul_f32_e32 v69, v115, v11
	ds_write_b32 v86, v68
	v_mul_f32_e32 v70, v118, v11
	ds_read_b32 v120, v79 offset:132
	ds_write_b32 v86, v69 offset:268
	ds_read_b32 v121, v79 offset:136
	ds_write_b32 v86, v70 offset:536
	v_mul_f32_e32 v11, v117, v11
	ds_read_b32 v122, v79 offset:140
	ds_write_b32 v86, v11 offset:804
	s_waitcnt lgkmcnt(0)
	s_barrier
	ds_read2_b32 v[70:71], v78 offset1:1
	ds_read2_b32 v[68:69], v78 offset0:2 offset1:3
	s_waitcnt lgkmcnt(0)
	s_barrier
	s_cbranch_vccnz .LBB71_123
; %bb.106:                              ;   in Loop: Header=BB71_72 Depth=1
	v_cmp_gt_i32_e32 vcc, s22, v95
	v_mov_b32_e32 v123, 0
	v_mov_b32_e32 v124, 0
	s_and_saveexec_b64 s[4:5], vcc
	s_cbranch_execz .LBB71_108
; %bb.107:                              ;   in Loop: Header=BB71_72 Depth=1
	global_load_dword v124, v[72:73], off
.LBB71_108:                             ;   in Loop: Header=BB71_72 Depth=1
	s_or_b64 exec, exec, s[4:5]
	v_cmp_gt_i32_e32 vcc, s22, v96
	s_and_saveexec_b64 s[4:5], vcc
	s_cbranch_execz .LBB71_110
; %bb.109:                              ;   in Loop: Header=BB71_72 Depth=1
	v_lshl_add_u64 v[126:127], v[42:43], 0, v[12:13]
	global_load_dword v123, v[126:127], off
.LBB71_110:                             ;   in Loop: Header=BB71_72 Depth=1
	s_or_b64 exec, exec, s[4:5]
	v_cmp_gt_i32_e32 vcc, s22, v97
	v_mov_b32_e32 v125, 0
	v_mov_b32_e32 v126, 0
	s_and_saveexec_b64 s[4:5], vcc
	s_cbranch_execz .LBB71_112
; %bb.111:                              ;   in Loop: Header=BB71_72 Depth=1
	v_lshl_add_u64 v[126:127], v[44:45], 0, v[12:13]
	global_load_dword v126, v[126:127], off
.LBB71_112:                             ;   in Loop: Header=BB71_72 Depth=1
	s_or_b64 exec, exec, s[4:5]
	v_cmp_gt_i32_e32 vcc, s22, v98
	s_and_saveexec_b64 s[4:5], vcc
	s_cbranch_execz .LBB71_114
; %bb.113:                              ;   in Loop: Header=BB71_72 Depth=1
	v_lshl_add_u64 v[128:129], v[46:47], 0, v[12:13]
	global_load_dword v125, v[128:129], off
.LBB71_114:                             ;   in Loop: Header=BB71_72 Depth=1
	s_or_b64 exec, exec, s[4:5]
	s_branch .LBB71_116
.LBB71_115:                             ;   in Loop: Header=BB71_72 Depth=1
	global_load_dword v124, v[72:73], off
	v_lshl_add_u64 v[72:73], v[42:43], 0, v[12:13]
	global_load_dword v123, v[72:73], off
	v_lshl_add_u64 v[72:73], v[48:49], 0, v[12:13]
	global_load_dword v126, v[72:73], off
	v_lshl_add_u64 v[72:73], v[50:51], 0, v[12:13]
	global_load_dword v125, v[72:73], off
.LBB71_116:                             ;   in Loop: Header=BB71_72 Depth=1
	v_add_f32_e32 v66, 0, v66
	v_add_f32_e32 v66, v66, v67
	ds_read_b32 v67, v82
	v_add_f32_e32 v64, v66, v64
	v_add_f32_e32 v11, 0, v70
	;; [unrolled: 1-line block ×4, first 2 shown]
	ds_read_b32 v62, v79 offset:192
	s_waitcnt vmcnt(0) lgkmcnt(1)
	v_mul_f32_e32 v64, v124, v67
	ds_write_b32 v86, v64
	v_mul_f32_e32 v65, v123, v67
	v_add_f32_e32 v11, v11, v71
	ds_read_b32 v64, v79 offset:196
	ds_write_b32 v86, v65 offset:268
	v_mul_f32_e32 v66, v126, v67
	v_add_f32_e32 v11, v11, v68
	ds_read_b32 v65, v79 offset:200
	ds_write_b32 v86, v66 offset:536
	;; [unrolled: 4-line block ×3, first 2 shown]
	s_waitcnt lgkmcnt(0)
	s_barrier
	ds_read2_b32 v[68:69], v78 offset1:1
	v_add_f32_e32 v63, v70, v63
	ds_read2_b32 v[70:71], v78 offset0:2 offset1:3
	v_add_f32_e32 v60, v63, v60
	v_add_f32_e32 v60, v60, v61
	s_waitcnt lgkmcnt(1)
	v_add_f32_e32 v61, 0, v68
	v_cmp_gt_i32_e32 vcc, s22, v6
	v_add_f32_e32 v61, v61, v69
	s_or_b64 s[4:5], s[14:15], vcc
	s_waitcnt lgkmcnt(0)
	v_add_f32_e32 v61, v61, v70
	s_and_b64 s[14:15], s[0:1], s[4:5]
	v_add_f32_e32 v61, v61, v71
	s_barrier
	ds_write2_b32 v80, v60, v72 offset1:16
	ds_write2_b32 v80, v11, v61 offset0:32 offset1:48
	s_waitcnt lgkmcnt(0)
	s_barrier
	s_and_saveexec_b64 s[4:5], s[14:15]
	s_cbranch_execz .LBB71_118
; %bb.117:                              ;   in Loop: Header=BB71_72 Depth=1
	ds_read2_b32 v[60:61], v76 offset1:1
	ds_read2_b32 v[68:69], v76 offset0:2 offset1:3
	ds_read2_b32 v[70:71], v76 offset0:4 offset1:5
	;; [unrolled: 1-line block ×3, first 2 shown]
	s_waitcnt lgkmcnt(3)
	v_add_f32_e32 v11, v60, v61
	s_waitcnt lgkmcnt(2)
	v_add_f32_e32 v11, v11, v68
	v_add_f32_e32 v11, v11, v69
	ds_read2_b32 v[60:61], v76 offset0:8 offset1:9
	s_waitcnt lgkmcnt(2)
	v_add_f32_e32 v11, v11, v70
	v_add_f32_e32 v11, v11, v71
	s_waitcnt lgkmcnt(1)
	v_add_f32_e32 v11, v11, v72
	v_add_f32_e32 v11, v11, v73
	ds_read2_b32 v[68:69], v76 offset0:10 offset1:11
	ds_read2_b32 v[70:71], v76 offset0:12 offset1:13
	ds_read_b32 v63, v76 offset:56
	s_waitcnt lgkmcnt(3)
	v_add_f32_e32 v11, v11, v60
	v_add_f32_e32 v11, v11, v61
	s_waitcnt lgkmcnt(2)
	v_add_f32_e32 v11, v11, v68
	ds_read_b32 v60, v77
	v_add_f32_e32 v11, v11, v69
	s_waitcnt lgkmcnt(2)
	v_add_f32_e32 v11, v11, v70
	v_add_f32_e32 v11, v11, v71
	s_waitcnt lgkmcnt(1)
	v_add_f32_e32 v11, v11, v63
	s_waitcnt lgkmcnt(0)
	v_add_f32_e32 v63, v11, v60
	v_ashrrev_i32_e32 v11, 31, v10
	v_lshl_add_u64 v[60:61], v[10:11], 2, s[6:7]
	global_store_dword v[60:61], v63, off
.LBB71_118:                             ;   in Loop: Header=BB71_72 Depth=1
	s_or_b64 exec, exec, s[4:5]
	v_fmac_f32_e32 v7, v100, v103
	v_fmac_f32_e32 v7, v99, v104
	;; [unrolled: 1-line block ×15, first 2 shown]
	s_add_i32 s4, s2, 1
	s_add_i32 s8, s8, s17
	;; [unrolled: 1-line block ×3, first 2 shown]
	v_fmac_f32_e32 v7, v125, v66
	v_add_u32_e32 v10, 64, v10
	v_lshl_add_u64 v[2:3], v[2:3], 0, s[10:11]
	v_lshl_add_u64 v[14:15], v[14:15], 0, s[10:11]
	;; [unrolled: 1-line block ×23, first 2 shown]
	s_cmp_ge_u32 s2, s33
	v_lshl_add_u64 v[50:51], v[50:51], 0, s[10:11]
	s_barrier
	s_cbranch_scc1 .LBB71_124
; %bb.119:                              ;   in Loop: Header=BB71_72 Depth=1
	s_mov_b32 s2, s4
	s_cmp_eq_u32 s3, s2
	s_cselect_b32 s22, s34, 0
	s_and_saveexec_b64 s[4:5], s[12:13]
	s_cbranch_execnz .LBB71_69
	s_branch .LBB71_72
.LBB71_120:                             ;   in Loop: Header=BB71_72 Depth=1
                                        ; implicit-def: $vgpr101
                                        ; implicit-def: $vgpr102
                                        ; implicit-def: $vgpr99
                                        ; implicit-def: $vgpr100
	s_cbranch_execnz .LBB71_82
	s_branch .LBB71_83
.LBB71_121:                             ;   in Loop: Header=BB71_72 Depth=1
                                        ; implicit-def: $vgpr109
                                        ; implicit-def: $vgpr110
                                        ; implicit-def: $vgpr107
                                        ; implicit-def: $vgpr108
	s_cbranch_execnz .LBB71_93
	s_branch .LBB71_94
.LBB71_122:                             ;   in Loop: Header=BB71_72 Depth=1
                                        ; implicit-def: $vgpr117
                                        ; implicit-def: $vgpr118
                                        ; implicit-def: $vgpr115
                                        ; implicit-def: $vgpr116
	s_cbranch_execnz .LBB71_104
	s_branch .LBB71_105
.LBB71_123:                             ;   in Loop: Header=BB71_72 Depth=1
                                        ; implicit-def: $vgpr125
                                        ; implicit-def: $vgpr126
                                        ; implicit-def: $vgpr123
                                        ; implicit-def: $vgpr124
	s_cbranch_execnz .LBB71_115
	s_branch .LBB71_116
.LBB71_124:
	s_movk_i32 s0, 0x10c
	v_cmp_gt_i32_e32 vcc, s16, v6
	v_mad_u32_u24 v0, v5, s0, v74
	s_or_b64 s[0:1], s[20:21], vcc
	s_and_b64 s[0:1], s[12:13], s[0:1]
	ds_write_b32 v0, v7
	s_waitcnt lgkmcnt(0)
	s_barrier
	s_and_saveexec_b64 s[2:3], s[0:1]
	s_cbranch_execz .LBB71_126
; %bb.125:
	ds_read2_b32 v[0:1], v74 offset1:67
	ds_read2_b32 v[2:3], v74 offset0:134 offset1:201
	v_ashrrev_i32_e32 v5, 31, v4
	s_waitcnt lgkmcnt(1)
	v_add_f32_e32 v0, v0, v1
	s_waitcnt lgkmcnt(0)
	v_add_f32_e32 v0, v0, v2
	v_add_f32_e32 v2, v0, v3
	v_lshl_add_u64 v[0:1], v[4:5], 2, s[6:7]
	global_store_dword v[0:1], v2, off
.LBB71_126:
	s_endpgm
	.section	.rodata,"a",@progbits
	.p2align	6, 0x0
	.amdhsa_kernel _ZL26rocblas_hemvn_kernel_upperILb0ELi64ELi4ELi33ELi32ELi16EiPKfS1_PfEviT6_lT7_lT5_lS4_lS5_lS3_lT8_i
		.amdhsa_group_segment_fixed_size 4800
		.amdhsa_private_segment_fixed_size 0
		.amdhsa_kernarg_size 376
		.amdhsa_user_sgpr_count 2
		.amdhsa_user_sgpr_dispatch_ptr 0
		.amdhsa_user_sgpr_queue_ptr 0
		.amdhsa_user_sgpr_kernarg_segment_ptr 1
		.amdhsa_user_sgpr_dispatch_id 0
		.amdhsa_user_sgpr_kernarg_preload_length 0
		.amdhsa_user_sgpr_kernarg_preload_offset 0
		.amdhsa_user_sgpr_private_segment_size 0
		.amdhsa_uses_dynamic_stack 0
		.amdhsa_enable_private_segment 0
		.amdhsa_system_sgpr_workgroup_id_x 1
		.amdhsa_system_sgpr_workgroup_id_y 0
		.amdhsa_system_sgpr_workgroup_id_z 1
		.amdhsa_system_sgpr_workgroup_info 0
		.amdhsa_system_vgpr_workitem_id 1
		.amdhsa_next_free_vgpr 130
		.amdhsa_next_free_sgpr 45
		.amdhsa_accum_offset 132
		.amdhsa_reserve_vcc 1
		.amdhsa_float_round_mode_32 0
		.amdhsa_float_round_mode_16_64 0
		.amdhsa_float_denorm_mode_32 3
		.amdhsa_float_denorm_mode_16_64 3
		.amdhsa_dx10_clamp 1
		.amdhsa_ieee_mode 1
		.amdhsa_fp16_overflow 0
		.amdhsa_tg_split 0
		.amdhsa_exception_fp_ieee_invalid_op 0
		.amdhsa_exception_fp_denorm_src 0
		.amdhsa_exception_fp_ieee_div_zero 0
		.amdhsa_exception_fp_ieee_overflow 0
		.amdhsa_exception_fp_ieee_underflow 0
		.amdhsa_exception_fp_ieee_inexact 0
		.amdhsa_exception_int_div_zero 0
	.end_amdhsa_kernel
	.section	.text._ZL26rocblas_hemvn_kernel_upperILb0ELi64ELi4ELi33ELi32ELi16EiPKfS1_PfEviT6_lT7_lT5_lS4_lS5_lS3_lT8_i,"axG",@progbits,_ZL26rocblas_hemvn_kernel_upperILb0ELi64ELi4ELi33ELi32ELi16EiPKfS1_PfEviT6_lT7_lT5_lS4_lS5_lS3_lT8_i,comdat
.Lfunc_end71:
	.size	_ZL26rocblas_hemvn_kernel_upperILb0ELi64ELi4ELi33ELi32ELi16EiPKfS1_PfEviT6_lT7_lT5_lS4_lS5_lS3_lT8_i, .Lfunc_end71-_ZL26rocblas_hemvn_kernel_upperILb0ELi64ELi4ELi33ELi32ELi16EiPKfS1_PfEviT6_lT7_lT5_lS4_lS5_lS3_lT8_i
                                        ; -- End function
	.section	.AMDGPU.csdata,"",@progbits
; Kernel info:
; codeLenInByte = 6576
; NumSgprs: 51
; NumVgprs: 130
; NumAgprs: 0
; TotalNumVgprs: 130
; ScratchSize: 0
; MemoryBound: 0
; FloatMode: 240
; IeeeMode: 1
; LDSByteSize: 4800 bytes/workgroup (compile time only)
; SGPRBlocks: 6
; VGPRBlocks: 16
; NumSGPRsForWavesPerEU: 51
; NumVGPRsForWavesPerEU: 130
; AccumOffset: 132
; Occupancy: 3
; WaveLimiterHint : 1
; COMPUTE_PGM_RSRC2:SCRATCH_EN: 0
; COMPUTE_PGM_RSRC2:USER_SGPR: 2
; COMPUTE_PGM_RSRC2:TRAP_HANDLER: 0
; COMPUTE_PGM_RSRC2:TGID_X_EN: 1
; COMPUTE_PGM_RSRC2:TGID_Y_EN: 0
; COMPUTE_PGM_RSRC2:TGID_Z_EN: 1
; COMPUTE_PGM_RSRC2:TIDIG_COMP_CNT: 1
; COMPUTE_PGM_RSRC3_GFX90A:ACCUM_OFFSET: 32
; COMPUTE_PGM_RSRC3_GFX90A:TG_SPLIT: 0
	.section	.text._ZL36rocblas_hemvn_kernel_upper_block_sumILi64EiPKfPffEviT1_lS3_lT2_lT0_lPT3_i,"axG",@progbits,_ZL36rocblas_hemvn_kernel_upper_block_sumILi64EiPKfPffEviT1_lS3_lT2_lT0_lPT3_i,comdat
	.globl	_ZL36rocblas_hemvn_kernel_upper_block_sumILi64EiPKfPffEviT1_lS3_lT2_lT0_lPT3_i ; -- Begin function _ZL36rocblas_hemvn_kernel_upper_block_sumILi64EiPKfPffEviT1_lS3_lT2_lT0_lPT3_i
	.p2align	8
	.type	_ZL36rocblas_hemvn_kernel_upper_block_sumILi64EiPKfPffEviT1_lS3_lT2_lT0_lPT3_i,@function
_ZL36rocblas_hemvn_kernel_upper_block_sumILi64EiPKfPffEviT1_lS3_lT2_lT0_lPT3_i: ; @_ZL36rocblas_hemvn_kernel_upper_block_sumILi64EiPKfPffEviT1_lS3_lT2_lT0_lPT3_i
; %bb.0:
	s_load_dwordx8 s[4:11], s[0:1], 0x8
	s_waitcnt lgkmcnt(0)
	s_mul_i32 s7, s3, s7
	s_mul_hi_u32 s12, s3, s6
	s_add_i32 s7, s12, s7
	s_mul_i32 s6, s3, s6
	s_lshl_b64 s[6:7], s[6:7], 2
	s_add_u32 s4, s4, s6
	s_addc_u32 s5, s5, s7
	s_load_dword s18, s[4:5], 0x0
	s_mul_i32 s4, s3, s11
	s_mul_hi_u32 s5, s3, s10
	s_add_i32 s5, s5, s4
	s_mul_i32 s4, s3, s10
	s_lshl_b64 s[4:5], s[4:5], 2
	s_add_u32 s4, s8, s4
	s_addc_u32 s5, s9, s5
	s_load_dword s19, s[4:5], 0x0
	s_waitcnt lgkmcnt(0)
	v_cmp_eq_f32_e64 s[4:5], s18, 0
	v_cmp_eq_f32_e64 s[6:7], s19, 1.0
	s_and_b64 s[4:5], s[4:5], s[6:7]
	s_and_b64 vcc, exec, s[4:5]
	s_cbranch_vccnz .LBB72_19
; %bb.1:
	s_load_dwordx4 s[4:7], s[0:1], 0x40
	s_load_dword s20, s[0:1], 0x38
	s_load_dwordx4 s[8:11], s[0:1], 0x28
	s_load_dword s12, s[0:1], 0x0
	v_lshl_or_b32 v0, s2, 6, v0
	s_waitcnt lgkmcnt(0)
	s_mul_i32 s5, s3, s5
	s_mul_hi_u32 s13, s3, s4
	s_add_i32 s5, s13, s5
	s_mul_i32 s4, s3, s4
	s_lshl_b64 s[4:5], s[4:5], 2
	s_add_u32 s8, s8, s4
	s_addc_u32 s9, s9, s5
	s_lshl_b64 s[4:5], s[10:11], 2
	s_add_u32 s8, s8, s4
	s_addc_u32 s9, s9, s5
	v_cmp_neq_f32_e64 s[4:5], s18, 0
	s_and_b64 vcc, exec, s[4:5]
	v_cmp_gt_i32_e64 s[4:5], s12, v0
	s_cbranch_vccnz .LBB72_6
; %bb.2:
	s_mov_b64 s[14:15], 0
	s_mov_b64 s[10:11], 0
                                        ; implicit-def: $vgpr4
                                        ; implicit-def: $vgpr2_vgpr3
	s_and_saveexec_b64 s[16:17], s[4:5]
	s_cbranch_execz .LBB72_7
; %bb.3:
	v_cmp_eq_f32_e64 s[4:5], s19, 0
	v_mul_lo_u32 v2, v0, s20
	v_mov_b32_e32 v4, 0
	v_ashrrev_i32_e32 v3, 31, v2
	s_and_b64 vcc, exec, s[4:5]
	s_cbranch_vccnz .LBB72_5
; %bb.4:
	v_lshl_add_u64 v[4:5], v[2:3], 2, s[8:9]
	global_load_dword v1, v[4:5], off
	s_waitcnt vmcnt(0)
	v_mul_f32_e32 v4, s19, v1
.LBB72_5:
	s_mov_b64 s[10:11], exec
	s_or_b64 exec, exec, s[16:17]
	s_and_b64 vcc, exec, s[14:15]
	s_cbranch_vccnz .LBB72_8
	s_branch .LBB72_17
.LBB72_6:
	s_mov_b64 s[10:11], 0
                                        ; implicit-def: $vgpr4
                                        ; implicit-def: $vgpr2_vgpr3
	s_cbranch_execnz .LBB72_8
	s_branch .LBB72_17
.LBB72_7:
	s_or_b64 exec, exec, s[16:17]
	s_and_b64 vcc, exec, s[14:15]
	s_cbranch_vccz .LBB72_17
.LBB72_8:
	v_cmp_gt_i32_e32 vcc, s12, v0
                                        ; implicit-def: $vgpr4
                                        ; implicit-def: $vgpr2_vgpr3
	s_and_saveexec_b64 s[4:5], vcc
	s_cbranch_execz .LBB72_16
; %bb.9:
	s_cmp_lt_i32 s2, 0
	v_mov_b32_e32 v1, 0
	s_cbranch_scc1 .LBB72_12
; %bb.10:
	s_load_dword s0, s[0:1], 0x58
	s_ashr_i32 s13, s12, 31
	s_mul_hi_u32 s1, s12, s3
	s_mul_i32 s14, s13, s3
	s_add_i32 s1, s1, s14
	s_mul_i32 s3, s12, s3
	s_waitcnt lgkmcnt(0)
	s_mul_i32 s1, s1, s0
	s_mul_hi_u32 s14, s3, s0
	s_add_i32 s1, s14, s1
	s_mul_i32 s0, s3, s0
	s_lshl_b64 s[0:1], s[0:1], 2
	s_add_u32 s0, s6, s0
	s_addc_u32 s1, s7, s1
	v_mov_b32_e32 v1, 0
	v_lshl_add_u64 v[2:3], v[0:1], 2, s[0:1]
	s_add_i32 s2, s2, 1
	s_lshl_b64 s[0:1], s[12:13], 2
.LBB72_11:                              ; =>This Inner Loop Header: Depth=1
	global_load_dword v4, v[2:3], off
	s_add_i32 s2, s2, -1
	v_lshl_add_u64 v[2:3], v[2:3], 0, s[0:1]
	s_cmp_eq_u32 s2, 0
	s_waitcnt vmcnt(0)
	v_add_f32_e32 v1, v1, v4
	s_cbranch_scc0 .LBB72_11
.LBB72_12:
	v_cmp_eq_f32_e64 s[0:1], s19, 0
	v_mul_lo_u32 v2, v0, s20
	s_and_b64 vcc, exec, s[0:1]
	v_ashrrev_i32_e32 v3, 31, v2
	s_cbranch_vccz .LBB72_20
; %bb.13:
	v_mul_f32_e32 v4, s18, v1
	s_cbranch_execnz .LBB72_15
.LBB72_14:
	v_lshl_add_u64 v[4:5], v[2:3], 2, s[8:9]
	global_load_dword v0, v[4:5], off
	s_waitcnt vmcnt(0)
	v_mul_f32_e32 v4, s19, v0
	v_fmac_f32_e32 v4, s18, v1
.LBB72_15:
	s_or_b64 s[10:11], s[10:11], exec
.LBB72_16:
	s_or_b64 exec, exec, s[4:5]
.LBB72_17:
	s_and_saveexec_b64 s[0:1], s[10:11]
	s_cbranch_execz .LBB72_19
; %bb.18:
	v_lshl_add_u64 v[0:1], v[2:3], 2, s[8:9]
	global_store_dword v[0:1], v4, off
.LBB72_19:
	s_endpgm
.LBB72_20:
                                        ; implicit-def: $vgpr4
	s_branch .LBB72_14
	.section	.rodata,"a",@progbits
	.p2align	6, 0x0
	.amdhsa_kernel _ZL36rocblas_hemvn_kernel_upper_block_sumILi64EiPKfPffEviT1_lS3_lT2_lT0_lPT3_i
		.amdhsa_group_segment_fixed_size 0
		.amdhsa_private_segment_fixed_size 0
		.amdhsa_kernarg_size 344
		.amdhsa_user_sgpr_count 2
		.amdhsa_user_sgpr_dispatch_ptr 0
		.amdhsa_user_sgpr_queue_ptr 0
		.amdhsa_user_sgpr_kernarg_segment_ptr 1
		.amdhsa_user_sgpr_dispatch_id 0
		.amdhsa_user_sgpr_kernarg_preload_length 0
		.amdhsa_user_sgpr_kernarg_preload_offset 0
		.amdhsa_user_sgpr_private_segment_size 0
		.amdhsa_uses_dynamic_stack 0
		.amdhsa_enable_private_segment 0
		.amdhsa_system_sgpr_workgroup_id_x 1
		.amdhsa_system_sgpr_workgroup_id_y 0
		.amdhsa_system_sgpr_workgroup_id_z 1
		.amdhsa_system_sgpr_workgroup_info 0
		.amdhsa_system_vgpr_workitem_id 0
		.amdhsa_next_free_vgpr 6
		.amdhsa_next_free_sgpr 21
		.amdhsa_accum_offset 8
		.amdhsa_reserve_vcc 1
		.amdhsa_float_round_mode_32 0
		.amdhsa_float_round_mode_16_64 0
		.amdhsa_float_denorm_mode_32 3
		.amdhsa_float_denorm_mode_16_64 3
		.amdhsa_dx10_clamp 1
		.amdhsa_ieee_mode 1
		.amdhsa_fp16_overflow 0
		.amdhsa_tg_split 0
		.amdhsa_exception_fp_ieee_invalid_op 0
		.amdhsa_exception_fp_denorm_src 0
		.amdhsa_exception_fp_ieee_div_zero 0
		.amdhsa_exception_fp_ieee_overflow 0
		.amdhsa_exception_fp_ieee_underflow 0
		.amdhsa_exception_fp_ieee_inexact 0
		.amdhsa_exception_int_div_zero 0
	.end_amdhsa_kernel
	.section	.text._ZL36rocblas_hemvn_kernel_upper_block_sumILi64EiPKfPffEviT1_lS3_lT2_lT0_lPT3_i,"axG",@progbits,_ZL36rocblas_hemvn_kernel_upper_block_sumILi64EiPKfPffEviT1_lS3_lT2_lT0_lPT3_i,comdat
.Lfunc_end72:
	.size	_ZL36rocblas_hemvn_kernel_upper_block_sumILi64EiPKfPffEviT1_lS3_lT2_lT0_lPT3_i, .Lfunc_end72-_ZL36rocblas_hemvn_kernel_upper_block_sumILi64EiPKfPffEviT1_lS3_lT2_lT0_lPT3_i
                                        ; -- End function
	.section	.AMDGPU.csdata,"",@progbits
; Kernel info:
; codeLenInByte = 584
; NumSgprs: 27
; NumVgprs: 6
; NumAgprs: 0
; TotalNumVgprs: 6
; ScratchSize: 0
; MemoryBound: 0
; FloatMode: 240
; IeeeMode: 1
; LDSByteSize: 0 bytes/workgroup (compile time only)
; SGPRBlocks: 3
; VGPRBlocks: 0
; NumSGPRsForWavesPerEU: 27
; NumVGPRsForWavesPerEU: 6
; AccumOffset: 8
; Occupancy: 8
; WaveLimiterHint : 0
; COMPUTE_PGM_RSRC2:SCRATCH_EN: 0
; COMPUTE_PGM_RSRC2:USER_SGPR: 2
; COMPUTE_PGM_RSRC2:TRAP_HANDLER: 0
; COMPUTE_PGM_RSRC2:TGID_X_EN: 1
; COMPUTE_PGM_RSRC2:TGID_Y_EN: 0
; COMPUTE_PGM_RSRC2:TGID_Z_EN: 1
; COMPUTE_PGM_RSRC2:TIDIG_COMP_CNT: 0
; COMPUTE_PGM_RSRC3_GFX90A:ACCUM_OFFSET: 1
; COMPUTE_PGM_RSRC3_GFX90A:TG_SPLIT: 0
	.section	.text._ZL26rocblas_hemvn_kernel_upperILb0ELi64ELi4ELi33ELi32ELi16ElfPKfPfEviT6_lT7_lT5_lS4_lS5_lS3_lT8_i,"axG",@progbits,_ZL26rocblas_hemvn_kernel_upperILb0ELi64ELi4ELi33ELi32ELi16ElfPKfPfEviT6_lT7_lT5_lS4_lS5_lS3_lT8_i,comdat
	.globl	_ZL26rocblas_hemvn_kernel_upperILb0ELi64ELi4ELi33ELi32ELi16ElfPKfPfEviT6_lT7_lT5_lS4_lS5_lS3_lT8_i ; -- Begin function _ZL26rocblas_hemvn_kernel_upperILb0ELi64ELi4ELi33ELi32ELi16ElfPKfPfEviT6_lT7_lT5_lS4_lS5_lS3_lT8_i
	.p2align	8
	.type	_ZL26rocblas_hemvn_kernel_upperILb0ELi64ELi4ELi33ELi32ELi16ElfPKfPfEviT6_lT7_lT5_lS4_lS5_lS3_lT8_i,@function
_ZL26rocblas_hemvn_kernel_upperILb0ELi64ELi4ELi33ELi32ELi16ElfPKfPfEviT6_lT7_lT5_lS4_lS5_lS3_lT8_i: ; @_ZL26rocblas_hemvn_kernel_upperILb0ELi64ELi4ELi33ELi32ELi16ElfPKfPfEviT6_lT7_lT5_lS4_lS5_lS3_lT8_i
; %bb.0:
	s_load_dwordx2 s[6:7], s[0:1], 0x7c
	s_add_u32 s4, s0, 0x70
	s_addc_u32 s5, s1, 0
	s_waitcnt lgkmcnt(0)
	s_lshr_b32 s8, s6, 16
	s_and_b32 s6, s6, 0xffff
	s_and_b32 s7, s7, 0xffff
	s_mul_i32 s6, s8, s6
	s_mul_i32 s6, s6, s7
	s_cmpk_lg_i32 s6, 0x100
	s_cbranch_scc1 .LBB73_126
; %bb.1:
	s_load_dwordx2 s[34:35], s[0:1], 0x0
	s_load_dword s8, s[0:1], 0x50
	s_waitcnt lgkmcnt(0)
	v_cmp_eq_f32_e64 s[6:7], s35, 0
	v_cmp_eq_f32_e64 s[8:9], s8, 1.0
	s_and_b64 s[8:9], s[6:7], s[8:9]
	s_and_b64 vcc, exec, s[8:9]
	s_cbranch_vccnz .LBB73_126
; %bb.2:
	s_and_b64 vcc, exec, s[6:7]
	s_cbranch_vccnz .LBB73_126
; %bb.3:
	s_load_dwordx16 s[16:31], s[0:1], 0x10
	s_load_dword s33, s[4:5], 0x0
	v_and_b32_e32 v52, 0x3ff, v0
	v_bfe_u32 v53, v0, 10, 10
	s_waitcnt lgkmcnt(0)
	s_mul_i32 s5, s3, s31
	s_mul_hi_u32 s6, s3, s30
	s_mul_i32 s4, s3, s30
	s_add_i32 s5, s6, s5
	s_lshl_b64 s[4:5], s[4:5], 2
	s_add_u32 s6, s24, s4
	s_addc_u32 s7, s25, s5
	s_lshl_b64 s[4:5], s[26:27], 2
	s_add_u32 s4, s6, s4
	s_addc_u32 s5, s7, s5
	s_ashr_i32 s38, s34, 31
	s_lshr_b32 s7, s38, 26
	s_lshl_b32 s26, s2, 6
	s_add_i32 s7, s34, s7
	s_andn2_b32 s7, s7, 63
	v_add_u32_e32 v4, s26, v52
	s_add_i32 s6, s33, -1
	s_sub_i32 s35, s34, s7
	v_ashrrev_i32_e32 v5, 31, v4
	s_cmp_eq_u32 s2, s6
	v_mul_lo_u32 v2, v5, s28
	v_mul_lo_u32 v3, v4, s29
	v_mad_u64_u32 v[0:1], s[6:7], v4, s28, 0
	v_add3_u32 v1, v1, v3, v2
	s_cselect_b32 s24, s35, 0
	v_lshl_add_u64 v[6:7], v[0:1], 2, s[4:5]
	v_cmp_eq_u32_e64 s[4:5], 0, v53
	s_and_saveexec_b64 s[6:7], s[4:5]
	s_cbranch_execz .LBB73_7
; %bb.4:
	s_cmp_eq_u32 s24, 0
	s_cselect_b64 s[8:9], -1, 0
	v_cmp_gt_i32_e32 vcc, s24, v52
	s_or_b64 s[10:11], s[8:9], vcc
	v_mov_b32_e32 v0, 0
	s_and_saveexec_b64 s[8:9], s[10:11]
	s_cbranch_execz .LBB73_6
; %bb.5:
	global_load_dword v0, v[6:7], off
.LBB73_6:
	s_or_b64 exec, exec, s[8:9]
	v_lshlrev_b32_e32 v1, 2, v52
	s_waitcnt vmcnt(0)
	ds_write_b32 v1, v0 offset:4544
.LBB73_7:
	s_or_b64 exec, exec, s[6:7]
	s_mul_i32 s6, s3, s23
	s_mul_hi_u32 s7, s3, s22
	s_add_i32 s7, s7, s6
	s_mul_i32 s6, s3, s22
	s_lshl_b64 s[6:7], s[6:7], 2
	s_add_u32 s8, s16, s6
	s_addc_u32 s9, s17, s7
	s_lshl_b64 s[6:7], s[18:19], 2
	s_add_u32 s8, s8, s6
	s_addc_u32 s9, s9, s7
	s_ashr_i32 s27, s26, 31
	v_lshl_add_u32 v16, v53, 6, v52
	s_lshl_b64 s[6:7], s[26:27], 2
	v_and_b32_e32 v0, 31, v52
	v_lshrrev_b32_e32 v17, 5, v16
	s_add_u32 s8, s8, s6
	v_mov_b32_e32 v1, 0
	s_addc_u32 s9, s9, s7
	v_mad_u64_u32 v[8:9], s[6:7], v17, s20, v[0:1]
	v_mov_b32_e32 v2, v9
	v_mad_u64_u32 v[2:3], s[6:7], v17, s21, v[2:3]
	s_mul_i32 s6, s26, s21
	s_mul_hi_u32 s7, s26, s20
	s_add_i32 s6, s7, s6
	s_mul_i32 s7, s27, s20
	s_add_i32 s7, s6, s7
	s_mul_i32 s6, s26, s20
	s_lshl_b64 s[6:7], s[6:7], 2
	s_add_u32 s6, s6, s8
	s_addc_u32 s7, s7, s9
	s_cmp_eq_u32 s24, 0
	s_cselect_b64 s[18:19], -1, 0
	s_cmp_lg_u32 s24, 0
	v_mov_b32_e32 v9, v2
	s_cselect_b64 s[22:23], -1, 0
	v_lshl_add_u64 v[12:13], v[8:9], 2, s[6:7]
	s_and_b64 vcc, exec, s[22:23]
	v_cmp_gt_i32_e64 s[6:7], s24, v0
	v_lshlrev_b32_e32 v2, 2, v0
	s_mul_i32 s39, s21, 0x60
	s_cbranch_vccz .LBB73_17
; %bb.8:
	v_sub_co_u32_e32 v10, vcc, v12, v2
	s_ashr_i32 s25, s24, 31
	s_nop 0
	v_subbrev_co_u32_e32 v11, vcc, 0, v13, vcc
	v_lshl_add_u64 v[10:11], s[24:25], 2, v[10:11]
	v_lshl_add_u64 v[10:11], v[10:11], 0, -4
	v_cndmask_b32_e64 v11, v11, v13, s[6:7]
	v_cndmask_b32_e64 v10, v10, v12, s[6:7]
	v_cmp_gt_i32_e32 vcc, s24, v17
	s_and_saveexec_b64 s[8:9], vcc
	s_cbranch_execz .LBB73_10
; %bb.9:
	global_load_dword v1, v[10:11], off
.LBB73_10:
	s_or_b64 exec, exec, s[8:9]
	v_mul_u32_u24_e32 v3, 33, v17
	v_add_lshl_u32 v14, v3, v0, 2
	s_waitcnt vmcnt(0)
	ds_write_b32 v14, v1
	v_add_u32_e32 v1, 8, v17
	v_cmp_gt_i32_e32 vcc, s24, v1
	v_mov_b32_e32 v1, 0
	v_mov_b32_e32 v3, 0
	s_and_saveexec_b64 s[8:9], vcc
	s_cbranch_execz .LBB73_12
; %bb.11:
	s_lshl_b64 s[10:11], s[20:21], 5
	v_lshl_add_u64 v[18:19], v[10:11], 0, s[10:11]
	global_load_dword v3, v[18:19], off
.LBB73_12:
	s_or_b64 exec, exec, s[8:9]
	s_waitcnt vmcnt(0)
	ds_write_b32 v14, v3 offset:1056
	v_add_u32_e32 v3, 16, v17
	v_cmp_gt_i32_e32 vcc, s24, v3
	s_and_saveexec_b64 s[8:9], vcc
	s_cbranch_execz .LBB73_14
; %bb.13:
	s_lshl_b64 s[10:11], s[20:21], 6
	v_lshl_add_u64 v[18:19], v[10:11], 0, s[10:11]
	global_load_dword v1, v[18:19], off
.LBB73_14:
	s_or_b64 exec, exec, s[8:9]
	s_waitcnt vmcnt(0)
	ds_write_b32 v14, v1 offset:2112
	v_add_u32_e32 v1, 24, v17
	v_cmp_gt_i32_e32 vcc, s24, v1
	v_mov_b32_e32 v3, 0
	v_mov_b32_e32 v1, 0
	s_and_saveexec_b64 s[8:9], vcc
	s_cbranch_execz .LBB73_16
; %bb.15:
	v_mov_b32_e32 v1, 0x60
	v_mad_u64_u32 v[18:19], s[10:11], s20, v1, v[10:11]
	v_add_u32_e32 v19, s39, v19
	global_load_dword v1, v[18:19], off
.LBB73_16:
	s_or_b64 exec, exec, s[8:9]
	v_lshl_add_u64 v[10:11], v[10:11], 0, v[2:3]
	s_lshl_b64 s[8:9], s[24:25], 2
	s_waitcnt vmcnt(0)
	ds_write_b32 v14, v1 offset:3168
	v_mov_b32_e32 v1, s9
	v_subrev_co_u32_e32 v10, vcc, s8, v10
	s_nop 1
	v_subb_co_u32_e32 v11, vcc, v11, v1, vcc
	v_lshl_add_u64 v[10:11], v[10:11], 0, 4
	v_cndmask_b32_e64 v11, v11, v13, s[6:7]
	v_cndmask_b32_e64 v10, v10, v12, s[6:7]
	v_mul_u32_u24_e32 v1, 33, v17
	s_branch .LBB73_19
.LBB73_17:
                                        ; implicit-def: $vgpr10_vgpr11
	v_mul_u32_u24_e32 v1, 33, v17
	s_cbranch_execz .LBB73_19
; %bb.18:
	s_lshl_b64 s[6:7], s[20:21], 5
	v_lshl_add_u64 v[10:11], v[12:13], 0, s[6:7]
	global_load_dword v3, v[12:13], off
	global_load_dword v14, v[10:11], off
	v_lshl_add_u64 v[10:11], v[10:11], 0, s[6:7]
	global_load_dword v15, v[10:11], off
	v_mov_b32_e32 v10, 0x60
	v_mad_u64_u32 v[10:11], s[6:7], s20, v10, v[12:13]
	v_add_u32_e32 v11, s39, v11
	global_load_dword v10, v[10:11], off
	v_add_lshl_u32 v11, v1, v0, 2
	s_waitcnt vmcnt(3)
	ds_write_b32 v11, v3
	s_waitcnt vmcnt(2)
	ds_write_b32 v11, v14 offset:1056
	s_waitcnt vmcnt(1)
	ds_write_b32 v11, v15 offset:2112
	;; [unrolled: 2-line block ×3, first 2 shown]
	v_mov_b64_e32 v[10:11], v[12:13]
.LBB73_19:
	v_lshlrev_b32_e32 v18, 2, v17
	v_mul_u32_u24_e32 v19, 33, v0
	v_cmp_gt_u32_e64 s[6:7], v18, v0
	v_add_lshl_u32 v25, v18, v19, 2
	s_waitcnt lgkmcnt(0)
	s_barrier
	s_and_saveexec_b64 s[8:9], s[6:7]
	s_cbranch_execz .LBB73_21
; %bb.20:
	v_mul_u32_u24_e32 v3, 0x84, v17
	v_add_lshl_u32 v3, v3, v0, 2
	ds_read_b32 v3, v3
	s_waitcnt lgkmcnt(0)
	ds_write_b32 v25, v3
.LBB73_21:
	s_or_b64 exec, exec, s[8:9]
	v_cmp_ge_u32_e64 s[8:9], v18, v0
	s_and_saveexec_b64 s[10:11], s[8:9]
	s_cbranch_execz .LBB73_23
; %bb.22:
	v_or_b32_e32 v3, 1, v18
	v_mul_u32_u24_e32 v3, 33, v3
	v_add_lshl_u32 v3, v3, v0, 2
	ds_read_b32 v3, v3
	s_waitcnt lgkmcnt(0)
	ds_write_b32 v25, v3 offset:4
.LBB73_23:
	s_or_b64 exec, exec, s[10:11]
	v_or_b32_e32 v3, 2, v18
	v_cmp_gt_u32_e64 s[10:11], v3, v0
	s_and_saveexec_b64 s[12:13], s[10:11]
	s_cbranch_execz .LBB73_25
; %bb.24:
	v_mul_u32_u24_e32 v3, 33, v3
	v_add_lshl_u32 v3, v3, v0, 2
	ds_read_b32 v3, v3
	s_waitcnt lgkmcnt(0)
	ds_write_b32 v25, v3 offset:8
.LBB73_25:
	s_or_b64 exec, exec, s[12:13]
	v_or_b32_e32 v3, 3, v18
	v_cmp_gt_u32_e64 s[12:13], v3, v0
	v_mad_u32_u24 v3, v3, 33, v0
	v_lshlrev_b32_e32 v22, 2, v3
	s_and_saveexec_b64 s[14:15], s[12:13]
	s_cbranch_execz .LBB73_27
; %bb.26:
	ds_read_b32 v3, v22
	s_waitcnt lgkmcnt(0)
	ds_write_b32 v25, v3 offset:12
.LBB73_27:
	s_or_b64 exec, exec, s[14:15]
	v_mul_u32_u24_e32 v3, 0x84, v17
	v_add_u32_e32 v24, 0xfffffef8, v22
	s_waitcnt lgkmcnt(0)
	s_barrier
	v_add_lshl_u32 v23, v3, v0, 2
	v_lshlrev_b32_e32 v26, 2, v18
	ds_read2_b32 v[20:21], v24 offset1:33
	ds_read_b32 v28, v23
	ds_read_b128 v[12:15], v26 offset:4544
	ds_read_b32 v31, v22
	v_cmp_gt_u32_e64 s[14:15], 32, v16
	s_waitcnt lgkmcnt(3)
	v_mov_b32_e32 v29, v20
	v_mov_b32_e32 v30, v21
	s_waitcnt lgkmcnt(1)
	v_pk_mul_f32 v[12:13], v[28:29], v[12:13]
	v_add_lshl_u32 v21, v17, v19, 2
	v_add_f32_e32 v3, 0, v12
	v_add_f32_e32 v3, v3, v13
	s_waitcnt lgkmcnt(0)
	v_pk_mul_f32 v[12:13], v[30:31], v[14:15]
	v_mov_b32_e32 v54, 0
	v_add_f32_e32 v3, v3, v12
	v_add_f32_e32 v3, v3, v13
	v_lshlrev_b32_e32 v20, 2, v19
	s_barrier
	ds_write_b32 v21, v3
	s_waitcnt lgkmcnt(0)
	s_barrier
	s_and_saveexec_b64 s[16:17], s[14:15]
	s_cbranch_execz .LBB73_29
; %bb.28:
	ds_read2_b32 v[12:13], v20 offset1:1
	ds_read2_b32 v[14:15], v20 offset0:2 offset1:3
	ds_read2_b32 v[28:29], v20 offset0:4 offset1:5
	;; [unrolled: 1-line block ×3, first 2 shown]
	s_waitcnt lgkmcnt(3)
	v_add_f32_e32 v3, v12, v13
	s_waitcnt lgkmcnt(2)
	v_add_f32_e32 v3, v3, v14
	v_add_f32_e32 v3, v3, v15
	s_waitcnt lgkmcnt(1)
	v_add_f32_e32 v3, v3, v28
	;; [unrolled: 3-line block ×3, first 2 shown]
	v_add_f32_e32 v54, v3, v31
.LBB73_29:
	s_or_b64 exec, exec, s[16:17]
	s_lshl_b64 s[16:17], s[20:21], 7
	v_lshl_add_u64 v[14:15], v[10:11], 0, s[16:17]
	s_mov_b64 s[16:17], 0x80
	s_lshl_b64 s[30:31], s[20:21], 5
	v_lshl_add_u64 v[12:13], v[14:15], 0, s[16:17]
	s_and_b64 vcc, exec, s[22:23]
	s_barrier
	s_cbranch_vccz .LBB73_39
; %bb.30:
	v_sub_co_u32_e32 v10, vcc, v12, v2
	s_ashr_i32 s25, s24, 31
	s_nop 0
	v_subbrev_co_u32_e32 v11, vcc, 0, v13, vcc
	s_movk_i32 s16, 0xff7c
	v_or_b32_e32 v3, 32, v0
	v_lshl_add_u64 v[10:11], s[24:25], 2, v[10:11]
	s_mov_b32 s17, -1
	v_lshl_add_u64 v[10:11], v[10:11], 0, s[16:17]
	v_cmp_gt_i32_e32 vcc, s24, v3
	s_sub_i32 s40, s24, 32
	v_mov_b32_e32 v27, 0
	v_cndmask_b32_e32 v11, v11, v13, vcc
	v_cndmask_b32_e32 v10, v10, v12, vcc
	v_cmp_gt_i32_e64 s[16:17], s40, v17
	v_mov_b32_e32 v28, 0
	s_and_saveexec_b64 s[36:37], s[16:17]
	s_cbranch_execz .LBB73_32
; %bb.31:
	global_load_dword v28, v[10:11], off
.LBB73_32:
	s_or_b64 exec, exec, s[36:37]
	v_add_lshl_u32 v3, v1, v0, 2
	s_waitcnt vmcnt(0)
	ds_write_b32 v3, v28
	v_add_u32_e32 v28, 8, v17
	v_cmp_gt_i32_e64 s[16:17], s40, v28
	s_and_saveexec_b64 s[36:37], s[16:17]
	s_cbranch_execz .LBB73_34
; %bb.33:
	v_lshl_add_u64 v[28:29], v[10:11], 0, s[30:31]
	global_load_dword v27, v[28:29], off
.LBB73_34:
	s_or_b64 exec, exec, s[36:37]
	s_waitcnt vmcnt(0)
	ds_write_b32 v3, v27 offset:1056
	v_add_u32_e32 v27, 16, v17
	v_cmp_gt_i32_e64 s[16:17], s40, v27
	v_mov_b32_e32 v27, 0
	v_mov_b32_e32 v28, 0
	s_and_saveexec_b64 s[36:37], s[16:17]
	s_cbranch_execz .LBB73_36
; %bb.35:
	s_lshl_b64 s[16:17], s[20:21], 6
	v_lshl_add_u64 v[28:29], v[10:11], 0, s[16:17]
	global_load_dword v28, v[28:29], off
.LBB73_36:
	s_or_b64 exec, exec, s[36:37]
	s_waitcnt vmcnt(0)
	ds_write_b32 v3, v28 offset:2112
	v_add_u32_e32 v28, 24, v17
	v_cmp_gt_i32_e64 s[16:17], s40, v28
	s_and_saveexec_b64 s[36:37], s[16:17]
	s_cbranch_execz .LBB73_38
; %bb.37:
	v_mov_b32_e32 v27, 0x60
	v_mad_u64_u32 v[28:29], s[16:17], s20, v27, v[10:11]
	v_add_u32_e32 v29, s39, v29
	global_load_dword v27, v[28:29], off
.LBB73_38:
	s_or_b64 exec, exec, s[36:37]
	s_waitcnt vmcnt(0)
	ds_write_b32 v3, v27 offset:3168
	v_mov_b32_e32 v3, 0
	v_lshl_add_u64 v[10:11], v[10:11], 0, v[2:3]
	s_lshl_b64 s[16:17], s[24:25], 2
	v_mov_b32_e32 v3, s17
	v_subrev_co_u32_e64 v10, s[16:17], s16, v10
	s_nop 1
	v_subb_co_u32_e64 v11, s[16:17], v11, v3, s[16:17]
	s_mov_b64 s[16:17], 0x84
	s_nop 0
	v_lshl_add_u64 v[10:11], v[10:11], 0, s[16:17]
	v_cndmask_b32_e32 v11, v11, v13, vcc
	v_cndmask_b32_e32 v10, v10, v12, vcc
	s_branch .LBB73_41
.LBB73_39:
                                        ; implicit-def: $vgpr10_vgpr11
	s_cbranch_execz .LBB73_41
; %bb.40:
	v_mov_b32_e32 v3, 0x60
	v_lshl_add_u64 v[10:11], v[14:15], 0, s[30:31]
	v_mad_u64_u32 v[30:31], s[16:17], s20, v3, v[14:15]
	v_lshl_add_u64 v[28:29], v[10:11], 0, s[30:31]
	v_add_u32_e32 v31, s39, v31
	global_load_dword v3, v[14:15], off offset:128
	global_load_dword v27, v[10:11], off offset:128
	global_load_dword v32, v[28:29], off offset:128
	global_load_dword v33, v[30:31], off offset:128
	v_add_lshl_u32 v10, v1, v0, 2
	s_waitcnt vmcnt(3)
	ds_write_b32 v10, v3
	s_waitcnt vmcnt(2)
	ds_write_b32 v10, v27 offset:1056
	s_waitcnt vmcnt(1)
	ds_write_b32 v10, v32 offset:2112
	;; [unrolled: 2-line block ×3, first 2 shown]
	v_mov_b64_e32 v[10:11], v[12:13]
.LBB73_41:
	s_waitcnt lgkmcnt(0)
	s_barrier
	s_and_saveexec_b64 s[16:17], s[6:7]
	s_cbranch_execnz .LBB73_58
; %bb.42:
	s_or_b64 exec, exec, s[16:17]
	s_and_saveexec_b64 s[6:7], s[8:9]
	s_cbranch_execnz .LBB73_59
.LBB73_43:
	s_or_b64 exec, exec, s[6:7]
	s_and_saveexec_b64 s[6:7], s[10:11]
	s_cbranch_execnz .LBB73_60
.LBB73_44:
	s_or_b64 exec, exec, s[6:7]
	v_add_u32_e32 v26, 0x11c0, v26
	s_and_saveexec_b64 s[6:7], s[12:13]
	s_cbranch_execz .LBB73_46
.LBB73_45:
	ds_read_b32 v3, v22
	s_waitcnt lgkmcnt(0)
	ds_write_b32 v25, v3 offset:12
.LBB73_46:
	s_or_b64 exec, exec, s[6:7]
	s_waitcnt lgkmcnt(0)
	s_barrier
	ds_read_b32 v3, v23
	ds_read_b128 v[12:15], v26 offset:128
	ds_read2_b32 v[28:29], v24 offset1:33
	ds_read_b32 v25, v22
	v_cmp_eq_u32_e64 s[6:7], 1, v17
	s_waitcnt lgkmcnt(0)
	v_fma_f32 v3, v3, v12, 0
	v_fmac_f32_e32 v3, v28, v13
	v_fmac_f32_e32 v3, v29, v14
	;; [unrolled: 1-line block ×3, first 2 shown]
	s_barrier
	ds_write_b32 v21, v3
	s_waitcnt lgkmcnt(0)
	s_barrier
	s_and_saveexec_b64 s[8:9], s[6:7]
	s_cbranch_execz .LBB73_48
; %bb.47:
	ds_read2_b32 v[12:13], v20 offset1:1
	ds_read2_b32 v[14:15], v20 offset0:2 offset1:3
	ds_read2_b32 v[28:29], v20 offset0:4 offset1:5
	ds_read2_b32 v[30:31], v20 offset0:6 offset1:7
	s_waitcnt lgkmcnt(3)
	v_add_f32_e32 v3, v12, v13
	s_waitcnt lgkmcnt(2)
	v_add_f32_e32 v3, v3, v14
	v_add_f32_e32 v3, v3, v15
	s_waitcnt lgkmcnt(1)
	v_add_f32_e32 v3, v3, v28
	;; [unrolled: 3-line block ×3, first 2 shown]
	v_add_f32_e32 v54, v3, v31
.LBB73_48:
	s_or_b64 exec, exec, s[8:9]
	s_movk_i32 s8, 0xff80
	s_mov_b32 s9, -1
	v_lshl_add_u64 v[12:13], v[10:11], 0, s[8:9]
	s_and_b64 vcc, exec, s[22:23]
	s_barrier
	s_cbranch_vccz .LBB73_61
; %bb.49:
	v_sub_co_u32_e32 v14, vcc, v10, v2
	s_ashr_i32 s25, s24, 31
	s_nop 0
	v_subbrev_co_u32_e32 v15, vcc, 0, v11, vcc
	s_movk_i32 s8, 0xff7c
	v_lshl_add_u64 v[14:15], s[24:25], 2, v[14:15]
	s_mov_b32 s9, -1
	v_lshl_add_u64 v[14:15], v[14:15], 0, s[8:9]
	v_cmp_gt_i32_e32 vcc, s24, v0
	s_sub_i32 s12, s24, 32
	v_mov_b32_e32 v27, 0
	v_cndmask_b32_e32 v15, v15, v13, vcc
	v_cndmask_b32_e32 v14, v14, v12, vcc
	v_cmp_gt_i32_e64 s[8:9], s12, v17
	v_mov_b32_e32 v25, 0
	s_and_saveexec_b64 s[10:11], s[8:9]
	s_cbranch_execz .LBB73_51
; %bb.50:
	global_load_dword v25, v[14:15], off
.LBB73_51:
	s_or_b64 exec, exec, s[10:11]
	v_add_lshl_u32 v3, v1, v0, 2
	s_waitcnt vmcnt(0)
	ds_write_b32 v3, v25
	v_add_u32_e32 v25, 8, v17
	v_cmp_gt_i32_e64 s[8:9], s12, v25
	s_and_saveexec_b64 s[10:11], s[8:9]
	s_cbranch_execz .LBB73_53
; %bb.52:
	v_lshl_add_u64 v[28:29], v[14:15], 0, s[30:31]
	global_load_dword v27, v[28:29], off
.LBB73_53:
	s_or_b64 exec, exec, s[10:11]
	s_waitcnt vmcnt(0)
	ds_write_b32 v3, v27 offset:1056
	v_add_u32_e32 v27, 16, v17
	v_cmp_gt_i32_e64 s[8:9], s12, v27
	v_mov_b32_e32 v29, 0
	v_mov_b32_e32 v28, 0
	s_and_saveexec_b64 s[10:11], s[8:9]
	s_cbranch_execz .LBB73_55
; %bb.54:
	s_lshl_b64 s[8:9], s[20:21], 6
	v_lshl_add_u64 v[30:31], v[14:15], 0, s[8:9]
	global_load_dword v28, v[30:31], off
.LBB73_55:
	s_or_b64 exec, exec, s[10:11]
	s_waitcnt vmcnt(0)
	ds_write_b32 v3, v28 offset:2112
	v_add_u32_e32 v28, 24, v17
	v_cmp_gt_i32_e64 s[8:9], s12, v28
	s_and_saveexec_b64 s[10:11], s[8:9]
	s_cbranch_execz .LBB73_57
; %bb.56:
	v_mov_b32_e32 v29, 0x60
	v_mad_u64_u32 v[30:31], s[8:9], s20, v29, v[14:15]
	v_add_u32_e32 v31, s39, v31
	global_load_dword v29, v[30:31], off
.LBB73_57:
	s_or_b64 exec, exec, s[10:11]
	s_waitcnt vmcnt(0)
	ds_write_b32 v3, v29 offset:3168
	v_mov_b32_e32 v3, 0
	v_lshl_add_u64 v[2:3], v[14:15], 0, v[2:3]
	s_lshl_b64 s[8:9], s[24:25], 2
	v_mov_b32_e32 v14, s9
	v_subrev_co_u32_e64 v2, s[8:9], s8, v2
	s_nop 1
	v_subb_co_u32_e64 v3, s[8:9], v3, v14, s[8:9]
	v_lshl_add_u64 v[2:3], v[2:3], 0, 4
	v_cndmask_b32_e32 v37, v3, v13, vcc
	v_cndmask_b32_e32 v36, v2, v12, vcc
	s_branch .LBB73_63
.LBB73_58:
	ds_read_b32 v3, v23
	s_waitcnt lgkmcnt(0)
	ds_write_b32 v25, v3
	s_or_b64 exec, exec, s[16:17]
	s_and_saveexec_b64 s[6:7], s[8:9]
	s_cbranch_execz .LBB73_43
.LBB73_59:
	ds_read_b32 v3, v24
	s_waitcnt lgkmcnt(0)
	ds_write_b32 v25, v3 offset:4
	s_or_b64 exec, exec, s[6:7]
	s_and_saveexec_b64 s[6:7], s[10:11]
	s_cbranch_execz .LBB73_44
.LBB73_60:
	ds_read_b32 v3, v24 offset:132
	s_waitcnt lgkmcnt(0)
	ds_write_b32 v25, v3 offset:8
	s_or_b64 exec, exec, s[6:7]
	v_add_u32_e32 v26, 0x11c0, v26
	s_and_saveexec_b64 s[6:7], s[12:13]
	s_cbranch_execnz .LBB73_45
	s_branch .LBB73_46
.LBB73_61:
                                        ; implicit-def: $vgpr36_vgpr37
                                        ; implicit-def: $vgpr25
                                        ; implicit-def: $vgpr27
                                        ; implicit-def: $vgpr28
	s_cbranch_execz .LBB73_63
; %bb.62:
	v_lshl_add_u64 v[2:3], v[10:11], 0, s[30:31]
	v_lshl_add_u64 v[14:15], v[2:3], 0, s[30:31]
	global_load_dword v29, v[2:3], off offset:-128
	global_load_dword v30, v[14:15], off offset:-128
	v_mov_b32_e32 v2, 0x60
	global_load_dword v14, v[10:11], off offset:-128
	v_mad_u64_u32 v[2:3], s[8:9], s20, v2, v[10:11]
	v_add_u32_e32 v3, s39, v3
	global_load_dword v2, v[2:3], off offset:-128
	v_add_lshl_u32 v0, v1, v0, 2
	v_add_u32_e32 v25, 8, v17
	v_add_u32_e32 v27, 16, v17
	v_add_u32_e32 v28, 24, v17
	v_mov_b64_e32 v[36:37], v[12:13]
	s_waitcnt vmcnt(1)
	ds_write_b32 v0, v14
	ds_write_b32 v0, v29 offset:1056
	ds_write_b32 v0, v30 offset:2112
	s_waitcnt vmcnt(0)
	ds_write_b32 v0, v2 offset:3168
.LBB73_63:
	v_add_lshl_u32 v13, v25, v19, 2
	v_lshlrev_b32_e32 v14, 2, v25
	v_add_lshl_u32 v15, v27, v19, 2
	v_lshlrev_b32_e32 v17, 2, v27
	;; [unrolled: 2-line block ×3, first 2 shown]
	s_waitcnt lgkmcnt(0)
	s_barrier
	ds_read_b32 v18, v18 offset:4544
	ds_read_b32 v12, v23
	ds_read_b32 v23, v21
	ds_read_b128 v[0:3], v26 offset:128
	ds_read2_b32 v[10:11], v24 offset1:33
	ds_read_b32 v24, v13
	ds_read_b32 v14, v14 offset:4544
	ds_read_b32 v15, v15
	ds_read_b32 v17, v17 offset:4544
	;; [unrolled: 2-line block ×3, first 2 shown]
	ds_read_b32 v13, v22
	s_waitcnt lgkmcnt(9)
	v_fma_f32 v18, v23, v18, 0
	s_waitcnt lgkmcnt(5)
	v_fmac_f32_e32 v18, v24, v14
	s_waitcnt lgkmcnt(3)
	v_fmac_f32_e32 v18, v15, v17
	;; [unrolled: 2-line block ×3, first 2 shown]
	s_waitcnt lgkmcnt(0)
	s_barrier
	ds_write_b32 v21, v18
	s_waitcnt lgkmcnt(0)
	s_barrier
	s_and_saveexec_b64 s[8:9], s[6:7]
	s_cbranch_execz .LBB73_65
; %bb.64:
	ds_read2_b32 v[14:15], v20 offset1:1
	ds_read2_b32 v[18:19], v20 offset0:2 offset1:3
	ds_read2_b32 v[22:23], v20 offset0:4 offset1:5
	;; [unrolled: 1-line block ×3, first 2 shown]
	s_waitcnt lgkmcnt(3)
	v_add_f32_e32 v14, v54, v14
	v_add_f32_e32 v14, v14, v15
	s_waitcnt lgkmcnt(2)
	v_add_f32_e32 v14, v14, v18
	v_add_f32_e32 v14, v14, v19
	;; [unrolled: 3-line block ×4, first 2 shown]
.LBB73_65:
	s_or_b64 exec, exec, s[8:9]
	v_fma_f32 v0, v12, v0, 0
	v_fmac_f32_e32 v0, v10, v1
	v_fmac_f32_e32 v0, v11, v2
	;; [unrolled: 1-line block ×3, first 2 shown]
	s_barrier
	ds_write_b32 v21, v0
	s_waitcnt lgkmcnt(0)
	s_barrier
	s_and_saveexec_b64 s[6:7], s[14:15]
	s_cbranch_execz .LBB73_67
; %bb.66:
	ds_read2_b32 v[0:1], v20 offset1:1
	ds_read2_b32 v[2:3], v20 offset0:2 offset1:3
	ds_read2_b32 v[10:11], v20 offset0:4 offset1:5
	;; [unrolled: 1-line block ×3, first 2 shown]
	s_waitcnt lgkmcnt(3)
	v_add_f32_e32 v0, v54, v0
	v_add_f32_e32 v0, v0, v1
	s_waitcnt lgkmcnt(2)
	v_add_f32_e32 v0, v0, v2
	v_add_f32_e32 v0, v0, v3
	;; [unrolled: 3-line block ×4, first 2 shown]
.LBB73_67:
	s_or_b64 exec, exec, s[6:7]
	s_load_dwordx2 s[0:1], s[0:1], 0x60
	s_mul_hi_u32 s6, s34, s3
	s_mul_i32 s38, s38, s3
	s_add_i32 s6, s6, s38
	s_mul_i32 s3, s34, s3
	s_mul_i32 s6, s6, s33
	s_mul_hi_u32 s7, s3, s33
	s_add_i32 s7, s7, s6
	s_mul_i32 s6, s3, s33
	s_lshl_b64 s[6:7], s[6:7], 2
	s_waitcnt lgkmcnt(0)
	s_add_u32 s3, s0, s6
	s_addc_u32 s6, s1, s7
	s_mul_hi_i32 s1, s34, s2
	s_mul_i32 s0, s34, s2
	s_lshl_b64 s[0:1], s[0:1], 2
	s_add_u32 s8, s3, s0
	s_addc_u32 s9, s6, s1
	s_add_i32 s0, s2, 1
	s_cmp_ge_u32 s0, s33
	v_lshlrev_b32_e32 v0, 2, v52
	s_barrier
	s_cbranch_scc1 .LBB73_124
; %bb.68:
	s_mul_i32 s0, s26, s29
	s_mul_hi_u32 s1, s26, s28
	s_add_i32 s0, s1, s0
	s_mul_i32 s1, s27, s28
	s_add_i32 s1, s0, s1
	s_mul_i32 s0, s26, s28
	s_lshl_b64 s[0:1], s[0:1], 2
	v_mov_b32_e32 v1, s1
	v_subrev_co_u32_e32 v2, vcc, s0, v6
	v_and_b32_e32 v46, 48, v52
	s_nop 0
	v_subb_co_u32_e32 v3, vcc, v7, v1, vcc
	v_and_b32_e32 v44, 15, v52
	v_lshlrev_b32_e32 v1, 2, v46
	s_movk_i32 s0, 0x10c
	v_mad_u32_u24 v58, v44, s0, v1
	v_or_b32_e32 v1, 60, v0
	v_mad_u32_u24 v59, v44, s0, v1
	v_and_b32_e32 v1, 0x1fff0, v16
	v_lshlrev_b32_e32 v42, 4, v53
	v_mad_u32_u24 v60, v44, s0, v1
	s_movk_i32 s0, 0x430
	v_add_u32_e32 v1, 0x80, v42
	v_mad_u32_u24 v65, v53, s0, v0
	v_mad_u64_u32 v[6:7], s[0:1], s20, v1, 0
	v_mov_b32_e32 v10, v7
	v_mad_u64_u32 v[10:11], s[0:1], s21, v1, v[10:11]
	v_lshlrev_b64 v[8:9], 2, v[8:9]
	v_mov_b32_e32 v1, v10
	v_sub_co_u32_e32 v6, vcc, v6, v8
	v_lshrrev_b32_e32 v45, 4, v16
	s_nop 0
	v_subb_co_u32_e32 v7, vcc, v1, v9, vcc
	v_add_u32_e32 v1, 0x88, v42
	v_mad_u64_u32 v[10:11], s[0:1], s20, v1, 0
	v_mov_b32_e32 v12, v11
	v_mad_u64_u32 v[12:13], s[0:1], s21, v1, v[12:13]
	v_mov_b32_e32 v1, v12
	v_sub_co_u32_e32 v10, vcc, v10, v8
	v_cmp_gt_u32_e64 s[6:7], 64, v16
	s_nop 0
	v_subb_co_u32_e32 v11, vcc, v1, v9, vcc
	v_add_u32_e32 v1, 0x84, v42
	v_mad_u64_u32 v[12:13], s[0:1], s20, v1, 0
	v_mov_b32_e32 v14, v13
	v_mad_u64_u32 v[14:15], s[0:1], s21, v1, v[14:15]
	v_mov_b32_e32 v1, v14
	v_sub_co_u32_e32 v12, vcc, v12, v8
	v_add_u32_e32 v64, 0x10c0, v42
	s_nop 0
	v_subb_co_u32_e32 v13, vcc, v1, v9, vcc
	v_add_u32_e32 v1, 0x8c, v42
	v_mad_u64_u32 v[14:15], s[0:1], s20, v1, 0
	v_mov_b32_e32 v16, v15
	v_mad_u64_u32 v[16:17], s[0:1], s21, v1, v[16:17]
	v_mov_b32_e32 v1, v16
	v_sub_co_u32_e32 v14, vcc, v14, v8
	v_lshlrev_b32_e32 v55, 2, v53
	s_nop 0
	v_subb_co_u32_e32 v15, vcc, v1, v9, vcc
	v_add_u32_e32 v1, 0xc0, v42
	v_mad_u64_u32 v[16:17], s[0:1], s20, v1, 0
	v_mov_b32_e32 v18, v17
	v_mad_u64_u32 v[18:19], s[0:1], s21, v1, v[18:19]
	v_mov_b32_e32 v1, v18
	v_sub_co_u32_e32 v16, vcc, v16, v8
	s_add_i32 s3, s33, -2
	s_nop 0
	v_subb_co_u32_e32 v17, vcc, v1, v9, vcc
	v_add_u32_e32 v1, 0xc4, v42
	v_mad_u64_u32 v[18:19], s[0:1], s20, v1, 0
	v_mov_b32_e32 v20, v19
	v_mad_u64_u32 v[20:21], s[0:1], s21, v1, v[20:21]
	v_mov_b32_e32 v1, v20
	v_sub_co_u32_e32 v18, vcc, v18, v8
	v_add_u32_e32 v56, 0x10c0, v0
	s_nop 0
	v_subb_co_u32_e32 v19, vcc, v1, v9, vcc
	v_add_u32_e32 v1, 0xc8, v42
	v_mad_u64_u32 v[20:21], s[0:1], s20, v1, 0
	v_mov_b32_e32 v22, v21
	v_mad_u64_u32 v[22:23], s[0:1], s21, v1, v[22:23]
	v_mov_b32_e32 v1, v22
	v_sub_co_u32_e32 v20, vcc, v20, v8
	v_add_u32_e32 v57, 0x11c0, v0
	s_nop 0
	v_subb_co_u32_e32 v21, vcc, v1, v9, vcc
	v_add_u32_e32 v1, 0xcc, v42
	v_mad_u64_u32 v[22:23], s[0:1], s20, v1, 0
	v_mov_b32_e32 v24, v23
	v_mad_u64_u32 v[24:25], s[0:1], s21, v1, v[24:25]
	v_mov_b32_e32 v1, v24
	v_sub_co_u32_e32 v22, vcc, v22, v8
	v_or_b32_e32 v61, 1, v55
	s_nop 0
	v_subb_co_u32_e32 v23, vcc, v1, v9, vcc
	v_add_u32_e32 v1, 0x100, v42
	v_mad_u64_u32 v[24:25], s[0:1], s20, v1, 0
	v_mov_b32_e32 v26, v25
	v_mad_u64_u32 v[26:27], s[0:1], s21, v1, v[26:27]
	v_mov_b32_e32 v1, v26
	v_sub_co_u32_e32 v24, vcc, v24, v8
	v_or_b32_e32 v62, 2, v55
	;; [unrolled: 9-line block ×3, first 2 shown]
	s_nop 0
	v_subb_co_u32_e32 v27, vcc, v1, v9, vcc
	v_add_u32_e32 v1, 0x108, v42
	v_mad_u64_u32 v[28:29], s[0:1], s20, v1, 0
	v_mov_b32_e32 v30, v29
	v_mad_u64_u32 v[30:31], s[0:1], s21, v1, v[30:31]
	v_mov_b32_e32 v1, v30
	v_sub_co_u32_e32 v28, vcc, v28, v8
	v_add_u32_e32 v66, 16, v55
	s_nop 0
	v_subb_co_u32_e32 v29, vcc, v1, v9, vcc
	v_add_u32_e32 v1, 0x10c, v42
	v_mad_u64_u32 v[30:31], s[0:1], s20, v1, 0
	v_mov_b32_e32 v32, v31
	v_mad_u64_u32 v[32:33], s[0:1], s21, v1, v[32:33]
	v_mov_b32_e32 v1, v32
	v_sub_co_u32_e32 v30, vcc, v30, v8
	v_add_u32_e32 v67, 17, v55
	;; [unrolled: 9-line block ×6, first 2 shown]
	s_nop 0
	v_subb_co_u32_e32 v41, vcc, v1, v9, vcc
	v_lshl_add_u64 v[8:9], v[36:37], 0, v[10:11]
	v_lshl_add_u64 v[10:11], v[36:37], 0, v[12:13]
	;; [unrolled: 1-line block ×14, first 2 shown]
	v_mul_i32_i24_e32 v38, -12, v45
	v_lshl_add_u64 v[6:7], v[36:37], 0, v[6:7]
	v_lshl_add_u64 v[36:37], v[36:37], 0, v[40:41]
	v_add_u32_e32 v72, 34, v55
	v_add_u32_e32 v73, 35, v55
	v_or_b32_e32 v74, v46, v44
	v_add_u32_e32 v75, 48, v55
	s_add_i32 s16, s26, 64
	v_mov_b32_e32 v1, 0
	s_lshl_b64 s[10:11], s[20:21], 8
	v_add_u32_e32 v76, v60, v38
	v_add_u32_e32 v77, 49, v55
	v_add_u32_e32 v78, 50, v55
	v_add_u32_e32 v79, 51, v55
	s_cmp_eq_u32 s3, s2
	s_cselect_b32 s17, s35, 0
	s_and_saveexec_b64 s[0:1], s[4:5]
	s_cbranch_execz .LBB73_72
.LBB73_69:
	s_cmp_eq_u32 s17, 0
	s_cselect_b64 s[12:13], -1, 0
	v_cmp_gt_i32_e32 vcc, s17, v52
	s_or_b64 s[14:15], s[12:13], vcc
	v_mov_b32_e32 v38, 0
	s_and_saveexec_b64 s[12:13], s[14:15]
	s_cbranch_execz .LBB73_71
; %bb.70:
	s_ashr_i32 s14, s16, 31
	s_mul_i32 s15, s16, s29
	s_mul_hi_u32 s20, s16, s28
	s_add_i32 s15, s20, s15
	s_mul_i32 s14, s14, s28
	s_add_i32 s15, s15, s14
	s_mul_i32 s14, s16, s28
	v_lshl_add_u64 v[38:39], s[14:15], 2, v[2:3]
	global_load_dword v38, v[38:39], off
.LBB73_71:
	s_or_b64 exec, exec, s[12:13]
	s_waitcnt vmcnt(0)
	ds_write_b32 v56, v38
.LBB73_72:                              ; =>This Inner Loop Header: Depth=1
	s_or_b64 exec, exec, s[0:1]
	s_cmp_eq_u32 s17, 0
	s_cselect_b64 s[12:13], -1, 0
	s_cmp_lg_u32 s17, 0
	s_cselect_b64 s[14:15], -1, 0
	v_lshl_add_u64 v[38:39], v[6:7], 0, v[0:1]
	s_and_b64 vcc, exec, s[14:15]
	s_waitcnt lgkmcnt(0)
	s_barrier
	s_cbranch_vccz .LBB73_120
; %bb.73:                               ;   in Loop: Header=BB73_72 Depth=1
	v_cmp_gt_i32_e32 vcc, s17, v55
	v_mov_b32_e32 v80, 0
	v_mov_b32_e32 v81, 0
	s_and_saveexec_b64 s[0:1], vcc
	s_cbranch_execz .LBB73_75
; %bb.74:                               ;   in Loop: Header=BB73_72 Depth=1
	global_load_dword v81, v[38:39], off
.LBB73_75:                              ;   in Loop: Header=BB73_72 Depth=1
	s_or_b64 exec, exec, s[0:1]
	v_cmp_gt_i32_e32 vcc, s17, v61
	s_and_saveexec_b64 s[0:1], vcc
	s_cbranch_execz .LBB73_77
; %bb.76:                               ;   in Loop: Header=BB73_72 Depth=1
	v_lshl_add_u64 v[40:41], v[10:11], 0, v[0:1]
	global_load_dword v80, v[40:41], off
.LBB73_77:                              ;   in Loop: Header=BB73_72 Depth=1
	s_or_b64 exec, exec, s[0:1]
	v_cmp_gt_i32_e32 vcc, s17, v62
	v_mov_b32_e32 v82, 0
	v_mov_b32_e32 v83, 0
	s_and_saveexec_b64 s[0:1], vcc
	s_cbranch_execz .LBB73_79
; %bb.78:                               ;   in Loop: Header=BB73_72 Depth=1
	v_lshl_add_u64 v[40:41], v[8:9], 0, v[0:1]
	global_load_dword v83, v[40:41], off
.LBB73_79:                              ;   in Loop: Header=BB73_72 Depth=1
	s_or_b64 exec, exec, s[0:1]
	v_cmp_gt_i32_e32 vcc, s17, v63
	s_and_saveexec_b64 s[0:1], vcc
	s_cbranch_execz .LBB73_81
; %bb.80:                               ;   in Loop: Header=BB73_72 Depth=1
	v_lshl_add_u64 v[40:41], v[12:13], 0, v[0:1]
	global_load_dword v82, v[40:41], off
.LBB73_81:                              ;   in Loop: Header=BB73_72 Depth=1
	s_or_b64 exec, exec, s[0:1]
	s_branch .LBB73_83
.LBB73_82:                              ;   in Loop: Header=BB73_72 Depth=1
	global_load_dword v81, v[38:39], off
	v_lshl_add_u64 v[38:39], v[10:11], 0, v[0:1]
	global_load_dword v80, v[38:39], off
	v_lshl_add_u64 v[38:39], v[8:9], 0, v[0:1]
	;; [unrolled: 2-line block ×3, first 2 shown]
	global_load_dword v82, v[38:39], off
.LBB73_83:                              ;   in Loop: Header=BB73_72 Depth=1
	ds_read_b32 v38, v57
	ds_read_b32 v84, v64
	v_cndmask_b32_e64 v42, 0, 1, s[14:15]
	v_cmp_ne_u32_e64 s[0:1], 1, v42
	s_andn2_b64 vcc, exec, s[14:15]
	s_waitcnt vmcnt(0) lgkmcnt(1)
	v_mul_f32_e32 v39, v81, v38
	v_mul_f32_e32 v40, v80, v38
	ds_write_b32 v65, v39
	v_mul_f32_e32 v41, v83, v38
	ds_read_b32 v85, v64 offset:4
	ds_write_b32 v65, v40 offset:268
	ds_read_b32 v86, v64 offset:8
	ds_write_b32 v65, v41 offset:536
	v_mul_f32_e32 v38, v82, v38
	ds_read_b32 v87, v64 offset:12
	ds_write_b32 v65, v38 offset:804
	s_waitcnt lgkmcnt(0)
	s_barrier
	ds_read2_b32 v[40:41], v60 offset1:1
	ds_read2_b32 v[38:39], v60 offset0:2 offset1:3
	v_lshl_add_u64 v[42:43], v[14:15], 0, v[0:1]
	s_waitcnt lgkmcnt(0)
	s_barrier
	s_cbranch_vccnz .LBB73_121
; %bb.84:                               ;   in Loop: Header=BB73_72 Depth=1
	v_cmp_gt_i32_e32 vcc, s17, v66
	v_mov_b32_e32 v88, 0
	v_mov_b32_e32 v89, 0
	s_and_saveexec_b64 s[14:15], vcc
	s_cbranch_execz .LBB73_86
; %bb.85:                               ;   in Loop: Header=BB73_72 Depth=1
	global_load_dword v89, v[42:43], off
.LBB73_86:                              ;   in Loop: Header=BB73_72 Depth=1
	s_or_b64 exec, exec, s[14:15]
	v_cmp_gt_i32_e32 vcc, s17, v67
	s_and_saveexec_b64 s[14:15], vcc
	s_cbranch_execz .LBB73_88
; %bb.87:                               ;   in Loop: Header=BB73_72 Depth=1
	v_lshl_add_u64 v[44:45], v[16:17], 0, v[0:1]
	global_load_dword v88, v[44:45], off
.LBB73_88:                              ;   in Loop: Header=BB73_72 Depth=1
	s_or_b64 exec, exec, s[14:15]
	v_cmp_gt_i32_e32 vcc, s17, v68
	v_mov_b32_e32 v90, 0
	v_mov_b32_e32 v91, 0
	s_and_saveexec_b64 s[14:15], vcc
	s_cbranch_execz .LBB73_90
; %bb.89:                               ;   in Loop: Header=BB73_72 Depth=1
	v_lshl_add_u64 v[44:45], v[18:19], 0, v[0:1]
	global_load_dword v91, v[44:45], off
.LBB73_90:                              ;   in Loop: Header=BB73_72 Depth=1
	s_or_b64 exec, exec, s[14:15]
	v_cmp_gt_i32_e32 vcc, s17, v69
	s_and_saveexec_b64 s[14:15], vcc
	s_cbranch_execz .LBB73_92
; %bb.91:                               ;   in Loop: Header=BB73_72 Depth=1
	v_lshl_add_u64 v[44:45], v[20:21], 0, v[0:1]
	global_load_dword v90, v[44:45], off
.LBB73_92:                              ;   in Loop: Header=BB73_72 Depth=1
	s_or_b64 exec, exec, s[14:15]
	s_branch .LBB73_94
.LBB73_93:                              ;   in Loop: Header=BB73_72 Depth=1
	global_load_dword v89, v[42:43], off
	v_lshl_add_u64 v[42:43], v[16:17], 0, v[0:1]
	global_load_dword v88, v[42:43], off
	v_lshl_add_u64 v[42:43], v[18:19], 0, v[0:1]
	;; [unrolled: 2-line block ×3, first 2 shown]
	global_load_dword v90, v[42:43], off
.LBB73_94:                              ;   in Loop: Header=BB73_72 Depth=1
	ds_read_b32 v42, v57
	ds_read_b32 v92, v64 offset:64
	s_and_b64 vcc, exec, s[0:1]
	v_lshl_add_u64 v[46:47], v[22:23], 0, v[0:1]
	s_waitcnt vmcnt(0) lgkmcnt(1)
	v_mul_f32_e32 v43, v89, v42
	v_mul_f32_e32 v44, v88, v42
	ds_write_b32 v65, v43
	v_mul_f32_e32 v45, v91, v42
	ds_read_b32 v93, v64 offset:68
	ds_write_b32 v65, v44 offset:268
	ds_read_b32 v94, v64 offset:72
	ds_write_b32 v65, v45 offset:536
	v_mul_f32_e32 v42, v90, v42
	ds_read_b32 v95, v64 offset:76
	ds_write_b32 v65, v42 offset:804
	s_waitcnt lgkmcnt(0)
	s_barrier
	ds_read2_b32 v[44:45], v60 offset1:1
	ds_read2_b32 v[42:43], v60 offset0:2 offset1:3
	s_waitcnt lgkmcnt(0)
	s_barrier
	s_cbranch_vccnz .LBB73_122
; %bb.95:                               ;   in Loop: Header=BB73_72 Depth=1
	v_cmp_gt_i32_e32 vcc, s17, v70
	v_mov_b32_e32 v96, 0
	v_mov_b32_e32 v97, 0
	s_and_saveexec_b64 s[14:15], vcc
	s_cbranch_execz .LBB73_97
; %bb.96:                               ;   in Loop: Header=BB73_72 Depth=1
	global_load_dword v97, v[46:47], off
.LBB73_97:                              ;   in Loop: Header=BB73_72 Depth=1
	s_or_b64 exec, exec, s[14:15]
	v_cmp_gt_i32_e32 vcc, s17, v71
	s_and_saveexec_b64 s[14:15], vcc
	s_cbranch_execz .LBB73_99
; %bb.98:                               ;   in Loop: Header=BB73_72 Depth=1
	v_lshl_add_u64 v[48:49], v[24:25], 0, v[0:1]
	global_load_dword v96, v[48:49], off
.LBB73_99:                              ;   in Loop: Header=BB73_72 Depth=1
	s_or_b64 exec, exec, s[14:15]
	v_cmp_gt_i32_e32 vcc, s17, v72
	v_mov_b32_e32 v98, 0
	v_mov_b32_e32 v99, 0
	s_and_saveexec_b64 s[14:15], vcc
	s_cbranch_execz .LBB73_101
; %bb.100:                              ;   in Loop: Header=BB73_72 Depth=1
	v_lshl_add_u64 v[48:49], v[26:27], 0, v[0:1]
	global_load_dword v99, v[48:49], off
.LBB73_101:                             ;   in Loop: Header=BB73_72 Depth=1
	s_or_b64 exec, exec, s[14:15]
	v_cmp_gt_i32_e32 vcc, s17, v73
	s_and_saveexec_b64 s[14:15], vcc
	s_cbranch_execz .LBB73_103
; %bb.102:                              ;   in Loop: Header=BB73_72 Depth=1
	v_lshl_add_u64 v[48:49], v[28:29], 0, v[0:1]
	global_load_dword v98, v[48:49], off
.LBB73_103:                             ;   in Loop: Header=BB73_72 Depth=1
	s_or_b64 exec, exec, s[14:15]
	s_branch .LBB73_105
.LBB73_104:                             ;   in Loop: Header=BB73_72 Depth=1
	global_load_dword v97, v[46:47], off
	v_lshl_add_u64 v[46:47], v[24:25], 0, v[0:1]
	global_load_dword v96, v[46:47], off
	v_lshl_add_u64 v[46:47], v[26:27], 0, v[0:1]
	;; [unrolled: 2-line block ×3, first 2 shown]
	global_load_dword v98, v[46:47], off
.LBB73_105:                             ;   in Loop: Header=BB73_72 Depth=1
	ds_read_b32 v46, v57
	ds_read_b32 v100, v64 offset:128
	s_and_b64 vcc, exec, s[0:1]
	v_lshl_add_u64 v[50:51], v[30:31], 0, v[0:1]
	s_waitcnt vmcnt(0) lgkmcnt(1)
	v_mul_f32_e32 v47, v97, v46
	v_mul_f32_e32 v48, v96, v46
	ds_write_b32 v65, v47
	v_mul_f32_e32 v49, v99, v46
	ds_read_b32 v101, v64 offset:132
	ds_write_b32 v65, v48 offset:268
	ds_read_b32 v102, v64 offset:136
	ds_write_b32 v65, v49 offset:536
	v_mul_f32_e32 v46, v98, v46
	ds_read_b32 v103, v64 offset:140
	ds_write_b32 v65, v46 offset:804
	s_waitcnt lgkmcnt(0)
	s_barrier
	ds_read2_b32 v[48:49], v60 offset1:1
	ds_read2_b32 v[46:47], v60 offset0:2 offset1:3
	s_waitcnt lgkmcnt(0)
	s_barrier
	s_cbranch_vccnz .LBB73_123
; %bb.106:                              ;   in Loop: Header=BB73_72 Depth=1
	v_cmp_gt_i32_e32 vcc, s17, v75
	v_mov_b32_e32 v104, 0
	v_mov_b32_e32 v105, 0
	s_and_saveexec_b64 s[0:1], vcc
	s_cbranch_execz .LBB73_108
; %bb.107:                              ;   in Loop: Header=BB73_72 Depth=1
	global_load_dword v105, v[50:51], off
.LBB73_108:                             ;   in Loop: Header=BB73_72 Depth=1
	s_or_b64 exec, exec, s[0:1]
	v_cmp_gt_i32_e32 vcc, s17, v77
	s_and_saveexec_b64 s[0:1], vcc
	s_cbranch_execz .LBB73_110
; %bb.109:                              ;   in Loop: Header=BB73_72 Depth=1
	v_lshl_add_u64 v[106:107], v[32:33], 0, v[0:1]
	global_load_dword v104, v[106:107], off
.LBB73_110:                             ;   in Loop: Header=BB73_72 Depth=1
	s_or_b64 exec, exec, s[0:1]
	v_cmp_gt_i32_e32 vcc, s17, v78
	v_mov_b32_e32 v106, 0
	v_mov_b32_e32 v107, 0
	s_and_saveexec_b64 s[0:1], vcc
	s_cbranch_execz .LBB73_112
; %bb.111:                              ;   in Loop: Header=BB73_72 Depth=1
	v_lshl_add_u64 v[108:109], v[34:35], 0, v[0:1]
	global_load_dword v107, v[108:109], off
.LBB73_112:                             ;   in Loop: Header=BB73_72 Depth=1
	s_or_b64 exec, exec, s[0:1]
	v_cmp_gt_i32_e32 vcc, s17, v79
	s_and_saveexec_b64 s[0:1], vcc
	s_cbranch_execz .LBB73_114
; %bb.113:                              ;   in Loop: Header=BB73_72 Depth=1
	v_lshl_add_u64 v[108:109], v[36:37], 0, v[0:1]
	global_load_dword v106, v[108:109], off
.LBB73_114:                             ;   in Loop: Header=BB73_72 Depth=1
	s_or_b64 exec, exec, s[0:1]
	s_branch .LBB73_116
.LBB73_115:                             ;   in Loop: Header=BB73_72 Depth=1
	global_load_dword v105, v[50:51], off
	v_lshl_add_u64 v[50:51], v[32:33], 0, v[0:1]
	global_load_dword v104, v[50:51], off
	v_lshl_add_u64 v[50:51], v[34:35], 0, v[0:1]
	;; [unrolled: 2-line block ×3, first 2 shown]
	global_load_dword v106, v[50:51], off
.LBB73_116:                             ;   in Loop: Header=BB73_72 Depth=1
	v_add_f32_e32 v44, 0, v44
	v_add_f32_e32 v44, v44, v45
	ds_read_b32 v45, v57
	v_add_f32_e32 v48, 0, v48
	v_add_f32_e32 v48, v48, v49
	;; [unrolled: 1-line block ×6, first 2 shown]
	ds_read_b32 v40, v64 offset:192
	s_waitcnt vmcnt(0) lgkmcnt(1)
	v_mul_f32_e32 v42, v105, v45
	ds_write_b32 v65, v42
	v_mul_f32_e32 v43, v104, v45
	ds_read_b32 v42, v64 offset:196
	ds_write_b32 v65, v43 offset:268
	v_mul_f32_e32 v44, v107, v45
	ds_read_b32 v43, v64 offset:200
	ds_write_b32 v65, v44 offset:536
	v_mul_f32_e32 v45, v106, v45
	v_add_f32_e32 v50, v46, v47
	ds_read_b32 v44, v64 offset:204
	ds_write_b32 v65, v45 offset:804
	s_waitcnt lgkmcnt(0)
	s_barrier
	ds_read2_b32 v[46:47], v60 offset1:1
	v_add_f32_e32 v41, v48, v41
	ds_read2_b32 v[48:49], v60 offset0:2 offset1:3
	v_add_f32_e32 v38, v41, v38
	v_add_f32_e32 v38, v38, v39
	s_waitcnt lgkmcnt(1)
	v_add_f32_e32 v39, 0, v46
	v_cmp_gt_i32_e32 vcc, s17, v52
	v_add_f32_e32 v39, v39, v47
	s_or_b64 s[0:1], s[12:13], vcc
	s_waitcnt lgkmcnt(0)
	v_add_f32_e32 v39, v39, v48
	s_and_b64 s[12:13], s[6:7], s[0:1]
	v_add_f32_e32 v39, v39, v49
	s_barrier
	ds_write2_b32 v76, v38, v51 offset1:16
	ds_write2_b32 v76, v50, v39 offset0:32 offset1:48
	s_waitcnt lgkmcnt(0)
	s_barrier
	s_and_saveexec_b64 s[0:1], s[12:13]
	s_cbranch_execz .LBB73_118
; %bb.117:                              ;   in Loop: Header=BB73_72 Depth=1
	ds_read2_b32 v[38:39], v58 offset1:1
	ds_read2_b32 v[46:47], v58 offset0:2 offset1:3
	ds_read2_b32 v[48:49], v58 offset0:4 offset1:5
	ds_read2_b32 v[50:51], v58 offset0:6 offset1:7
	s_waitcnt lgkmcnt(3)
	v_add_f32_e32 v38, v38, v39
	s_waitcnt lgkmcnt(2)
	v_add_f32_e32 v38, v38, v46
	v_add_f32_e32 v38, v38, v47
	s_waitcnt lgkmcnt(1)
	v_add_f32_e32 v38, v38, v48
	v_add_f32_e32 v38, v38, v49
	s_waitcnt lgkmcnt(0)
	v_add_f32_e32 v41, v38, v50
	ds_read2_b32 v[38:39], v58 offset0:8 offset1:9
	v_add_f32_e32 v41, v41, v51
	ds_read2_b32 v[46:47], v58 offset0:10 offset1:11
	ds_read2_b32 v[48:49], v58 offset0:12 offset1:13
	ds_read_b32 v45, v58 offset:56
	s_waitcnt lgkmcnt(3)
	v_add_f32_e32 v38, v41, v38
	v_add_f32_e32 v38, v38, v39
	s_waitcnt lgkmcnt(2)
	v_add_f32_e32 v38, v38, v46
	ds_read_b32 v39, v59
	v_add_f32_e32 v38, v38, v47
	s_waitcnt lgkmcnt(2)
	v_add_f32_e32 v38, v38, v48
	v_add_f32_e32 v38, v38, v49
	s_waitcnt lgkmcnt(1)
	v_add_f32_e32 v38, v38, v45
	s_waitcnt lgkmcnt(0)
	v_add_f32_e32 v41, v38, v39
	v_add_u32_e32 v38, s16, v74
	v_ashrrev_i32_e32 v39, 31, v38
	v_lshl_add_u64 v[38:39], v[38:39], 2, s[8:9]
	global_store_dword v[38:39], v41, off
.LBB73_118:                             ;   in Loop: Header=BB73_72 Depth=1
	s_or_b64 exec, exec, s[0:1]
	v_fmac_f32_e32 v54, v81, v84
	v_fmac_f32_e32 v54, v80, v85
	v_fmac_f32_e32 v54, v83, v86
	v_fmac_f32_e32 v54, v82, v87
	v_fmac_f32_e32 v54, v89, v92
	v_fmac_f32_e32 v54, v88, v93
	v_fmac_f32_e32 v54, v91, v94
	v_fmac_f32_e32 v54, v90, v95
	v_fmac_f32_e32 v54, v97, v100
	v_fmac_f32_e32 v54, v96, v101
	v_fmac_f32_e32 v54, v99, v102
	v_fmac_f32_e32 v54, v98, v103
	v_fmac_f32_e32 v54, v105, v40
	v_fmac_f32_e32 v54, v104, v42
	v_fmac_f32_e32 v54, v107, v43
	s_add_i32 s0, s2, 1
	s_add_i32 s16, s16, 64
	s_add_i32 s1, s2, 2
	v_fmac_f32_e32 v54, v106, v44
	v_lshl_add_u64 v[6:7], v[6:7], 0, s[10:11]
	v_lshl_add_u64 v[8:9], v[8:9], 0, s[10:11]
	;; [unrolled: 1-line block ×15, first 2 shown]
	s_cmp_ge_u32 s1, s33
	v_lshl_add_u64 v[36:37], v[36:37], 0, s[10:11]
	s_barrier
	s_cbranch_scc1 .LBB73_124
; %bb.119:                              ;   in Loop: Header=BB73_72 Depth=1
	s_mov_b32 s2, s0
	s_cmp_eq_u32 s3, s2
	s_cselect_b32 s17, s35, 0
	s_and_saveexec_b64 s[0:1], s[4:5]
	s_cbranch_execnz .LBB73_69
	s_branch .LBB73_72
.LBB73_120:                             ;   in Loop: Header=BB73_72 Depth=1
                                        ; implicit-def: $vgpr82
                                        ; implicit-def: $vgpr83
                                        ; implicit-def: $vgpr80
                                        ; implicit-def: $vgpr81
	s_cbranch_execnz .LBB73_82
	s_branch .LBB73_83
.LBB73_121:                             ;   in Loop: Header=BB73_72 Depth=1
                                        ; implicit-def: $vgpr90
                                        ; implicit-def: $vgpr91
                                        ; implicit-def: $vgpr88
                                        ; implicit-def: $vgpr89
	s_cbranch_execnz .LBB73_93
	s_branch .LBB73_94
.LBB73_122:                             ;   in Loop: Header=BB73_72 Depth=1
                                        ; implicit-def: $vgpr98
                                        ; implicit-def: $vgpr99
                                        ; implicit-def: $vgpr96
                                        ; implicit-def: $vgpr97
	s_cbranch_execnz .LBB73_104
	s_branch .LBB73_105
.LBB73_123:                             ;   in Loop: Header=BB73_72 Depth=1
                                        ; implicit-def: $vgpr106
                                        ; implicit-def: $vgpr107
                                        ; implicit-def: $vgpr104
                                        ; implicit-def: $vgpr105
	s_cbranch_execnz .LBB73_115
	s_branch .LBB73_116
.LBB73_124:
	s_movk_i32 s0, 0x10c
	v_cmp_gt_i32_e32 vcc, s24, v52
	v_mad_u32_u24 v1, v53, s0, v0
	s_or_b64 s[0:1], s[18:19], vcc
	s_and_b64 s[0:1], s[4:5], s[0:1]
	ds_write_b32 v1, v54
	s_waitcnt lgkmcnt(0)
	s_barrier
	s_and_saveexec_b64 s[2:3], s[0:1]
	s_cbranch_execz .LBB73_126
; %bb.125:
	ds_read2_b32 v[2:3], v0 offset1:67
	ds_read2_b32 v[0:1], v0 offset0:134 offset1:201
	s_waitcnt lgkmcnt(1)
	v_add_f32_e32 v2, v2, v3
	s_waitcnt lgkmcnt(0)
	v_add_f32_e32 v0, v2, v0
	v_add_f32_e32 v2, v0, v1
	v_lshl_add_u64 v[0:1], v[4:5], 2, s[8:9]
	global_store_dword v[0:1], v2, off
.LBB73_126:
	s_endpgm
	.section	.rodata,"a",@progbits
	.p2align	6, 0x0
	.amdhsa_kernel _ZL26rocblas_hemvn_kernel_upperILb0ELi64ELi4ELi33ELi32ELi16ElfPKfPfEviT6_lT7_lT5_lS4_lS5_lS3_lT8_i
		.amdhsa_group_segment_fixed_size 4800
		.amdhsa_private_segment_fixed_size 0
		.amdhsa_kernarg_size 368
		.amdhsa_user_sgpr_count 2
		.amdhsa_user_sgpr_dispatch_ptr 0
		.amdhsa_user_sgpr_queue_ptr 0
		.amdhsa_user_sgpr_kernarg_segment_ptr 1
		.amdhsa_user_sgpr_dispatch_id 0
		.amdhsa_user_sgpr_kernarg_preload_length 0
		.amdhsa_user_sgpr_kernarg_preload_offset 0
		.amdhsa_user_sgpr_private_segment_size 0
		.amdhsa_uses_dynamic_stack 0
		.amdhsa_enable_private_segment 0
		.amdhsa_system_sgpr_workgroup_id_x 1
		.amdhsa_system_sgpr_workgroup_id_y 0
		.amdhsa_system_sgpr_workgroup_id_z 1
		.amdhsa_system_sgpr_workgroup_info 0
		.amdhsa_system_vgpr_workitem_id 1
		.amdhsa_next_free_vgpr 110
		.amdhsa_next_free_sgpr 41
		.amdhsa_accum_offset 112
		.amdhsa_reserve_vcc 1
		.amdhsa_float_round_mode_32 0
		.amdhsa_float_round_mode_16_64 0
		.amdhsa_float_denorm_mode_32 3
		.amdhsa_float_denorm_mode_16_64 3
		.amdhsa_dx10_clamp 1
		.amdhsa_ieee_mode 1
		.amdhsa_fp16_overflow 0
		.amdhsa_tg_split 0
		.amdhsa_exception_fp_ieee_invalid_op 0
		.amdhsa_exception_fp_denorm_src 0
		.amdhsa_exception_fp_ieee_div_zero 0
		.amdhsa_exception_fp_ieee_overflow 0
		.amdhsa_exception_fp_ieee_underflow 0
		.amdhsa_exception_fp_ieee_inexact 0
		.amdhsa_exception_int_div_zero 0
	.end_amdhsa_kernel
	.section	.text._ZL26rocblas_hemvn_kernel_upperILb0ELi64ELi4ELi33ELi32ELi16ElfPKfPfEviT6_lT7_lT5_lS4_lS5_lS3_lT8_i,"axG",@progbits,_ZL26rocblas_hemvn_kernel_upperILb0ELi64ELi4ELi33ELi32ELi16ElfPKfPfEviT6_lT7_lT5_lS4_lS5_lS3_lT8_i,comdat
.Lfunc_end73:
	.size	_ZL26rocblas_hemvn_kernel_upperILb0ELi64ELi4ELi33ELi32ELi16ElfPKfPfEviT6_lT7_lT5_lS4_lS5_lS3_lT8_i, .Lfunc_end73-_ZL26rocblas_hemvn_kernel_upperILb0ELi64ELi4ELi33ELi32ELi16ElfPKfPfEviT6_lT7_lT5_lS4_lS5_lS3_lT8_i
                                        ; -- End function
	.section	.AMDGPU.csdata,"",@progbits
; Kernel info:
; codeLenInByte = 6724
; NumSgprs: 47
; NumVgprs: 110
; NumAgprs: 0
; TotalNumVgprs: 110
; ScratchSize: 0
; MemoryBound: 0
; FloatMode: 240
; IeeeMode: 1
; LDSByteSize: 4800 bytes/workgroup (compile time only)
; SGPRBlocks: 5
; VGPRBlocks: 13
; NumSGPRsForWavesPerEU: 47
; NumVGPRsForWavesPerEU: 110
; AccumOffset: 112
; Occupancy: 4
; WaveLimiterHint : 1
; COMPUTE_PGM_RSRC2:SCRATCH_EN: 0
; COMPUTE_PGM_RSRC2:USER_SGPR: 2
; COMPUTE_PGM_RSRC2:TRAP_HANDLER: 0
; COMPUTE_PGM_RSRC2:TGID_X_EN: 1
; COMPUTE_PGM_RSRC2:TGID_Y_EN: 0
; COMPUTE_PGM_RSRC2:TGID_Z_EN: 1
; COMPUTE_PGM_RSRC2:TIDIG_COMP_CNT: 1
; COMPUTE_PGM_RSRC3_GFX90A:ACCUM_OFFSET: 27
; COMPUTE_PGM_RSRC3_GFX90A:TG_SPLIT: 0
	.section	.text._ZL36rocblas_hemvn_kernel_upper_block_sumILi64ElfPffEviT1_lS1_lT2_lT0_lPT3_i,"axG",@progbits,_ZL36rocblas_hemvn_kernel_upper_block_sumILi64ElfPffEviT1_lS1_lT2_lT0_lPT3_i,comdat
	.globl	_ZL36rocblas_hemvn_kernel_upper_block_sumILi64ElfPffEviT1_lS1_lT2_lT0_lPT3_i ; -- Begin function _ZL36rocblas_hemvn_kernel_upper_block_sumILi64ElfPffEviT1_lS1_lT2_lT0_lPT3_i
	.p2align	8
	.type	_ZL36rocblas_hemvn_kernel_upper_block_sumILi64ElfPffEviT1_lS1_lT2_lT0_lPT3_i,@function
_ZL36rocblas_hemvn_kernel_upper_block_sumILi64ElfPffEviT1_lS1_lT2_lT0_lPT3_i: ; @_ZL36rocblas_hemvn_kernel_upper_block_sumILi64ElfPffEviT1_lS1_lT2_lT0_lPT3_i
; %bb.0:
	s_load_dwordx2 s[12:13], s[0:1], 0x0
	s_load_dword s20, s[0:1], 0x10
	s_waitcnt lgkmcnt(0)
	v_cmp_eq_f32_e64 s[4:5], s13, 0
	v_cmp_eq_f32_e64 s[6:7], s20, 1.0
	s_and_b64 s[4:5], s[4:5], s[6:7]
	s_and_b64 vcc, exec, s[4:5]
	s_cbranch_vccnz .LBB74_19
; %bb.1:
	s_load_dwordx8 s[4:11], s[0:1], 0x28
	s_load_dwordx2 s[14:15], s[0:1], 0x20
	v_lshl_or_b32 v0, s2, 6, v0
	s_waitcnt lgkmcnt(0)
	s_mul_i32 s9, s3, s9
	s_mul_hi_u32 s16, s3, s8
	s_mul_i32 s8, s3, s8
	s_add_i32 s9, s16, s9
	s_lshl_b64 s[8:9], s[8:9], 2
	s_add_u32 s8, s14, s8
	s_addc_u32 s9, s15, s9
	s_lshl_b64 s[4:5], s[4:5], 2
	s_add_u32 s8, s8, s4
	s_addc_u32 s9, s9, s5
	v_cmp_neq_f32_e64 s[4:5], s13, 0
	s_and_b64 vcc, exec, s[4:5]
	v_cmp_gt_i32_e64 s[4:5], s12, v0
	s_cbranch_vccnz .LBB74_6
; %bb.2:
	s_mov_b64 s[16:17], 0
	s_mov_b64 s[14:15], 0
                                        ; implicit-def: $vgpr1
                                        ; implicit-def: $vgpr2_vgpr3
	s_and_saveexec_b64 s[18:19], s[4:5]
	s_cbranch_execz .LBB74_7
; %bb.3:
	v_ashrrev_i32_e32 v2, 31, v0
	v_cmp_eq_f32_e64 s[4:5], s20, 0
	v_mul_lo_u32 v4, v0, s7
	v_mul_lo_u32 v5, v2, s6
	v_mad_u64_u32 v[2:3], s[14:15], v0, s6, 0
	v_mov_b32_e32 v1, 0
	v_add3_u32 v3, v3, v4, v5
	s_and_b64 vcc, exec, s[4:5]
	s_cbranch_vccnz .LBB74_5
; %bb.4:
	v_lshl_add_u64 v[4:5], v[2:3], 2, s[8:9]
	global_load_dword v1, v[4:5], off
	s_waitcnt vmcnt(0)
	v_mul_f32_e32 v1, s20, v1
.LBB74_5:
	s_mov_b64 s[14:15], exec
	s_or_b64 exec, exec, s[18:19]
	s_and_b64 vcc, exec, s[16:17]
	s_cbranch_vccnz .LBB74_8
	s_branch .LBB74_17
.LBB74_6:
	s_mov_b64 s[14:15], 0
                                        ; implicit-def: $vgpr1
                                        ; implicit-def: $vgpr2_vgpr3
	s_cbranch_execnz .LBB74_8
	s_branch .LBB74_17
.LBB74_7:
	s_or_b64 exec, exec, s[18:19]
	s_and_b64 vcc, exec, s[16:17]
	s_cbranch_vccz .LBB74_17
.LBB74_8:
	v_cmp_gt_i32_e32 vcc, s12, v0
                                        ; implicit-def: $vgpr1
                                        ; implicit-def: $vgpr2_vgpr3
	s_and_saveexec_b64 s[4:5], vcc
	s_cbranch_execz .LBB74_16
; %bb.9:
	v_ashrrev_i32_e32 v1, 31, v0
	s_cmp_lt_i32 s2, 0
	v_mov_b32_e32 v4, 0
	s_cbranch_scc1 .LBB74_12
; %bb.10:
	s_load_dword s0, s[0:1], 0x50
	s_ashr_i32 s17, s12, 31
	s_mul_hi_u32 s1, s12, s3
	s_mul_i32 s18, s17, s3
	s_add_i32 s1, s1, s18
	s_mul_i32 s3, s12, s3
	s_mov_b32 s16, s12
	s_waitcnt lgkmcnt(0)
	s_mul_i32 s1, s1, s0
	s_mul_hi_u32 s12, s3, s0
	s_add_i32 s1, s12, s1
	s_mul_i32 s0, s3, s0
	s_lshl_b64 s[0:1], s[0:1], 2
	s_add_u32 s0, s10, s0
	s_addc_u32 s1, s11, s1
	v_lshl_add_u64 v[2:3], v[0:1], 2, s[0:1]
	s_add_i32 s2, s2, 1
	s_lshl_b64 s[0:1], s[16:17], 2
	v_mov_b32_e32 v4, 0
.LBB74_11:                              ; =>This Inner Loop Header: Depth=1
	global_load_dword v5, v[2:3], off
	s_add_i32 s2, s2, -1
	v_lshl_add_u64 v[2:3], v[2:3], 0, s[0:1]
	s_cmp_eq_u32 s2, 0
	s_waitcnt vmcnt(0)
	v_add_f32_e32 v4, v4, v5
	s_cbranch_scc0 .LBB74_11
.LBB74_12:
	v_cmp_eq_f32_e64 s[0:1], s20, 0
	s_and_b64 vcc, exec, s[0:1]
	v_mul_lo_u32 v5, v1, s6
	v_mul_lo_u32 v6, v0, s7
	s_cbranch_vccz .LBB74_20
; %bb.13:
	v_mad_u64_u32 v[2:3], s[0:1], v0, s6, 0
	v_mul_f32_e32 v1, s13, v4
	v_add3_u32 v3, v3, v6, v5
	s_cbranch_execnz .LBB74_15
.LBB74_14:
	v_mad_u64_u32 v[2:3], s[0:1], v0, s6, 0
	v_add3_u32 v3, v3, v6, v5
	v_lshl_add_u64 v[0:1], v[2:3], 2, s[8:9]
	global_load_dword v0, v[0:1], off
	s_waitcnt vmcnt(0)
	v_mul_f32_e32 v1, s20, v0
	v_fmac_f32_e32 v1, s13, v4
.LBB74_15:
	s_or_b64 s[14:15], s[14:15], exec
.LBB74_16:
	s_or_b64 exec, exec, s[4:5]
.LBB74_17:
	s_and_saveexec_b64 s[0:1], s[14:15]
	s_cbranch_execz .LBB74_19
; %bb.18:
	v_lshl_add_u64 v[2:3], v[2:3], 2, s[8:9]
	global_store_dword v[2:3], v1, off
.LBB74_19:
	s_endpgm
.LBB74_20:
                                        ; implicit-def: $vgpr1
                                        ; implicit-def: $vgpr2_vgpr3
	s_branch .LBB74_14
	.section	.rodata,"a",@progbits
	.p2align	6, 0x0
	.amdhsa_kernel _ZL36rocblas_hemvn_kernel_upper_block_sumILi64ElfPffEviT1_lS1_lT2_lT0_lPT3_i
		.amdhsa_group_segment_fixed_size 0
		.amdhsa_private_segment_fixed_size 0
		.amdhsa_kernarg_size 336
		.amdhsa_user_sgpr_count 2
		.amdhsa_user_sgpr_dispatch_ptr 0
		.amdhsa_user_sgpr_queue_ptr 0
		.amdhsa_user_sgpr_kernarg_segment_ptr 1
		.amdhsa_user_sgpr_dispatch_id 0
		.amdhsa_user_sgpr_kernarg_preload_length 0
		.amdhsa_user_sgpr_kernarg_preload_offset 0
		.amdhsa_user_sgpr_private_segment_size 0
		.amdhsa_uses_dynamic_stack 0
		.amdhsa_enable_private_segment 0
		.amdhsa_system_sgpr_workgroup_id_x 1
		.amdhsa_system_sgpr_workgroup_id_y 0
		.amdhsa_system_sgpr_workgroup_id_z 1
		.amdhsa_system_sgpr_workgroup_info 0
		.amdhsa_system_vgpr_workitem_id 0
		.amdhsa_next_free_vgpr 7
		.amdhsa_next_free_sgpr 21
		.amdhsa_accum_offset 8
		.amdhsa_reserve_vcc 1
		.amdhsa_float_round_mode_32 0
		.amdhsa_float_round_mode_16_64 0
		.amdhsa_float_denorm_mode_32 3
		.amdhsa_float_denorm_mode_16_64 3
		.amdhsa_dx10_clamp 1
		.amdhsa_ieee_mode 1
		.amdhsa_fp16_overflow 0
		.amdhsa_tg_split 0
		.amdhsa_exception_fp_ieee_invalid_op 0
		.amdhsa_exception_fp_denorm_src 0
		.amdhsa_exception_fp_ieee_div_zero 0
		.amdhsa_exception_fp_ieee_overflow 0
		.amdhsa_exception_fp_ieee_underflow 0
		.amdhsa_exception_fp_ieee_inexact 0
		.amdhsa_exception_int_div_zero 0
	.end_amdhsa_kernel
	.section	.text._ZL36rocblas_hemvn_kernel_upper_block_sumILi64ElfPffEviT1_lS1_lT2_lT0_lPT3_i,"axG",@progbits,_ZL36rocblas_hemvn_kernel_upper_block_sumILi64ElfPffEviT1_lS1_lT2_lT0_lPT3_i,comdat
.Lfunc_end74:
	.size	_ZL36rocblas_hemvn_kernel_upper_block_sumILi64ElfPffEviT1_lS1_lT2_lT0_lPT3_i, .Lfunc_end74-_ZL36rocblas_hemvn_kernel_upper_block_sumILi64ElfPffEviT1_lS1_lT2_lT0_lPT3_i
                                        ; -- End function
	.section	.AMDGPU.csdata,"",@progbits
; Kernel info:
; codeLenInByte = 568
; NumSgprs: 27
; NumVgprs: 7
; NumAgprs: 0
; TotalNumVgprs: 7
; ScratchSize: 0
; MemoryBound: 0
; FloatMode: 240
; IeeeMode: 1
; LDSByteSize: 0 bytes/workgroup (compile time only)
; SGPRBlocks: 3
; VGPRBlocks: 0
; NumSGPRsForWavesPerEU: 27
; NumVGPRsForWavesPerEU: 7
; AccumOffset: 8
; Occupancy: 8
; WaveLimiterHint : 0
; COMPUTE_PGM_RSRC2:SCRATCH_EN: 0
; COMPUTE_PGM_RSRC2:USER_SGPR: 2
; COMPUTE_PGM_RSRC2:TRAP_HANDLER: 0
; COMPUTE_PGM_RSRC2:TGID_X_EN: 1
; COMPUTE_PGM_RSRC2:TGID_Y_EN: 0
; COMPUTE_PGM_RSRC2:TGID_Z_EN: 1
; COMPUTE_PGM_RSRC2:TIDIG_COMP_CNT: 0
; COMPUTE_PGM_RSRC3_GFX90A:ACCUM_OFFSET: 1
; COMPUTE_PGM_RSRC3_GFX90A:TG_SPLIT: 0
	.section	.text._ZL26rocblas_hemvn_kernel_upperILb0ELi64ELi4ELi33ELi32ELi16EifPKfPfEviT6_lT7_lT5_lS4_lS5_lS3_lT8_i,"axG",@progbits,_ZL26rocblas_hemvn_kernel_upperILb0ELi64ELi4ELi33ELi32ELi16EifPKfPfEviT6_lT7_lT5_lS4_lS5_lS3_lT8_i,comdat
	.globl	_ZL26rocblas_hemvn_kernel_upperILb0ELi64ELi4ELi33ELi32ELi16EifPKfPfEviT6_lT7_lT5_lS4_lS5_lS3_lT8_i ; -- Begin function _ZL26rocblas_hemvn_kernel_upperILb0ELi64ELi4ELi33ELi32ELi16EifPKfPfEviT6_lT7_lT5_lS4_lS5_lS3_lT8_i
	.p2align	8
	.type	_ZL26rocblas_hemvn_kernel_upperILb0ELi64ELi4ELi33ELi32ELi16EifPKfPfEviT6_lT7_lT5_lS4_lS5_lS3_lT8_i,@function
_ZL26rocblas_hemvn_kernel_upperILb0ELi64ELi4ELi33ELi32ELi16EifPKfPfEviT6_lT7_lT5_lS4_lS5_lS3_lT8_i: ; @_ZL26rocblas_hemvn_kernel_upperILb0ELi64ELi4ELi33ELi32ELi16EifPKfPfEviT6_lT7_lT5_lS4_lS5_lS3_lT8_i
; %bb.0:
	s_load_dwordx2 s[4:5], s[0:1], 0x7c
	s_add_u32 s8, s0, 0x70
	s_addc_u32 s9, s1, 0
	s_waitcnt lgkmcnt(0)
	s_lshr_b32 s6, s4, 16
	s_and_b32 s4, s4, 0xffff
	s_and_b32 s5, s5, 0xffff
	s_mul_i32 s4, s6, s4
	s_mul_i32 s4, s4, s5
	s_cmpk_lg_i32 s4, 0x100
	s_cbranch_scc1 .LBB75_126
; %bb.1:
	s_load_dwordx2 s[26:27], s[0:1], 0x0
	s_load_dword s6, s[0:1], 0x50
	s_waitcnt lgkmcnt(0)
	v_cmp_eq_f32_e64 s[4:5], s27, 0
	v_cmp_eq_f32_e64 s[6:7], s6, 1.0
	s_and_b64 s[6:7], s[4:5], s[6:7]
	s_and_b64 vcc, exec, s[6:7]
	s_cbranch_vccnz .LBB75_126
; %bb.2:
	s_and_b64 vcc, exec, s[4:5]
	s_cbranch_vccnz .LBB75_126
; %bb.3:
	s_load_dwordx2 s[10:11], s[0:1], 0x48
	s_load_dword s27, s[0:1], 0x40
	s_load_dword s33, s[8:9], 0x0
	s_load_dwordx4 s[4:7], s[0:1], 0x28
	s_load_dwordx2 s[12:13], s[0:1], 0x38
	s_waitcnt lgkmcnt(0)
	s_mul_i32 s8, s3, s11
	s_mul_hi_u32 s9, s3, s10
	s_add_i32 s9, s9, s8
	s_mul_i32 s8, s3, s10
	s_lshl_b64 s[8:9], s[8:9], 2
	s_add_u32 s8, s6, s8
	s_addc_u32 s9, s7, s9
	s_lshl_b64 s[6:7], s[12:13], 2
	s_add_u32 s6, s8, s6
	s_addc_u32 s7, s9, s7
	s_ashr_i32 s37, s26, 31
	s_lshr_b32 s9, s37, 26
	v_and_b32_e32 v6, 0x3ff, v0
	s_lshl_b32 s24, s2, 6
	s_add_i32 s9, s26, s9
	s_andn2_b32 s9, s9, 63
	v_add_u32_e32 v4, s24, v6
	v_bfe_u32 v5, v0, 10, 10
	s_add_i32 s8, s33, -1
	s_sub_i32 s36, s26, s9
	v_mul_lo_u32 v0, v4, s27
	s_cmp_eq_u32 s2, s8
	v_ashrrev_i32_e32 v1, 31, v0
	s_cselect_b32 s18, s36, 0
	v_lshl_add_u64 v[10:11], v[0:1], 2, s[6:7]
	v_cmp_eq_u32_e64 s[14:15], 0, v5
	s_and_saveexec_b64 s[6:7], s[14:15]
	s_cbranch_execz .LBB75_7
; %bb.4:
	s_cmp_eq_u32 s18, 0
	s_cselect_b64 s[8:9], -1, 0
	v_cmp_gt_i32_e32 vcc, s18, v6
	s_or_b64 s[10:11], s[8:9], vcc
	v_mov_b32_e32 v0, 0
	s_and_saveexec_b64 s[8:9], s[10:11]
	s_cbranch_execz .LBB75_6
; %bb.5:
	global_load_dword v0, v[10:11], off
.LBB75_6:
	s_or_b64 exec, exec, s[8:9]
	v_lshlrev_b32_e32 v1, 2, v6
	s_waitcnt vmcnt(0)
	ds_write_b32 v1, v0 offset:4544
.LBB75_7:
	s_or_b64 exec, exec, s[6:7]
	s_load_dwordx4 s[8:11], s[0:1], 0x10
	s_load_dword s22, s[0:1], 0x20
	s_mul_i32 s5, s3, s5
	s_mul_hi_u32 s6, s3, s4
	s_add_i32 s5, s6, s5
	s_mul_i32 s4, s3, s4
	s_lshl_b64 s[4:5], s[4:5], 2
	s_waitcnt lgkmcnt(0)
	s_add_u32 s6, s8, s4
	s_addc_u32 s7, s9, s5
	s_lshl_b64 s[4:5], s[10:11], 2
	s_add_u32 s6, s6, s4
	s_addc_u32 s7, s7, s5
	s_ashr_i32 s25, s24, 31
	v_lshl_add_u32 v18, v5, 6, v6
	s_lshl_b64 s[4:5], s[24:25], 2
	v_and_b32_e32 v0, 31, v6
	v_lshrrev_b32_e32 v1, 5, v18
	s_add_u32 s6, s6, s4
	s_addc_u32 s7, s7, s5
	v_mad_u64_u32 v[8:9], s[4:5], v1, s22, v[0:1]
	s_mul_i32 s4, s24, s22
	s_ashr_i32 s5, s4, 31
	s_lshl_b64 s[4:5], s[4:5], 2
	s_add_u32 s4, s4, s6
	s_addc_u32 s5, s5, s7
	s_cmp_eq_u32 s18, 0
	s_cselect_b64 s[20:21], -1, 0
	s_cmp_lg_u32 s18, 0
	v_ashrrev_i32_e32 v9, 31, v8
	s_cselect_b64 s[30:31], -1, 0
	v_lshl_add_u64 v[12:13], v[8:9], 2, s[4:5]
	s_and_b64 vcc, exec, s[30:31]
	v_cmp_gt_i32_e64 s[4:5], s18, v0
	v_lshlrev_b32_e32 v2, 2, v0
	s_cbranch_vccz .LBB75_17
; %bb.8:
	v_sub_co_u32_e32 v14, vcc, v12, v2
	s_ashr_i32 s19, s18, 31
	s_nop 0
	v_subbrev_co_u32_e32 v15, vcc, 0, v13, vcc
	v_lshl_add_u64 v[14:15], s[18:19], 2, v[14:15]
	v_lshl_add_u64 v[14:15], v[14:15], 0, -4
	v_cndmask_b32_e64 v15, v15, v13, s[4:5]
	v_cndmask_b32_e64 v14, v14, v12, s[4:5]
	v_cmp_gt_i32_e32 vcc, s18, v1
	v_mov_b32_e32 v7, 0
	v_mov_b32_e32 v16, 0
	s_and_saveexec_b64 s[6:7], vcc
	s_cbranch_execz .LBB75_10
; %bb.9:
	global_load_dword v16, v[14:15], off
.LBB75_10:
	s_or_b64 exec, exec, s[6:7]
	v_mul_u32_u24_e32 v3, 33, v1
	v_add_lshl_u32 v3, v3, v0, 2
	s_waitcnt vmcnt(0)
	ds_write_b32 v3, v16
	v_add_u32_e32 v16, 8, v1
	v_cmp_gt_i32_e32 vcc, s18, v16
	s_and_saveexec_b64 s[6:7], vcc
	s_cbranch_execz .LBB75_12
; %bb.11:
	s_lshl_b32 s8, s22, 3
	s_ashr_i32 s9, s8, 31
	v_lshl_add_u64 v[16:17], s[8:9], 2, v[14:15]
	global_load_dword v7, v[16:17], off
.LBB75_12:
	s_or_b64 exec, exec, s[6:7]
	s_waitcnt vmcnt(0)
	ds_write_b32 v3, v7 offset:1056
	v_add_u32_e32 v7, 16, v1
	v_cmp_gt_i32_e32 vcc, s18, v7
	v_mov_b32_e32 v7, 0
	v_mov_b32_e32 v16, 0
	s_and_saveexec_b64 s[6:7], vcc
	s_cbranch_execz .LBB75_14
; %bb.13:
	s_lshl_b32 s8, s22, 4
	s_ashr_i32 s9, s8, 31
	v_lshl_add_u64 v[16:17], s[8:9], 2, v[14:15]
	global_load_dword v16, v[16:17], off
.LBB75_14:
	s_or_b64 exec, exec, s[6:7]
	s_waitcnt vmcnt(0)
	ds_write_b32 v3, v16 offset:2112
	v_add_u32_e32 v16, 24, v1
	v_cmp_gt_i32_e32 vcc, s18, v16
	s_and_saveexec_b64 s[6:7], vcc
	s_cbranch_execz .LBB75_16
; %bb.15:
	s_mul_i32 s8, s22, 24
	s_ashr_i32 s9, s8, 31
	v_lshl_add_u64 v[16:17], s[8:9], 2, v[14:15]
	global_load_dword v7, v[16:17], off
.LBB75_16:
	s_or_b64 exec, exec, s[6:7]
	s_waitcnt vmcnt(0)
	ds_write_b32 v3, v7 offset:3168
	v_mov_b32_e32 v3, 0
	v_lshl_add_u64 v[14:15], v[14:15], 0, v[2:3]
	s_lshl_b64 s[6:7], s[18:19], 2
	v_mov_b32_e32 v3, s7
	v_subrev_co_u32_e32 v14, vcc, s6, v14
	s_nop 1
	v_subb_co_u32_e32 v15, vcc, v15, v3, vcc
	v_lshl_add_u64 v[14:15], v[14:15], 0, 4
	v_cndmask_b32_e64 v15, v15, v13, s[4:5]
	v_cndmask_b32_e64 v14, v14, v12, s[4:5]
	v_mul_u32_u24_e32 v19, 33, v1
	s_branch .LBB75_19
.LBB75_17:
                                        ; implicit-def: $vgpr14_vgpr15
	v_mul_u32_u24_e32 v19, 33, v1
	s_cbranch_execz .LBB75_19
; %bb.18:
	s_lshl_b32 s4, s22, 3
	s_ashr_i32 s5, s4, 31
	s_ashr_i32 s23, s22, 31
	v_lshl_add_u64 v[14:15], s[4:5], 2, v[12:13]
	global_load_dword v3, v[12:13], off
	global_load_dword v7, v[14:15], off
	s_lshl_b64 s[4:5], s[22:23], 5
	v_lshl_add_u64 v[14:15], v[14:15], 0, s[4:5]
	global_load_dword v16, v[14:15], off
	v_lshl_add_u64 v[14:15], v[14:15], 0, s[4:5]
	global_load_dword v14, v[14:15], off
	v_add_lshl_u32 v15, v19, v0, 2
	s_waitcnt vmcnt(3)
	ds_write_b32 v15, v3
	s_waitcnt vmcnt(2)
	ds_write_b32 v15, v7 offset:1056
	s_waitcnt vmcnt(1)
	ds_write_b32 v15, v16 offset:2112
	;; [unrolled: 2-line block ×3, first 2 shown]
	v_mov_b64_e32 v[14:15], v[12:13]
.LBB75_19:
	v_lshlrev_b32_e32 v20, 2, v1
	v_mul_u32_u24_e32 v21, 33, v0
	v_cmp_gt_u32_e64 s[6:7], v20, v0
	v_add_lshl_u32 v27, v20, v21, 2
	s_waitcnt lgkmcnt(0)
	s_barrier
	s_and_saveexec_b64 s[4:5], s[6:7]
	s_cbranch_execz .LBB75_21
; %bb.20:
	v_mul_u32_u24_e32 v3, 0x84, v1
	v_add_lshl_u32 v3, v3, v0, 2
	ds_read_b32 v3, v3
	s_waitcnt lgkmcnt(0)
	ds_write_b32 v27, v3
.LBB75_21:
	s_or_b64 exec, exec, s[4:5]
	v_cmp_ge_u32_e64 s[8:9], v20, v0
	s_and_saveexec_b64 s[4:5], s[8:9]
	s_cbranch_execz .LBB75_23
; %bb.22:
	v_or_b32_e32 v3, 1, v20
	v_mul_u32_u24_e32 v3, 33, v3
	v_add_lshl_u32 v3, v3, v0, 2
	ds_read_b32 v3, v3
	s_waitcnt lgkmcnt(0)
	ds_write_b32 v27, v3 offset:4
.LBB75_23:
	s_or_b64 exec, exec, s[4:5]
	v_or_b32_e32 v3, 2, v20
	v_cmp_gt_u32_e64 s[10:11], v3, v0
	s_and_saveexec_b64 s[4:5], s[10:11]
	s_cbranch_execz .LBB75_25
; %bb.24:
	v_mul_u32_u24_e32 v3, 33, v3
	v_add_lshl_u32 v3, v3, v0, 2
	ds_read_b32 v3, v3
	s_waitcnt lgkmcnt(0)
	ds_write_b32 v27, v3 offset:8
.LBB75_25:
	s_or_b64 exec, exec, s[4:5]
	v_or_b32_e32 v3, 3, v20
	v_cmp_gt_u32_e64 s[12:13], v3, v0
	v_mad_u32_u24 v3, v3, 33, v0
	v_lshlrev_b32_e32 v24, 2, v3
	s_and_saveexec_b64 s[4:5], s[12:13]
	s_cbranch_execz .LBB75_27
; %bb.26:
	ds_read_b32 v3, v24
	s_waitcnt lgkmcnt(0)
	ds_write_b32 v27, v3 offset:12
.LBB75_27:
	s_or_b64 exec, exec, s[4:5]
	v_mul_u32_u24_e32 v3, 0x84, v1
	v_add_u32_e32 v26, 0xfffffef8, v24
	s_waitcnt lgkmcnt(0)
	s_barrier
	v_add_lshl_u32 v25, v3, v0, 2
	v_lshlrev_b32_e32 v28, 2, v20
	ds_read2_b32 v[12:13], v26 offset1:33
	ds_read_b32 v16, v25
	ds_read_b128 v[30:33], v28 offset:4544
	ds_read_b32 v23, v24
	v_cmp_gt_u32_e64 s[4:5], 32, v18
	s_waitcnt lgkmcnt(3)
	v_mov_b32_e32 v17, v12
	v_mov_b32_e32 v22, v13
	s_waitcnt lgkmcnt(1)
	v_pk_mul_f32 v[16:17], v[16:17], v[30:31]
	s_waitcnt lgkmcnt(0)
	v_pk_mul_f32 v[12:13], v[22:23], v[32:33]
	v_add_f32_e32 v3, 0, v16
	v_add_f32_e32 v3, v3, v17
	;; [unrolled: 1-line block ×4, first 2 shown]
	v_add_lshl_u32 v23, v1, v21, 2
	v_mov_b32_e32 v7, 0
	v_lshlrev_b32_e32 v22, 2, v21
	s_barrier
	ds_write_b32 v23, v3
	s_waitcnt lgkmcnt(0)
	s_barrier
	s_and_saveexec_b64 s[16:17], s[4:5]
	s_cbranch_execz .LBB75_29
; %bb.28:
	ds_read2_b32 v[12:13], v22 offset1:1
	ds_read2_b32 v[16:17], v22 offset0:2 offset1:3
	ds_read2_b32 v[30:31], v22 offset0:4 offset1:5
	ds_read2_b32 v[32:33], v22 offset0:6 offset1:7
	s_waitcnt lgkmcnt(3)
	v_add_f32_e32 v3, v12, v13
	s_waitcnt lgkmcnt(2)
	v_add_f32_e32 v3, v3, v16
	v_add_f32_e32 v3, v3, v17
	s_waitcnt lgkmcnt(1)
	v_add_f32_e32 v3, v3, v30
	;; [unrolled: 3-line block ×3, first 2 shown]
	v_add_f32_e32 v7, v3, v33
.LBB75_29:
	s_or_b64 exec, exec, s[16:17]
	s_lshl_b32 s28, s22, 5
	s_ashr_i32 s29, s28, 31
	v_lshl_add_u64 v[16:17], s[28:29], 2, v[14:15]
	s_mov_b64 s[16:17], 0x80
	v_lshl_add_u64 v[14:15], v[16:17], 0, s[16:17]
	s_and_b64 vcc, exec, s[30:31]
	s_barrier
	s_cbranch_vccz .LBB75_39
; %bb.30:
	v_sub_co_u32_e32 v12, vcc, v14, v2
	s_ashr_i32 s19, s18, 31
	s_nop 0
	v_subbrev_co_u32_e32 v13, vcc, 0, v15, vcc
	s_movk_i32 s16, 0xff7c
	v_or_b32_e32 v3, 32, v0
	v_lshl_add_u64 v[12:13], s[18:19], 2, v[12:13]
	s_mov_b32 s17, -1
	v_lshl_add_u64 v[12:13], v[12:13], 0, s[16:17]
	v_cmp_gt_i32_e32 vcc, s18, v3
	s_sub_i32 s23, s18, 32
	v_cmp_gt_i32_e64 s[16:17], s23, v1
	v_cndmask_b32_e32 v13, v13, v15, vcc
	v_cndmask_b32_e32 v12, v12, v14, vcc
	v_mov_b32_e32 v29, 0
	v_mov_b32_e32 v30, 0
	s_and_saveexec_b64 s[34:35], s[16:17]
	s_cbranch_execz .LBB75_32
; %bb.31:
	global_load_dword v30, v[12:13], off
.LBB75_32:
	s_or_b64 exec, exec, s[34:35]
	v_add_lshl_u32 v3, v19, v0, 2
	s_waitcnt vmcnt(0)
	ds_write_b32 v3, v30
	v_add_u32_e32 v30, 8, v1
	v_cmp_gt_i32_e64 s[16:17], s23, v30
	s_and_saveexec_b64 s[34:35], s[16:17]
	s_cbranch_execz .LBB75_34
; %bb.33:
	s_lshl_b32 s16, s22, 3
	s_ashr_i32 s17, s16, 31
	v_lshl_add_u64 v[30:31], s[16:17], 2, v[12:13]
	global_load_dword v29, v[30:31], off
.LBB75_34:
	s_or_b64 exec, exec, s[34:35]
	s_waitcnt vmcnt(0)
	ds_write_b32 v3, v29 offset:1056
	v_add_u32_e32 v29, 16, v1
	v_cmp_gt_i32_e64 s[16:17], s23, v29
	v_mov_b32_e32 v29, 0
	v_mov_b32_e32 v30, 0
	s_and_saveexec_b64 s[34:35], s[16:17]
	s_cbranch_execz .LBB75_36
; %bb.35:
	s_lshl_b32 s16, s22, 4
	s_ashr_i32 s17, s16, 31
	v_lshl_add_u64 v[30:31], s[16:17], 2, v[12:13]
	global_load_dword v30, v[30:31], off
.LBB75_36:
	s_or_b64 exec, exec, s[34:35]
	s_waitcnt vmcnt(0)
	ds_write_b32 v3, v30 offset:2112
	v_add_u32_e32 v30, 24, v1
	v_cmp_gt_i32_e64 s[16:17], s23, v30
	s_and_saveexec_b64 s[34:35], s[16:17]
	s_cbranch_execz .LBB75_38
; %bb.37:
	s_mul_i32 s16, s22, 24
	s_ashr_i32 s17, s16, 31
	v_lshl_add_u64 v[30:31], s[16:17], 2, v[12:13]
	global_load_dword v29, v[30:31], off
.LBB75_38:
	s_or_b64 exec, exec, s[34:35]
	s_waitcnt vmcnt(0)
	ds_write_b32 v3, v29 offset:3168
	v_mov_b32_e32 v3, 0
	v_lshl_add_u64 v[12:13], v[12:13], 0, v[2:3]
	s_lshl_b64 s[16:17], s[18:19], 2
	v_mov_b32_e32 v3, s17
	v_subrev_co_u32_e64 v12, s[16:17], s16, v12
	s_nop 1
	v_subb_co_u32_e64 v13, s[16:17], v13, v3, s[16:17]
	s_mov_b64 s[16:17], 0x84
	s_nop 0
	v_lshl_add_u64 v[12:13], v[12:13], 0, s[16:17]
	v_cndmask_b32_e32 v13, v13, v15, vcc
	v_cndmask_b32_e32 v12, v12, v14, vcc
	s_branch .LBB75_41
.LBB75_39:
                                        ; implicit-def: $vgpr12_vgpr13
	s_cbranch_execz .LBB75_41
; %bb.40:
	s_lshl_b32 s16, s22, 3
	s_ashr_i32 s17, s16, 31
	s_ashr_i32 s23, s22, 31
	v_lshl_add_u64 v[12:13], s[16:17], 2, v[16:17]
	s_lshl_b64 s[16:17], s[22:23], 5
	v_lshl_add_u64 v[30:31], v[12:13], 0, s[16:17]
	v_lshl_add_u64 v[32:33], v[30:31], 0, s[16:17]
	global_load_dword v3, v[16:17], off offset:128
	global_load_dword v29, v[12:13], off offset:128
	;; [unrolled: 1-line block ×4, first 2 shown]
	v_add_lshl_u32 v12, v19, v0, 2
	s_waitcnt vmcnt(3)
	ds_write_b32 v12, v3
	s_waitcnt vmcnt(2)
	ds_write_b32 v12, v29 offset:1056
	s_waitcnt vmcnt(1)
	ds_write_b32 v12, v34 offset:2112
	;; [unrolled: 2-line block ×3, first 2 shown]
	v_mov_b64_e32 v[12:13], v[14:15]
.LBB75_41:
	s_waitcnt lgkmcnt(0)
	s_barrier
	s_and_saveexec_b64 s[16:17], s[6:7]
	s_cbranch_execnz .LBB75_58
; %bb.42:
	s_or_b64 exec, exec, s[16:17]
	s_and_saveexec_b64 s[6:7], s[8:9]
	s_cbranch_execnz .LBB75_59
.LBB75_43:
	s_or_b64 exec, exec, s[6:7]
	s_and_saveexec_b64 s[6:7], s[10:11]
	s_cbranch_execnz .LBB75_60
.LBB75_44:
	s_or_b64 exec, exec, s[6:7]
	v_add_u32_e32 v28, 0x11c0, v28
	s_and_saveexec_b64 s[6:7], s[12:13]
	s_cbranch_execz .LBB75_46
.LBB75_45:
	ds_read_b32 v3, v24
	s_waitcnt lgkmcnt(0)
	ds_write_b32 v27, v3 offset:12
.LBB75_46:
	s_or_b64 exec, exec, s[6:7]
	s_waitcnt lgkmcnt(0)
	s_barrier
	ds_read_b32 v3, v25
	ds_read_b128 v[14:17], v28 offset:128
	ds_read2_b32 v[30:31], v26 offset1:33
	ds_read_b32 v27, v24
	v_cmp_eq_u32_e64 s[6:7], 1, v1
	s_waitcnt lgkmcnt(0)
	v_fma_f32 v3, v3, v14, 0
	v_fmac_f32_e32 v3, v30, v15
	v_fmac_f32_e32 v3, v31, v16
	;; [unrolled: 1-line block ×3, first 2 shown]
	s_barrier
	ds_write_b32 v23, v3
	s_waitcnt lgkmcnt(0)
	s_barrier
	s_and_saveexec_b64 s[8:9], s[6:7]
	s_cbranch_execz .LBB75_48
; %bb.47:
	ds_read2_b32 v[14:15], v22 offset1:1
	ds_read2_b32 v[16:17], v22 offset0:2 offset1:3
	ds_read2_b32 v[30:31], v22 offset0:4 offset1:5
	;; [unrolled: 1-line block ×3, first 2 shown]
	s_waitcnt lgkmcnt(3)
	v_add_f32_e32 v3, v14, v15
	s_waitcnt lgkmcnt(2)
	v_add_f32_e32 v3, v3, v16
	v_add_f32_e32 v3, v3, v17
	s_waitcnt lgkmcnt(1)
	v_add_f32_e32 v3, v3, v30
	;; [unrolled: 3-line block ×3, first 2 shown]
	v_add_f32_e32 v7, v3, v33
.LBB75_48:
	s_or_b64 exec, exec, s[8:9]
	s_movk_i32 s8, 0xff80
	s_mov_b32 s9, -1
	v_lshl_add_u64 v[14:15], v[12:13], 0, s[8:9]
	s_and_b64 vcc, exec, s[30:31]
	s_barrier
	s_cbranch_vccz .LBB75_61
; %bb.49:
	v_sub_co_u32_e32 v16, vcc, v12, v2
	s_ashr_i32 s19, s18, 31
	s_nop 0
	v_subbrev_co_u32_e32 v17, vcc, 0, v13, vcc
	s_movk_i32 s8, 0xff7c
	v_lshl_add_u64 v[16:17], s[18:19], 2, v[16:17]
	s_mov_b32 s9, -1
	v_lshl_add_u64 v[16:17], v[16:17], 0, s[8:9]
	v_cmp_gt_i32_e32 vcc, s18, v0
	s_sub_i32 s12, s18, 32
	v_cmp_gt_i32_e64 s[8:9], s12, v1
	v_cndmask_b32_e32 v17, v17, v15, vcc
	v_cndmask_b32_e32 v16, v16, v14, vcc
	v_mov_b32_e32 v29, 0
	v_mov_b32_e32 v27, 0
	s_and_saveexec_b64 s[10:11], s[8:9]
	s_cbranch_execz .LBB75_51
; %bb.50:
	global_load_dword v27, v[16:17], off
.LBB75_51:
	s_or_b64 exec, exec, s[10:11]
	v_add_lshl_u32 v3, v19, v0, 2
	s_waitcnt vmcnt(0)
	ds_write_b32 v3, v27
	v_add_u32_e32 v27, 8, v1
	v_cmp_gt_i32_e64 s[8:9], s12, v27
	s_and_saveexec_b64 s[10:11], s[8:9]
	s_cbranch_execz .LBB75_53
; %bb.52:
	s_lshl_b32 s8, s22, 3
	s_ashr_i32 s9, s8, 31
	v_lshl_add_u64 v[30:31], s[8:9], 2, v[16:17]
	global_load_dword v29, v[30:31], off
.LBB75_53:
	s_or_b64 exec, exec, s[10:11]
	s_waitcnt vmcnt(0)
	ds_write_b32 v3, v29 offset:1056
	v_add_u32_e32 v29, 16, v1
	v_cmp_gt_i32_e64 s[8:9], s12, v29
	v_mov_b32_e32 v31, 0
	v_mov_b32_e32 v30, 0
	s_and_saveexec_b64 s[10:11], s[8:9]
	s_cbranch_execz .LBB75_55
; %bb.54:
	s_lshl_b32 s8, s22, 4
	s_ashr_i32 s9, s8, 31
	v_lshl_add_u64 v[32:33], s[8:9], 2, v[16:17]
	global_load_dword v30, v[32:33], off
.LBB75_55:
	s_or_b64 exec, exec, s[10:11]
	s_waitcnt vmcnt(0)
	ds_write_b32 v3, v30 offset:2112
	v_add_u32_e32 v30, 24, v1
	v_cmp_gt_i32_e64 s[8:9], s12, v30
	s_and_saveexec_b64 s[10:11], s[8:9]
	s_cbranch_execz .LBB75_57
; %bb.56:
	s_mul_i32 s8, s22, 24
	s_ashr_i32 s9, s8, 31
	v_lshl_add_u64 v[32:33], s[8:9], 2, v[16:17]
	global_load_dword v31, v[32:33], off
.LBB75_57:
	s_or_b64 exec, exec, s[10:11]
	s_waitcnt vmcnt(0)
	ds_write_b32 v3, v31 offset:3168
	v_mov_b32_e32 v3, 0
	v_lshl_add_u64 v[2:3], v[16:17], 0, v[2:3]
	s_lshl_b64 s[8:9], s[18:19], 2
	v_mov_b32_e32 v16, s9
	v_subrev_co_u32_e64 v2, s[8:9], s8, v2
	s_nop 1
	v_subb_co_u32_e64 v3, s[8:9], v3, v16, s[8:9]
	v_lshl_add_u64 v[2:3], v[2:3], 0, 4
	v_cndmask_b32_e32 v59, v3, v15, vcc
	v_cndmask_b32_e32 v58, v2, v14, vcc
	s_branch .LBB75_63
.LBB75_58:
	ds_read_b32 v3, v25
	s_waitcnt lgkmcnt(0)
	ds_write_b32 v27, v3
	s_or_b64 exec, exec, s[16:17]
	s_and_saveexec_b64 s[6:7], s[8:9]
	s_cbranch_execz .LBB75_43
.LBB75_59:
	ds_read_b32 v3, v26
	s_waitcnt lgkmcnt(0)
	ds_write_b32 v27, v3 offset:4
	s_or_b64 exec, exec, s[6:7]
	s_and_saveexec_b64 s[6:7], s[10:11]
	s_cbranch_execz .LBB75_44
.LBB75_60:
	ds_read_b32 v3, v26 offset:132
	s_waitcnt lgkmcnt(0)
	ds_write_b32 v27, v3 offset:8
	s_or_b64 exec, exec, s[6:7]
	v_add_u32_e32 v28, 0x11c0, v28
	s_and_saveexec_b64 s[6:7], s[12:13]
	s_cbranch_execnz .LBB75_45
	s_branch .LBB75_46
.LBB75_61:
                                        ; implicit-def: $vgpr58_vgpr59
                                        ; implicit-def: $vgpr27
                                        ; implicit-def: $vgpr29
                                        ; implicit-def: $vgpr30
	s_cbranch_execz .LBB75_63
; %bb.62:
	s_lshl_b32 s8, s22, 3
	s_ashr_i32 s9, s8, 31
	s_ashr_i32 s23, s22, 31
	v_lshl_add_u64 v[2:3], s[8:9], 2, v[12:13]
	s_lshl_b64 s[8:9], s[22:23], 5
	global_load_dword v16, v[12:13], off offset:-128
	v_lshl_add_u64 v[12:13], v[2:3], 0, s[8:9]
	global_load_dword v17, v[2:3], off offset:-128
	global_load_dword v31, v[12:13], off offset:-128
	v_lshl_add_u64 v[2:3], v[12:13], 0, s[8:9]
	global_load_dword v2, v[2:3], off offset:-128
	v_add_lshl_u32 v0, v19, v0, 2
	v_add_u32_e32 v27, 8, v1
	v_add_u32_e32 v29, 16, v1
	v_add_u32_e32 v30, 24, v1
	v_mov_b64_e32 v[58:59], v[14:15]
	s_waitcnt vmcnt(3)
	ds_write_b32 v0, v16
	s_waitcnt vmcnt(2)
	ds_write_b32 v0, v17 offset:1056
	s_waitcnt vmcnt(1)
	ds_write_b32 v0, v31 offset:2112
	;; [unrolled: 2-line block ×3, first 2 shown]
.LBB75_63:
	v_add_lshl_u32 v15, v27, v21, 2
	v_lshlrev_b32_e32 v16, 2, v27
	v_add_lshl_u32 v17, v29, v21, 2
	v_lshlrev_b32_e32 v19, 2, v29
	;; [unrolled: 2-line block ×3, first 2 shown]
	s_waitcnt lgkmcnt(0)
	s_barrier
	ds_read_b32 v20, v20 offset:4544
	ds_read_b32 v14, v25
	ds_read_b32 v25, v23
	ds_read_b128 v[0:3], v28 offset:128
	ds_read2_b32 v[12:13], v26 offset1:33
	ds_read_b32 v26, v15
	ds_read_b32 v16, v16 offset:4544
	ds_read_b32 v17, v17
	ds_read_b32 v19, v19 offset:4544
	;; [unrolled: 2-line block ×3, first 2 shown]
	ds_read_b32 v15, v24
	s_waitcnt lgkmcnt(9)
	v_fma_f32 v20, v25, v20, 0
	s_waitcnt lgkmcnt(5)
	v_fmac_f32_e32 v20, v26, v16
	s_waitcnt lgkmcnt(3)
	v_fmac_f32_e32 v20, v17, v19
	;; [unrolled: 2-line block ×3, first 2 shown]
	s_waitcnt lgkmcnt(0)
	s_barrier
	ds_write_b32 v23, v20
	s_waitcnt lgkmcnt(0)
	s_barrier
	s_and_saveexec_b64 s[8:9], s[6:7]
	s_cbranch_execz .LBB75_65
; %bb.64:
	ds_read2_b32 v[16:17], v22 offset1:1
	ds_read2_b32 v[20:21], v22 offset0:2 offset1:3
	ds_read2_b32 v[24:25], v22 offset0:4 offset1:5
	;; [unrolled: 1-line block ×3, first 2 shown]
	s_waitcnt lgkmcnt(3)
	v_add_f32_e32 v7, v7, v16
	v_add_f32_e32 v7, v7, v17
	s_waitcnt lgkmcnt(2)
	v_add_f32_e32 v7, v7, v20
	v_add_f32_e32 v7, v7, v21
	;; [unrolled: 3-line block ×4, first 2 shown]
.LBB75_65:
	s_or_b64 exec, exec, s[8:9]
	v_fma_f32 v0, v14, v0, 0
	v_fmac_f32_e32 v0, v12, v1
	v_fmac_f32_e32 v0, v13, v2
	;; [unrolled: 1-line block ×3, first 2 shown]
	s_barrier
	ds_write_b32 v23, v0
	s_waitcnt lgkmcnt(0)
	s_barrier
	s_and_saveexec_b64 s[6:7], s[4:5]
	s_cbranch_execz .LBB75_67
; %bb.66:
	ds_read2_b32 v[0:1], v22 offset1:1
	ds_read2_b32 v[2:3], v22 offset0:2 offset1:3
	ds_read2_b32 v[12:13], v22 offset0:4 offset1:5
	ds_read2_b32 v[14:15], v22 offset0:6 offset1:7
	s_waitcnt lgkmcnt(3)
	v_add_f32_e32 v0, v7, v0
	v_add_f32_e32 v0, v0, v1
	s_waitcnt lgkmcnt(2)
	v_add_f32_e32 v0, v0, v2
	v_add_f32_e32 v0, v0, v3
	;; [unrolled: 3-line block ×4, first 2 shown]
.LBB75_67:
	s_or_b64 exec, exec, s[6:7]
	s_load_dwordx2 s[0:1], s[0:1], 0x60
	s_mul_hi_u32 s4, s26, s3
	s_mul_i32 s37, s37, s3
	s_add_i32 s4, s4, s37
	s_mul_i32 s3, s26, s3
	s_mul_i32 s4, s4, s33
	s_mul_hi_u32 s5, s3, s33
	s_add_i32 s5, s5, s4
	s_mul_i32 s4, s3, s33
	s_lshl_b64 s[4:5], s[4:5], 2
	s_waitcnt lgkmcnt(0)
	s_add_u32 s3, s0, s4
	s_addc_u32 s4, s1, s5
	s_mul_hi_i32 s1, s26, s2
	s_mul_i32 s0, s26, s2
	s_lshl_b64 s[0:1], s[0:1], 2
	s_add_u32 s6, s3, s0
	s_addc_u32 s7, s4, s1
	s_add_i32 s8, s2, 1
	s_cmp_ge_u32 s8, s33
	v_lshlrev_b32_e32 v74, 2, v6
	s_barrier
	s_cbranch_scc1 .LBB75_124
; %bb.68:
	s_mul_i32 s0, s24, s27
	s_ashr_i32 s1, s0, 31
	s_lshl_b64 s[0:1], s[0:1], 2
	v_and_b32_e32 v12, 48, v6
	v_lshlrev_b32_e32 v75, 2, v5
	v_subrev_co_u32_e32 v0, vcc, s0, v10
	v_and_b32_e32 v10, 15, v6
	v_lshlrev_b32_e32 v13, 2, v12
	s_movk_i32 s9, 0x10c
	v_mov_b32_e32 v1, s1
	v_mad_u64_u32 v[34:35], s[0:1], v75, s22, v[6:7]
	v_mad_u32_u24 v76, v10, s9, v13
	v_or_b32_e32 v13, 60, v74
	v_ashrrev_i32_e32 v35, 31, v34
	v_mad_u32_u24 v77, v10, s9, v13
	v_and_b32_e32 v13, 0x1fff0, v18
	s_lshl_b32 s4, s22, 4
	v_mad_u32_u24 v78, v10, s9, v13
	v_mov_b32_e32 v13, 0x10c0
	v_add_u32_e32 v12, s24, v12
	v_lshlrev_b64 v[14:15], 2, v[34:35]
	s_lshl_b32 s19, s27, 6
	s_ashr_i32 s5, s4, 31
	s_ashr_i32 s23, s22, 31
	s_lshl_b32 s30, s22, 1
	s_mul_i32 s34, s22, 3
	v_lshl_add_u32 v79, v5, 4, v13
	s_mul_i32 s27, s27, s8
	v_add3_u32 v10, v12, v10, 64
	v_lshlrev_b64 v[12:13], 2, v[8:9]
	v_mad_i64_i32 v[8:9], s[24:25], v8, -4, v[14:15]
	s_lshl_b64 s[12:13], s[28:29], 2
	s_add_i32 s3, s33, -2
	s_ashr_i32 s31, s30, 31
	s_ashr_i32 s35, s34, 31
	s_lshl_b64 s[16:17], s[22:23], 2
	s_lshl_b32 s8, s27, 6
	s_lshl_b64 s[10:11], s[4:5], 4
	s_lshl_b64 s[24:25], s[22:23], 3
	s_add_u32 s38, s24, s12
	v_lshl_add_u64 v[16:17], s[28:29], 0, v[34:35]
	s_addc_u32 s39, s25, s13
	v_lshlrev_b64 v[48:49], 2, v[16:17]
	v_mad_i64_i32 v[16:17], s[26:27], s22, 12, v[48:49]
	s_add_u32 s40, s16, s12
	s_addc_u32 s41, s17, s13
	s_lshl_b64 s[26:27], s[30:31], 2
	s_add_u32 s30, s12, s26
	s_addc_u32 s31, s13, s27
	v_lshl_add_u64 v[20:21], v[58:59], 0, s[30:31]
	s_lshl_b64 s[30:31], s[34:35], 2
	s_add_u32 s34, s12, s30
	s_addc_u32 s35, s13, s31
	v_lshl_add_u64 v[22:23], v[58:59], 0, s[34:35]
	s_lshl_b64 s[34:35], s[4:5], 2
	s_add_u32 s42, s12, s34
	s_addc_u32 s43, s13, s35
	v_subb_co_u32_e32 v1, vcc, v11, v1, vcc
	v_lshrrev_b32_e32 v11, 4, v18
	v_cmp_gt_u32_e64 s[0:1], 64, v18
	v_lshl_add_u64 v[18:19], v[58:59], 0, s[40:41]
	s_add_u32 s40, s40, s34
	s_addc_u32 s41, s41, s35
	v_lshl_add_u64 v[26:27], v[58:59], 0, s[40:41]
	s_add_u32 s40, s42, s26
	s_addc_u32 s41, s43, s27
	;; [unrolled: 3-line block ×3, first 2 shown]
	s_add_u32 s34, s38, s34
	s_addc_u32 s35, s39, s35
	s_add_u32 s28, s28, s4
	s_addc_u32 s29, s29, s5
	v_lshl_add_u64 v[34:35], s[28:29], 0, v[34:35]
	v_lshlrev_b64 v[34:35], 2, v[34:35]
	v_mad_i64_i32 v[34:35], s[28:29], s22, 12, v[34:35]
	s_lshl_b64 s[28:29], s[4:5], 3
	v_lshl_add_u64 v[2:3], v[58:59], 0, s[12:13]
	s_add_u32 s12, s28, s12
	s_addc_u32 s13, s29, s13
	v_lshl_add_u64 v[32:33], v[58:59], 0, s[34:35]
	s_add_u32 s34, s12, s16
	s_addc_u32 s35, s13, s17
	;; [unrolled: 3-line block ×4, first 2 shown]
	v_lshl_add_u64 v[14:15], v[58:59], 0, s[38:39]
	s_add_u32 s38, s38, s28
	s_mul_i32 s44, s22, 12
	s_addc_u32 s39, s39, s29
	s_mul_hi_i32 s37, s22, 12
	s_add_u32 s28, s44, s28
	s_addc_u32 s29, s37, s29
	v_lshl_add_u64 v[38:39], s[28:29], 0, v[48:49]
	s_mul_i32 s37, s22, 0xc0
	v_mad_i64_i32 v[46:47], s[28:29], s4, 12, v[48:49]
	v_lshl_add_u64 v[24:25], v[58:59], 0, s[42:43]
	s_mul_hi_i32 s42, s4, 12
	v_lshl_add_u64 v[42:43], v[46:47], 0, s[16:17]
	s_add_u32 s16, s37, s24
	s_addc_u32 s17, s42, s25
	s_add_u32 s4, s22, s4
	s_addc_u32 s22, s23, s5
	v_mad_u64_u32 v[50:51], s[4:5], s4, 12, v[48:49]
	v_mov_b32_e32 v44, v51
	v_mad_u64_u32 v[44:45], s[4:5], s22, 12, v[44:45]
	s_movk_i32 s9, 0x430
	v_mul_i32_i24_e32 v11, -12, v11
	v_sub_co_u32_e32 v12, vcc, 0, v12
	v_lshl_add_u64 v[40:41], v[58:59], 0, v[46:47]
	v_mov_b32_e32 v51, v44
	v_lshl_add_u64 v[44:45], v[46:47], 0, s[26:27]
	v_lshl_add_u64 v[46:47], v[46:47], 0, s[30:31]
	;; [unrolled: 1-line block ×3, first 2 shown]
	v_subb_co_u32_e32 v13, vcc, 0, v13, vcc
	v_lshl_add_u64 v[16:17], v[58:59], 0, v[16:17]
	v_lshl_add_u64 v[34:35], v[58:59], 0, v[34:35]
	;; [unrolled: 1-line block ×12, first 2 shown]
	v_add_u32_e32 v80, v78, v11
	v_add_u32_e32 v81, 0x10c0, v74
	;; [unrolled: 1-line block ×3, first 2 shown]
	v_or_b32_e32 v83, 1, v75
	v_or_b32_e32 v84, 2, v75
	;; [unrolled: 1-line block ×3, first 2 shown]
	v_mad_u32_u24 v86, v5, s9, v74
	v_add_u32_e32 v87, 16, v75
	v_add_u32_e32 v88, 17, v75
	v_add_u32_e32 v89, 18, v75
	v_add_u32_e32 v90, 19, v75
	v_add_u32_e32 v91, 32, v75
	v_add_u32_e32 v92, 33, v75
	v_add_u32_e32 v93, 34, v75
	v_add_u32_e32 v94, 35, v75
	v_add_u32_e32 v95, 48, v75
	v_add_u32_e32 v96, 49, v75
	v_add_u32_e32 v97, 50, v75
	v_add_u32_e32 v98, 51, v75
	s_cmp_eq_u32 s3, s2
	s_cselect_b32 s22, s36, 0
	s_and_saveexec_b64 s[4:5], s[14:15]
	s_cbranch_execz .LBB75_72
.LBB75_69:
	s_cmp_eq_u32 s22, 0
	s_cselect_b64 s[12:13], -1, 0
	v_cmp_gt_i32_e32 vcc, s22, v6
	s_or_b64 s[16:17], s[12:13], vcc
	v_mov_b32_e32 v11, 0
	s_and_saveexec_b64 s[12:13], s[16:17]
	s_cbranch_execz .LBB75_71
; %bb.70:
	s_ashr_i32 s9, s8, 31
	v_lshl_add_u64 v[60:61], s[8:9], 2, v[0:1]
	global_load_dword v11, v[60:61], off
.LBB75_71:
	s_or_b64 exec, exec, s[12:13]
	s_waitcnt vmcnt(0)
	ds_write_b32 v81, v11
.LBB75_72:                              ; =>This Inner Loop Header: Depth=1
	s_or_b64 exec, exec, s[4:5]
	s_cmp_eq_u32 s22, 0
	s_cselect_b64 s[12:13], -1, 0
	s_cmp_lg_u32 s22, 0
	s_cselect_b64 s[16:17], -1, 0
	v_lshl_add_u64 v[60:61], v[2:3], 0, v[8:9]
	s_and_b64 vcc, exec, s[16:17]
	s_waitcnt lgkmcnt(0)
	s_barrier
	s_cbranch_vccz .LBB75_120
; %bb.73:                               ;   in Loop: Header=BB75_72 Depth=1
	v_cmp_gt_i32_e32 vcc, s22, v75
	v_mov_b32_e32 v99, 0
	v_mov_b32_e32 v100, 0
	s_and_saveexec_b64 s[4:5], vcc
	s_cbranch_execz .LBB75_75
; %bb.74:                               ;   in Loop: Header=BB75_72 Depth=1
	global_load_dword v100, v[60:61], off
.LBB75_75:                              ;   in Loop: Header=BB75_72 Depth=1
	s_or_b64 exec, exec, s[4:5]
	v_cmp_gt_i32_e32 vcc, s22, v83
	s_and_saveexec_b64 s[4:5], vcc
	s_cbranch_execz .LBB75_77
; %bb.76:                               ;   in Loop: Header=BB75_72 Depth=1
	v_lshl_add_u64 v[62:63], v[18:19], 0, v[8:9]
	global_load_dword v99, v[62:63], off
.LBB75_77:                              ;   in Loop: Header=BB75_72 Depth=1
	s_or_b64 exec, exec, s[4:5]
	v_cmp_gt_i32_e32 vcc, s22, v84
	v_mov_b32_e32 v101, 0
	v_mov_b32_e32 v102, 0
	s_and_saveexec_b64 s[4:5], vcc
	s_cbranch_execz .LBB75_79
; %bb.78:                               ;   in Loop: Header=BB75_72 Depth=1
	v_lshl_add_u64 v[62:63], v[20:21], 0, v[8:9]
	global_load_dword v102, v[62:63], off
.LBB75_79:                              ;   in Loop: Header=BB75_72 Depth=1
	s_or_b64 exec, exec, s[4:5]
	v_cmp_gt_i32_e32 vcc, s22, v85
	s_and_saveexec_b64 s[4:5], vcc
	s_cbranch_execz .LBB75_81
; %bb.80:                               ;   in Loop: Header=BB75_72 Depth=1
	v_lshl_add_u64 v[62:63], v[22:23], 0, v[8:9]
	global_load_dword v101, v[62:63], off
.LBB75_81:                              ;   in Loop: Header=BB75_72 Depth=1
	s_or_b64 exec, exec, s[4:5]
	s_branch .LBB75_83
.LBB75_82:                              ;   in Loop: Header=BB75_72 Depth=1
	global_load_dword v100, v[60:61], off
	v_lshl_add_u64 v[60:61], v[18:19], 0, v[8:9]
	global_load_dword v99, v[60:61], off
	v_lshl_add_u64 v[60:61], v[14:15], 0, v[8:9]
	;; [unrolled: 2-line block ×3, first 2 shown]
	global_load_dword v101, v[60:61], off
.LBB75_83:                              ;   in Loop: Header=BB75_72 Depth=1
	ds_read_b32 v11, v82
	ds_read_b32 v103, v79
	s_andn2_b64 vcc, exec, s[16:17]
	v_lshl_add_u64 v[64:65], v[24:25], 0, v[8:9]
	s_waitcnt vmcnt(0) lgkmcnt(1)
	v_mul_f32_e32 v60, v100, v11
	v_mul_f32_e32 v61, v99, v11
	ds_write_b32 v86, v60
	v_mul_f32_e32 v62, v102, v11
	ds_read_b32 v104, v79 offset:4
	ds_write_b32 v86, v61 offset:268
	ds_read_b32 v105, v79 offset:8
	ds_write_b32 v86, v62 offset:536
	v_mul_f32_e32 v11, v101, v11
	ds_read_b32 v106, v79 offset:12
	ds_write_b32 v86, v11 offset:804
	s_waitcnt lgkmcnt(0)
	s_barrier
	ds_read2_b32 v[62:63], v78 offset1:1
	ds_read2_b32 v[60:61], v78 offset0:2 offset1:3
	v_cndmask_b32_e64 v11, 0, 1, s[16:17]
	v_cmp_ne_u32_e64 s[4:5], 1, v11
	s_waitcnt lgkmcnt(0)
	s_barrier
	s_cbranch_vccnz .LBB75_121
; %bb.84:                               ;   in Loop: Header=BB75_72 Depth=1
	v_cmp_gt_i32_e32 vcc, s22, v87
	v_mov_b32_e32 v107, 0
	v_mov_b32_e32 v108, 0
	s_and_saveexec_b64 s[16:17], vcc
	s_cbranch_execz .LBB75_86
; %bb.85:                               ;   in Loop: Header=BB75_72 Depth=1
	global_load_dword v108, v[64:65], off
.LBB75_86:                              ;   in Loop: Header=BB75_72 Depth=1
	s_or_b64 exec, exec, s[16:17]
	v_cmp_gt_i32_e32 vcc, s22, v88
	s_and_saveexec_b64 s[16:17], vcc
	s_cbranch_execz .LBB75_88
; %bb.87:                               ;   in Loop: Header=BB75_72 Depth=1
	v_lshl_add_u64 v[66:67], v[26:27], 0, v[8:9]
	global_load_dword v107, v[66:67], off
.LBB75_88:                              ;   in Loop: Header=BB75_72 Depth=1
	s_or_b64 exec, exec, s[16:17]
	v_cmp_gt_i32_e32 vcc, s22, v89
	v_mov_b32_e32 v109, 0
	v_mov_b32_e32 v110, 0
	s_and_saveexec_b64 s[16:17], vcc
	s_cbranch_execz .LBB75_90
; %bb.89:                               ;   in Loop: Header=BB75_72 Depth=1
	v_lshl_add_u64 v[66:67], v[28:29], 0, v[8:9]
	global_load_dword v110, v[66:67], off
.LBB75_90:                              ;   in Loop: Header=BB75_72 Depth=1
	s_or_b64 exec, exec, s[16:17]
	v_cmp_gt_i32_e32 vcc, s22, v90
	s_and_saveexec_b64 s[16:17], vcc
	s_cbranch_execz .LBB75_92
; %bb.91:                               ;   in Loop: Header=BB75_72 Depth=1
	v_lshl_add_u64 v[66:67], v[30:31], 0, v[8:9]
	global_load_dword v109, v[66:67], off
.LBB75_92:                              ;   in Loop: Header=BB75_72 Depth=1
	s_or_b64 exec, exec, s[16:17]
	s_branch .LBB75_94
.LBB75_93:                              ;   in Loop: Header=BB75_72 Depth=1
	global_load_dword v108, v[64:65], off
	v_lshl_add_u64 v[64:65], v[26:27], 0, v[8:9]
	global_load_dword v107, v[64:65], off
	v_lshl_add_u64 v[64:65], v[32:33], 0, v[8:9]
	;; [unrolled: 2-line block ×3, first 2 shown]
	global_load_dword v109, v[64:65], off
.LBB75_94:                              ;   in Loop: Header=BB75_72 Depth=1
	ds_read_b32 v11, v82
	ds_read_b32 v111, v79 offset:64
	s_and_b64 vcc, exec, s[4:5]
	v_lshl_add_u64 v[68:69], v[36:37], 0, v[8:9]
	s_waitcnt vmcnt(0) lgkmcnt(1)
	v_mul_f32_e32 v64, v108, v11
	v_mul_f32_e32 v65, v107, v11
	ds_write_b32 v86, v64
	v_mul_f32_e32 v66, v110, v11
	ds_read_b32 v112, v79 offset:68
	ds_write_b32 v86, v65 offset:268
	ds_read_b32 v113, v79 offset:72
	ds_write_b32 v86, v66 offset:536
	v_mul_f32_e32 v11, v109, v11
	ds_read_b32 v114, v79 offset:76
	ds_write_b32 v86, v11 offset:804
	s_waitcnt lgkmcnt(0)
	s_barrier
	ds_read2_b32 v[66:67], v78 offset1:1
	ds_read2_b32 v[64:65], v78 offset0:2 offset1:3
	s_waitcnt lgkmcnt(0)
	s_barrier
	s_cbranch_vccnz .LBB75_122
; %bb.95:                               ;   in Loop: Header=BB75_72 Depth=1
	v_cmp_gt_i32_e32 vcc, s22, v91
	v_mov_b32_e32 v115, 0
	v_mov_b32_e32 v116, 0
	s_and_saveexec_b64 s[16:17], vcc
	s_cbranch_execz .LBB75_97
; %bb.96:                               ;   in Loop: Header=BB75_72 Depth=1
	global_load_dword v116, v[68:69], off
.LBB75_97:                              ;   in Loop: Header=BB75_72 Depth=1
	s_or_b64 exec, exec, s[16:17]
	v_cmp_gt_i32_e32 vcc, s22, v92
	s_and_saveexec_b64 s[16:17], vcc
	s_cbranch_execz .LBB75_99
; %bb.98:                               ;   in Loop: Header=BB75_72 Depth=1
	v_lshl_add_u64 v[70:71], v[52:53], 0, v[8:9]
	global_load_dword v115, v[70:71], off
.LBB75_99:                              ;   in Loop: Header=BB75_72 Depth=1
	s_or_b64 exec, exec, s[16:17]
	v_cmp_gt_i32_e32 vcc, s22, v93
	v_mov_b32_e32 v117, 0
	v_mov_b32_e32 v118, 0
	s_and_saveexec_b64 s[16:17], vcc
	s_cbranch_execz .LBB75_101
; %bb.100:                              ;   in Loop: Header=BB75_72 Depth=1
	v_lshl_add_u64 v[70:71], v[54:55], 0, v[8:9]
	global_load_dword v118, v[70:71], off
.LBB75_101:                             ;   in Loop: Header=BB75_72 Depth=1
	s_or_b64 exec, exec, s[16:17]
	v_cmp_gt_i32_e32 vcc, s22, v94
	s_and_saveexec_b64 s[16:17], vcc
	s_cbranch_execz .LBB75_103
; %bb.102:                              ;   in Loop: Header=BB75_72 Depth=1
	v_lshl_add_u64 v[70:71], v[56:57], 0, v[8:9]
	global_load_dword v117, v[70:71], off
.LBB75_103:                             ;   in Loop: Header=BB75_72 Depth=1
	s_or_b64 exec, exec, s[16:17]
	s_branch .LBB75_105
.LBB75_104:                             ;   in Loop: Header=BB75_72 Depth=1
	global_load_dword v116, v[68:69], off
	v_lshl_add_u64 v[68:69], v[52:53], 0, v[8:9]
	global_load_dword v115, v[68:69], off
	v_lshl_add_u64 v[68:69], v[58:59], 0, v[8:9]
	;; [unrolled: 2-line block ×3, first 2 shown]
	global_load_dword v117, v[68:69], off
.LBB75_105:                             ;   in Loop: Header=BB75_72 Depth=1
	ds_read_b32 v11, v82
	ds_read_b32 v119, v79 offset:128
	s_and_b64 vcc, exec, s[4:5]
	v_lshl_add_u64 v[72:73], v[40:41], 0, v[12:13]
	s_waitcnt vmcnt(0) lgkmcnt(1)
	v_mul_f32_e32 v68, v116, v11
	v_mul_f32_e32 v69, v115, v11
	ds_write_b32 v86, v68
	v_mul_f32_e32 v70, v118, v11
	ds_read_b32 v120, v79 offset:132
	ds_write_b32 v86, v69 offset:268
	ds_read_b32 v121, v79 offset:136
	ds_write_b32 v86, v70 offset:536
	v_mul_f32_e32 v11, v117, v11
	ds_read_b32 v122, v79 offset:140
	ds_write_b32 v86, v11 offset:804
	s_waitcnt lgkmcnt(0)
	s_barrier
	ds_read2_b32 v[70:71], v78 offset1:1
	ds_read2_b32 v[68:69], v78 offset0:2 offset1:3
	s_waitcnt lgkmcnt(0)
	s_barrier
	s_cbranch_vccnz .LBB75_123
; %bb.106:                              ;   in Loop: Header=BB75_72 Depth=1
	v_cmp_gt_i32_e32 vcc, s22, v95
	v_mov_b32_e32 v123, 0
	v_mov_b32_e32 v124, 0
	s_and_saveexec_b64 s[4:5], vcc
	s_cbranch_execz .LBB75_108
; %bb.107:                              ;   in Loop: Header=BB75_72 Depth=1
	global_load_dword v124, v[72:73], off
.LBB75_108:                             ;   in Loop: Header=BB75_72 Depth=1
	s_or_b64 exec, exec, s[4:5]
	v_cmp_gt_i32_e32 vcc, s22, v96
	s_and_saveexec_b64 s[4:5], vcc
	s_cbranch_execz .LBB75_110
; %bb.109:                              ;   in Loop: Header=BB75_72 Depth=1
	v_lshl_add_u64 v[126:127], v[42:43], 0, v[12:13]
	global_load_dword v123, v[126:127], off
.LBB75_110:                             ;   in Loop: Header=BB75_72 Depth=1
	s_or_b64 exec, exec, s[4:5]
	v_cmp_gt_i32_e32 vcc, s22, v97
	v_mov_b32_e32 v125, 0
	v_mov_b32_e32 v126, 0
	s_and_saveexec_b64 s[4:5], vcc
	s_cbranch_execz .LBB75_112
; %bb.111:                              ;   in Loop: Header=BB75_72 Depth=1
	v_lshl_add_u64 v[126:127], v[44:45], 0, v[12:13]
	global_load_dword v126, v[126:127], off
.LBB75_112:                             ;   in Loop: Header=BB75_72 Depth=1
	s_or_b64 exec, exec, s[4:5]
	v_cmp_gt_i32_e32 vcc, s22, v98
	s_and_saveexec_b64 s[4:5], vcc
	s_cbranch_execz .LBB75_114
; %bb.113:                              ;   in Loop: Header=BB75_72 Depth=1
	v_lshl_add_u64 v[128:129], v[46:47], 0, v[12:13]
	global_load_dword v125, v[128:129], off
.LBB75_114:                             ;   in Loop: Header=BB75_72 Depth=1
	s_or_b64 exec, exec, s[4:5]
	s_branch .LBB75_116
.LBB75_115:                             ;   in Loop: Header=BB75_72 Depth=1
	global_load_dword v124, v[72:73], off
	v_lshl_add_u64 v[72:73], v[42:43], 0, v[12:13]
	global_load_dword v123, v[72:73], off
	v_lshl_add_u64 v[72:73], v[48:49], 0, v[12:13]
	;; [unrolled: 2-line block ×3, first 2 shown]
	global_load_dword v125, v[72:73], off
.LBB75_116:                             ;   in Loop: Header=BB75_72 Depth=1
	v_add_f32_e32 v66, 0, v66
	v_add_f32_e32 v66, v66, v67
	ds_read_b32 v67, v82
	v_add_f32_e32 v64, v66, v64
	v_add_f32_e32 v11, 0, v70
	;; [unrolled: 1-line block ×4, first 2 shown]
	ds_read_b32 v62, v79 offset:192
	s_waitcnt vmcnt(0) lgkmcnt(1)
	v_mul_f32_e32 v64, v124, v67
	ds_write_b32 v86, v64
	v_mul_f32_e32 v65, v123, v67
	v_add_f32_e32 v11, v11, v71
	ds_read_b32 v64, v79 offset:196
	ds_write_b32 v86, v65 offset:268
	v_mul_f32_e32 v66, v126, v67
	v_add_f32_e32 v11, v11, v68
	ds_read_b32 v65, v79 offset:200
	ds_write_b32 v86, v66 offset:536
	v_mul_f32_e32 v67, v125, v67
	v_add_f32_e32 v11, v11, v69
	ds_read_b32 v66, v79 offset:204
	ds_write_b32 v86, v67 offset:804
	s_waitcnt lgkmcnt(0)
	s_barrier
	ds_read2_b32 v[68:69], v78 offset1:1
	v_add_f32_e32 v63, v70, v63
	ds_read2_b32 v[70:71], v78 offset0:2 offset1:3
	v_add_f32_e32 v60, v63, v60
	v_add_f32_e32 v60, v60, v61
	s_waitcnt lgkmcnt(1)
	v_add_f32_e32 v61, 0, v68
	v_cmp_gt_i32_e32 vcc, s22, v6
	v_add_f32_e32 v61, v61, v69
	s_or_b64 s[4:5], s[12:13], vcc
	s_waitcnt lgkmcnt(0)
	v_add_f32_e32 v61, v61, v70
	s_and_b64 s[12:13], s[0:1], s[4:5]
	v_add_f32_e32 v61, v61, v71
	s_barrier
	ds_write2_b32 v80, v60, v72 offset1:16
	ds_write2_b32 v80, v11, v61 offset0:32 offset1:48
	s_waitcnt lgkmcnt(0)
	s_barrier
	s_and_saveexec_b64 s[4:5], s[12:13]
	s_cbranch_execz .LBB75_118
; %bb.117:                              ;   in Loop: Header=BB75_72 Depth=1
	ds_read2_b32 v[60:61], v76 offset1:1
	ds_read2_b32 v[68:69], v76 offset0:2 offset1:3
	ds_read2_b32 v[70:71], v76 offset0:4 offset1:5
	;; [unrolled: 1-line block ×3, first 2 shown]
	s_waitcnt lgkmcnt(3)
	v_add_f32_e32 v11, v60, v61
	s_waitcnt lgkmcnt(2)
	v_add_f32_e32 v11, v11, v68
	v_add_f32_e32 v11, v11, v69
	ds_read2_b32 v[60:61], v76 offset0:8 offset1:9
	s_waitcnt lgkmcnt(2)
	v_add_f32_e32 v11, v11, v70
	v_add_f32_e32 v11, v11, v71
	s_waitcnt lgkmcnt(1)
	v_add_f32_e32 v11, v11, v72
	v_add_f32_e32 v11, v11, v73
	ds_read2_b32 v[68:69], v76 offset0:10 offset1:11
	ds_read2_b32 v[70:71], v76 offset0:12 offset1:13
	ds_read_b32 v63, v76 offset:56
	s_waitcnt lgkmcnt(3)
	v_add_f32_e32 v11, v11, v60
	v_add_f32_e32 v11, v11, v61
	s_waitcnt lgkmcnt(2)
	v_add_f32_e32 v11, v11, v68
	ds_read_b32 v60, v77
	v_add_f32_e32 v11, v11, v69
	s_waitcnt lgkmcnt(2)
	v_add_f32_e32 v11, v11, v70
	v_add_f32_e32 v11, v11, v71
	s_waitcnt lgkmcnt(1)
	v_add_f32_e32 v11, v11, v63
	s_waitcnt lgkmcnt(0)
	v_add_f32_e32 v63, v11, v60
	v_ashrrev_i32_e32 v11, 31, v10
	v_lshl_add_u64 v[60:61], v[10:11], 2, s[6:7]
	global_store_dword v[60:61], v63, off
.LBB75_118:                             ;   in Loop: Header=BB75_72 Depth=1
	s_or_b64 exec, exec, s[4:5]
	v_fmac_f32_e32 v7, v100, v103
	v_fmac_f32_e32 v7, v99, v104
	;; [unrolled: 1-line block ×15, first 2 shown]
	s_add_i32 s4, s2, 1
	s_add_i32 s8, s8, s19
	;; [unrolled: 1-line block ×3, first 2 shown]
	v_fmac_f32_e32 v7, v125, v66
	v_add_u32_e32 v10, 64, v10
	v_lshl_add_u64 v[2:3], v[2:3], 0, s[10:11]
	v_lshl_add_u64 v[14:15], v[14:15], 0, s[10:11]
	;; [unrolled: 1-line block ×23, first 2 shown]
	s_cmp_ge_u32 s2, s33
	v_lshl_add_u64 v[50:51], v[50:51], 0, s[10:11]
	s_barrier
	s_cbranch_scc1 .LBB75_124
; %bb.119:                              ;   in Loop: Header=BB75_72 Depth=1
	s_mov_b32 s2, s4
	s_cmp_eq_u32 s3, s2
	s_cselect_b32 s22, s36, 0
	s_and_saveexec_b64 s[4:5], s[14:15]
	s_cbranch_execnz .LBB75_69
	s_branch .LBB75_72
.LBB75_120:                             ;   in Loop: Header=BB75_72 Depth=1
                                        ; implicit-def: $vgpr101
                                        ; implicit-def: $vgpr102
                                        ; implicit-def: $vgpr99
                                        ; implicit-def: $vgpr100
	s_cbranch_execnz .LBB75_82
	s_branch .LBB75_83
.LBB75_121:                             ;   in Loop: Header=BB75_72 Depth=1
                                        ; implicit-def: $vgpr109
                                        ; implicit-def: $vgpr110
                                        ; implicit-def: $vgpr107
                                        ; implicit-def: $vgpr108
	s_cbranch_execnz .LBB75_93
	s_branch .LBB75_94
.LBB75_122:                             ;   in Loop: Header=BB75_72 Depth=1
                                        ; implicit-def: $vgpr117
                                        ; implicit-def: $vgpr118
                                        ; implicit-def: $vgpr115
                                        ; implicit-def: $vgpr116
	s_cbranch_execnz .LBB75_104
	s_branch .LBB75_105
.LBB75_123:                             ;   in Loop: Header=BB75_72 Depth=1
                                        ; implicit-def: $vgpr125
                                        ; implicit-def: $vgpr126
                                        ; implicit-def: $vgpr123
                                        ; implicit-def: $vgpr124
	s_cbranch_execnz .LBB75_115
	s_branch .LBB75_116
.LBB75_124:
	s_movk_i32 s0, 0x10c
	v_cmp_gt_i32_e32 vcc, s18, v6
	v_mad_u32_u24 v0, v5, s0, v74
	s_or_b64 s[0:1], s[20:21], vcc
	s_and_b64 s[0:1], s[14:15], s[0:1]
	ds_write_b32 v0, v7
	s_waitcnt lgkmcnt(0)
	s_barrier
	s_and_saveexec_b64 s[2:3], s[0:1]
	s_cbranch_execz .LBB75_126
; %bb.125:
	ds_read2_b32 v[0:1], v74 offset1:67
	ds_read2_b32 v[2:3], v74 offset0:134 offset1:201
	v_ashrrev_i32_e32 v5, 31, v4
	s_waitcnt lgkmcnt(1)
	v_add_f32_e32 v0, v0, v1
	s_waitcnt lgkmcnt(0)
	v_add_f32_e32 v0, v0, v2
	v_add_f32_e32 v2, v0, v3
	v_lshl_add_u64 v[0:1], v[4:5], 2, s[6:7]
	global_store_dword v[0:1], v2, off
.LBB75_126:
	s_endpgm
	.section	.rodata,"a",@progbits
	.p2align	6, 0x0
	.amdhsa_kernel _ZL26rocblas_hemvn_kernel_upperILb0ELi64ELi4ELi33ELi32ELi16EifPKfPfEviT6_lT7_lT5_lS4_lS5_lS3_lT8_i
		.amdhsa_group_segment_fixed_size 4800
		.amdhsa_private_segment_fixed_size 0
		.amdhsa_kernarg_size 368
		.amdhsa_user_sgpr_count 2
		.amdhsa_user_sgpr_dispatch_ptr 0
		.amdhsa_user_sgpr_queue_ptr 0
		.amdhsa_user_sgpr_kernarg_segment_ptr 1
		.amdhsa_user_sgpr_dispatch_id 0
		.amdhsa_user_sgpr_kernarg_preload_length 0
		.amdhsa_user_sgpr_kernarg_preload_offset 0
		.amdhsa_user_sgpr_private_segment_size 0
		.amdhsa_uses_dynamic_stack 0
		.amdhsa_enable_private_segment 0
		.amdhsa_system_sgpr_workgroup_id_x 1
		.amdhsa_system_sgpr_workgroup_id_y 0
		.amdhsa_system_sgpr_workgroup_id_z 1
		.amdhsa_system_sgpr_workgroup_info 0
		.amdhsa_system_vgpr_workitem_id 1
		.amdhsa_next_free_vgpr 130
		.amdhsa_next_free_sgpr 45
		.amdhsa_accum_offset 132
		.amdhsa_reserve_vcc 1
		.amdhsa_float_round_mode_32 0
		.amdhsa_float_round_mode_16_64 0
		.amdhsa_float_denorm_mode_32 3
		.amdhsa_float_denorm_mode_16_64 3
		.amdhsa_dx10_clamp 1
		.amdhsa_ieee_mode 1
		.amdhsa_fp16_overflow 0
		.amdhsa_tg_split 0
		.amdhsa_exception_fp_ieee_invalid_op 0
		.amdhsa_exception_fp_denorm_src 0
		.amdhsa_exception_fp_ieee_div_zero 0
		.amdhsa_exception_fp_ieee_overflow 0
		.amdhsa_exception_fp_ieee_underflow 0
		.amdhsa_exception_fp_ieee_inexact 0
		.amdhsa_exception_int_div_zero 0
	.end_amdhsa_kernel
	.section	.text._ZL26rocblas_hemvn_kernel_upperILb0ELi64ELi4ELi33ELi32ELi16EifPKfPfEviT6_lT7_lT5_lS4_lS5_lS3_lT8_i,"axG",@progbits,_ZL26rocblas_hemvn_kernel_upperILb0ELi64ELi4ELi33ELi32ELi16EifPKfPfEviT6_lT7_lT5_lS4_lS5_lS3_lT8_i,comdat
.Lfunc_end75:
	.size	_ZL26rocblas_hemvn_kernel_upperILb0ELi64ELi4ELi33ELi32ELi16EifPKfPfEviT6_lT7_lT5_lS4_lS5_lS3_lT8_i, .Lfunc_end75-_ZL26rocblas_hemvn_kernel_upperILb0ELi64ELi4ELi33ELi32ELi16EifPKfPfEviT6_lT7_lT5_lS4_lS5_lS3_lT8_i
                                        ; -- End function
	.section	.AMDGPU.csdata,"",@progbits
; Kernel info:
; codeLenInByte = 6520
; NumSgprs: 51
; NumVgprs: 130
; NumAgprs: 0
; TotalNumVgprs: 130
; ScratchSize: 0
; MemoryBound: 0
; FloatMode: 240
; IeeeMode: 1
; LDSByteSize: 4800 bytes/workgroup (compile time only)
; SGPRBlocks: 6
; VGPRBlocks: 16
; NumSGPRsForWavesPerEU: 51
; NumVGPRsForWavesPerEU: 130
; AccumOffset: 132
; Occupancy: 3
; WaveLimiterHint : 1
; COMPUTE_PGM_RSRC2:SCRATCH_EN: 0
; COMPUTE_PGM_RSRC2:USER_SGPR: 2
; COMPUTE_PGM_RSRC2:TRAP_HANDLER: 0
; COMPUTE_PGM_RSRC2:TGID_X_EN: 1
; COMPUTE_PGM_RSRC2:TGID_Y_EN: 0
; COMPUTE_PGM_RSRC2:TGID_Z_EN: 1
; COMPUTE_PGM_RSRC2:TIDIG_COMP_CNT: 1
; COMPUTE_PGM_RSRC3_GFX90A:ACCUM_OFFSET: 32
; COMPUTE_PGM_RSRC3_GFX90A:TG_SPLIT: 0
	.section	.text._ZL36rocblas_hemvn_kernel_upper_block_sumILi64EifPffEviT1_lS1_lT2_lT0_lPT3_i,"axG",@progbits,_ZL36rocblas_hemvn_kernel_upper_block_sumILi64EifPffEviT1_lS1_lT2_lT0_lPT3_i,comdat
	.globl	_ZL36rocblas_hemvn_kernel_upper_block_sumILi64EifPffEviT1_lS1_lT2_lT0_lPT3_i ; -- Begin function _ZL36rocblas_hemvn_kernel_upper_block_sumILi64EifPffEviT1_lS1_lT2_lT0_lPT3_i
	.p2align	8
	.type	_ZL36rocblas_hemvn_kernel_upper_block_sumILi64EifPffEviT1_lS1_lT2_lT0_lPT3_i,@function
_ZL36rocblas_hemvn_kernel_upper_block_sumILi64EifPffEviT1_lS1_lT2_lT0_lPT3_i: ; @_ZL36rocblas_hemvn_kernel_upper_block_sumILi64EifPffEviT1_lS1_lT2_lT0_lPT3_i
; %bb.0:
	s_load_dwordx2 s[10:11], s[0:1], 0x0
	s_load_dword s18, s[0:1], 0x10
	s_waitcnt lgkmcnt(0)
	v_cmp_eq_f32_e64 s[4:5], s11, 0
	v_cmp_eq_f32_e64 s[6:7], s18, 1.0
	s_and_b64 s[4:5], s[4:5], s[6:7]
	s_and_b64 vcc, exec, s[4:5]
	s_cbranch_vccnz .LBB76_19
; %bb.1:
	s_load_dwordx4 s[4:7], s[0:1], 0x38
	s_load_dwordx4 s[12:15], s[0:1], 0x20
	s_load_dword s19, s[0:1], 0x30
	v_lshl_or_b32 v0, s2, 6, v0
	s_waitcnt lgkmcnt(0)
	s_mul_i32 s5, s3, s5
	s_mul_hi_u32 s8, s3, s4
	s_mul_i32 s4, s3, s4
	s_add_i32 s5, s8, s5
	s_lshl_b64 s[4:5], s[4:5], 2
	s_add_u32 s8, s12, s4
	s_addc_u32 s9, s13, s5
	s_lshl_b64 s[4:5], s[14:15], 2
	s_add_u32 s8, s8, s4
	s_addc_u32 s9, s9, s5
	v_cmp_neq_f32_e64 s[4:5], s11, 0
	s_and_b64 vcc, exec, s[4:5]
	v_cmp_gt_i32_e64 s[4:5], s10, v0
	s_cbranch_vccnz .LBB76_6
; %bb.2:
	s_mov_b64 s[14:15], 0
	s_mov_b64 s[12:13], 0
                                        ; implicit-def: $vgpr4
                                        ; implicit-def: $vgpr2_vgpr3
	s_and_saveexec_b64 s[16:17], s[4:5]
	s_cbranch_execz .LBB76_7
; %bb.3:
	v_cmp_eq_f32_e64 s[4:5], s18, 0
	v_mul_lo_u32 v2, v0, s19
	v_mov_b32_e32 v4, 0
	v_ashrrev_i32_e32 v3, 31, v2
	s_and_b64 vcc, exec, s[4:5]
	s_cbranch_vccnz .LBB76_5
; %bb.4:
	v_lshl_add_u64 v[4:5], v[2:3], 2, s[8:9]
	global_load_dword v1, v[4:5], off
	s_waitcnt vmcnt(0)
	v_mul_f32_e32 v4, s18, v1
.LBB76_5:
	s_mov_b64 s[12:13], exec
	s_or_b64 exec, exec, s[16:17]
	s_and_b64 vcc, exec, s[14:15]
	s_cbranch_vccnz .LBB76_8
	s_branch .LBB76_17
.LBB76_6:
	s_mov_b64 s[12:13], 0
                                        ; implicit-def: $vgpr4
                                        ; implicit-def: $vgpr2_vgpr3
	s_cbranch_execnz .LBB76_8
	s_branch .LBB76_17
.LBB76_7:
	s_or_b64 exec, exec, s[16:17]
	s_and_b64 vcc, exec, s[14:15]
	s_cbranch_vccz .LBB76_17
.LBB76_8:
	v_cmp_gt_i32_e32 vcc, s10, v0
                                        ; implicit-def: $vgpr4
                                        ; implicit-def: $vgpr2_vgpr3
	s_and_saveexec_b64 s[4:5], vcc
	s_cbranch_execz .LBB76_16
; %bb.9:
	s_cmp_lt_i32 s2, 0
	v_mov_b32_e32 v1, 0
	s_cbranch_scc1 .LBB76_12
; %bb.10:
	s_load_dword s0, s[0:1], 0x50
	s_ashr_i32 s15, s10, 31
	s_mul_hi_u32 s1, s10, s3
	s_mul_i32 s16, s15, s3
	s_add_i32 s1, s1, s16
	s_mul_i32 s3, s10, s3
	s_mov_b32 s14, s10
	s_waitcnt lgkmcnt(0)
	s_mul_i32 s1, s1, s0
	s_mul_hi_u32 s10, s3, s0
	s_add_i32 s1, s10, s1
	s_mul_i32 s0, s3, s0
	s_lshl_b64 s[0:1], s[0:1], 2
	s_add_u32 s0, s6, s0
	s_addc_u32 s1, s7, s1
	v_mov_b32_e32 v1, 0
	v_lshl_add_u64 v[2:3], v[0:1], 2, s[0:1]
	s_add_i32 s2, s2, 1
	s_lshl_b64 s[0:1], s[14:15], 2
.LBB76_11:                              ; =>This Inner Loop Header: Depth=1
	global_load_dword v4, v[2:3], off
	s_add_i32 s2, s2, -1
	v_lshl_add_u64 v[2:3], v[2:3], 0, s[0:1]
	s_cmp_eq_u32 s2, 0
	s_waitcnt vmcnt(0)
	v_add_f32_e32 v1, v1, v4
	s_cbranch_scc0 .LBB76_11
.LBB76_12:
	v_cmp_eq_f32_e64 s[0:1], s18, 0
	v_mul_lo_u32 v2, v0, s19
	s_and_b64 vcc, exec, s[0:1]
	v_ashrrev_i32_e32 v3, 31, v2
	s_cbranch_vccz .LBB76_20
; %bb.13:
	v_mul_f32_e32 v4, s11, v1
	s_cbranch_execnz .LBB76_15
.LBB76_14:
	v_lshl_add_u64 v[4:5], v[2:3], 2, s[8:9]
	global_load_dword v0, v[4:5], off
	s_waitcnt vmcnt(0)
	v_mul_f32_e32 v4, s18, v0
	v_fmac_f32_e32 v4, s11, v1
.LBB76_15:
	s_or_b64 s[12:13], s[12:13], exec
.LBB76_16:
	s_or_b64 exec, exec, s[4:5]
.LBB76_17:
	s_and_saveexec_b64 s[0:1], s[12:13]
	s_cbranch_execz .LBB76_19
; %bb.18:
	v_lshl_add_u64 v[0:1], v[2:3], 2, s[8:9]
	global_store_dword v[0:1], v4, off
.LBB76_19:
	s_endpgm
.LBB76_20:
                                        ; implicit-def: $vgpr4
	s_branch .LBB76_14
	.section	.rodata,"a",@progbits
	.p2align	6, 0x0
	.amdhsa_kernel _ZL36rocblas_hemvn_kernel_upper_block_sumILi64EifPffEviT1_lS1_lT2_lT0_lPT3_i
		.amdhsa_group_segment_fixed_size 0
		.amdhsa_private_segment_fixed_size 0
		.amdhsa_kernarg_size 336
		.amdhsa_user_sgpr_count 2
		.amdhsa_user_sgpr_dispatch_ptr 0
		.amdhsa_user_sgpr_queue_ptr 0
		.amdhsa_user_sgpr_kernarg_segment_ptr 1
		.amdhsa_user_sgpr_dispatch_id 0
		.amdhsa_user_sgpr_kernarg_preload_length 0
		.amdhsa_user_sgpr_kernarg_preload_offset 0
		.amdhsa_user_sgpr_private_segment_size 0
		.amdhsa_uses_dynamic_stack 0
		.amdhsa_enable_private_segment 0
		.amdhsa_system_sgpr_workgroup_id_x 1
		.amdhsa_system_sgpr_workgroup_id_y 0
		.amdhsa_system_sgpr_workgroup_id_z 1
		.amdhsa_system_sgpr_workgroup_info 0
		.amdhsa_system_vgpr_workitem_id 0
		.amdhsa_next_free_vgpr 6
		.amdhsa_next_free_sgpr 20
		.amdhsa_accum_offset 8
		.amdhsa_reserve_vcc 1
		.amdhsa_float_round_mode_32 0
		.amdhsa_float_round_mode_16_64 0
		.amdhsa_float_denorm_mode_32 3
		.amdhsa_float_denorm_mode_16_64 3
		.amdhsa_dx10_clamp 1
		.amdhsa_ieee_mode 1
		.amdhsa_fp16_overflow 0
		.amdhsa_tg_split 0
		.amdhsa_exception_fp_ieee_invalid_op 0
		.amdhsa_exception_fp_denorm_src 0
		.amdhsa_exception_fp_ieee_div_zero 0
		.amdhsa_exception_fp_ieee_overflow 0
		.amdhsa_exception_fp_ieee_underflow 0
		.amdhsa_exception_fp_ieee_inexact 0
		.amdhsa_exception_int_div_zero 0
	.end_amdhsa_kernel
	.section	.text._ZL36rocblas_hemvn_kernel_upper_block_sumILi64EifPffEviT1_lS1_lT2_lT0_lPT3_i,"axG",@progbits,_ZL36rocblas_hemvn_kernel_upper_block_sumILi64EifPffEviT1_lS1_lT2_lT0_lPT3_i,comdat
.Lfunc_end76:
	.size	_ZL36rocblas_hemvn_kernel_upper_block_sumILi64EifPffEviT1_lS1_lT2_lT0_lPT3_i, .Lfunc_end76-_ZL36rocblas_hemvn_kernel_upper_block_sumILi64EifPffEviT1_lS1_lT2_lT0_lPT3_i
                                        ; -- End function
	.section	.AMDGPU.csdata,"",@progbits
; Kernel info:
; codeLenInByte = 512
; NumSgprs: 26
; NumVgprs: 6
; NumAgprs: 0
; TotalNumVgprs: 6
; ScratchSize: 0
; MemoryBound: 0
; FloatMode: 240
; IeeeMode: 1
; LDSByteSize: 0 bytes/workgroup (compile time only)
; SGPRBlocks: 3
; VGPRBlocks: 0
; NumSGPRsForWavesPerEU: 26
; NumVGPRsForWavesPerEU: 6
; AccumOffset: 8
; Occupancy: 8
; WaveLimiterHint : 0
; COMPUTE_PGM_RSRC2:SCRATCH_EN: 0
; COMPUTE_PGM_RSRC2:USER_SGPR: 2
; COMPUTE_PGM_RSRC2:TRAP_HANDLER: 0
; COMPUTE_PGM_RSRC2:TGID_X_EN: 1
; COMPUTE_PGM_RSRC2:TGID_Y_EN: 0
; COMPUTE_PGM_RSRC2:TGID_Z_EN: 1
; COMPUTE_PGM_RSRC2:TIDIG_COMP_CNT: 0
; COMPUTE_PGM_RSRC3_GFX90A:ACCUM_OFFSET: 1
; COMPUTE_PGM_RSRC3_GFX90A:TG_SPLIT: 0
	.section	.text._ZL50rocblas_symv_kernel_lower_double_buffered_diagonalILi32ELi4E24rocblas_internal_val_ptrIfEPKfPfEvbiT1_lT2_lllS6_lllS5_lT3_llli,"axG",@progbits,_ZL50rocblas_symv_kernel_lower_double_buffered_diagonalILi32ELi4E24rocblas_internal_val_ptrIfEPKfPfEvbiT1_lT2_lllS6_lllS5_lT3_llli,comdat
	.globl	_ZL50rocblas_symv_kernel_lower_double_buffered_diagonalILi32ELi4E24rocblas_internal_val_ptrIfEPKfPfEvbiT1_lT2_lllS6_lllS5_lT3_llli ; -- Begin function _ZL50rocblas_symv_kernel_lower_double_buffered_diagonalILi32ELi4E24rocblas_internal_val_ptrIfEPKfPfEvbiT1_lT2_lllS6_lllS5_lT3_llli
	.p2align	8
	.type	_ZL50rocblas_symv_kernel_lower_double_buffered_diagonalILi32ELi4E24rocblas_internal_val_ptrIfEPKfPfEvbiT1_lT2_lllS6_lllS5_lT3_llli,@function
_ZL50rocblas_symv_kernel_lower_double_buffered_diagonalILi32ELi4E24rocblas_internal_val_ptrIfEPKfPfEvbiT1_lT2_lllS6_lllS5_lT3_llli: ; @_ZL50rocblas_symv_kernel_lower_double_buffered_diagonalILi32ELi4E24rocblas_internal_val_ptrIfEPKfPfEvbiT1_lT2_lllS6_lllS5_lT3_llli
; %bb.0:
	s_load_dword s20, s[0:1], 0x0
	s_load_dwordx16 s[4:19], s[0:1], 0x8
	s_mov_b64 s[30:31], -1
                                        ; implicit-def: $sgpr33
	s_waitcnt lgkmcnt(0)
	s_bitcmp1_b32 s20, 0
	s_cselect_b64 s[20:21], -1, 0
	s_xor_b64 s[28:29], s[20:21], -1
	s_and_b64 vcc, exec, s[28:29]
	s_cbranch_vccnz .LBB77_10
; %bb.1:
	s_load_dwordx8 s[20:27], s[0:1], 0x48
	s_andn2_b64 vcc, exec, s[30:31]
	s_cbranch_vccz .LBB77_11
.LBB77_2:
	s_andn2_b64 vcc, exec, s[28:29]
	s_cbranch_vccnz .LBB77_4
.LBB77_3:
	s_waitcnt lgkmcnt(0)
	s_mul_i32 s4, s3, s27
	s_mul_hi_u32 s5, s3, s26
	s_add_i32 s5, s5, s4
	s_mul_i32 s4, s3, s26
	s_lshl_b64 s[4:5], s[4:5], 2
	s_add_u32 s4, s24, s4
	s_addc_u32 s5, s25, s5
	s_load_dword s24, s[4:5], 0x0
.LBB77_4:
	s_waitcnt lgkmcnt(0)
	v_cmp_eq_f32_e64 s[4:5], s33, 0
	v_cmp_eq_f32_e64 s[6:7], s24, 1.0
	s_and_b64 s[4:5], s[4:5], s[6:7]
	s_and_b64 vcc, exec, s[4:5]
	s_cbranch_vccnz .LBB77_9
; %bb.5:
	s_load_dwordx2 s[26:27], s[0:1], 0x80
	s_load_dwordx2 s[28:29], s[0:1], 0x68
	s_load_dwordx4 s[4:7], s[0:1], 0x70
	v_bfe_u32 v5, v0, 10, 10
	v_and_b32_e32 v4, 0x3ff, v0
	s_waitcnt lgkmcnt(0)
	s_mul_i32 s1, s3, s27
	s_mul_hi_u32 s25, s3, s26
	s_mul_i32 s0, s3, s26
	s_add_i32 s1, s25, s1
	s_lshl_b64 s[0:1], s[0:1], 2
	s_add_u32 s25, s28, s0
	s_addc_u32 s26, s29, s1
	s_lshl_b64 s[0:1], s[4:5], 2
	s_add_u32 s4, s25, s0
	s_addc_u32 s5, s26, s1
	s_lshl_b32 s2, s2, 5
	s_ashr_i32 s25, s2, 31
	s_mul_i32 s0, s2, s7
	s_mul_hi_u32 s1, s2, s6
	s_add_i32 s0, s1, s0
	s_mul_i32 s1, s25, s6
	s_add_i32 s1, s0, s1
	s_mul_i32 s0, s2, s6
	s_lshl_b64 s[0:1], s[0:1], 2
	s_add_u32 s4, s4, s0
	s_addc_u32 s5, s5, s1
	v_cmp_neq_f32_e64 s[0:1], s33, 0
	s_and_b64 vcc, exec, s[0:1]
	v_cmp_eq_u32_e64 s[0:1], 0, v5
	s_cbranch_vccnz .LBB77_12
; %bb.6:
	s_and_saveexec_b64 s[26:27], s[0:1]
	s_cbranch_execz .LBB77_8
; %bb.7:
	v_mad_u64_u32 v[0:1], s[0:1], v4, s6, 0
	v_mov_b32_e32 v2, v1
	v_mad_u64_u32 v[2:3], s[0:1], v4, s7, v[2:3]
	v_mov_b32_e32 v1, v2
	v_lshl_add_u64 v[0:1], v[0:1], 2, s[4:5]
	global_load_dword v2, v[0:1], off
	s_waitcnt vmcnt(0)
	v_mul_f32_e32 v2, s24, v2
	global_store_dword v[0:1], v2, off
.LBB77_8:
	s_or_b64 exec, exec, s[26:27]
	s_cbranch_execz .LBB77_13
.LBB77_9:
	s_endpgm
.LBB77_10:
	s_mul_i32 s7, s3, s7
	s_mul_hi_u32 s20, s3, s6
	s_add_i32 s7, s20, s7
	s_mul_i32 s6, s3, s6
	s_lshl_b64 s[6:7], s[6:7], 2
	s_add_u32 s6, s4, s6
	s_addc_u32 s7, s5, s7
	s_load_dword s33, s[6:7], 0x0
	s_load_dwordx8 s[20:27], s[0:1], 0x48
	s_cbranch_execnz .LBB77_2
.LBB77_11:
	s_waitcnt lgkmcnt(0)
	s_mov_b32 s33, s4
	s_andn2_b64 vcc, exec, s[28:29]
	s_cbranch_vccz .LBB77_3
	s_branch .LBB77_4
.LBB77_12:
.LBB77_13:
	v_mov_b32_e32 v6, 0
	v_cmp_eq_u32_e64 s[0:1], 0, v5
	s_and_saveexec_b64 s[26:27], s[0:1]
	s_cbranch_execz .LBB77_17
; %bb.14:
	v_cmp_eq_f32_e64 s[28:29], s24, 0
	v_mov_b32_e32 v6, 0
	s_and_b64 vcc, exec, s[28:29]
	s_cbranch_vccnz .LBB77_16
; %bb.15:
	v_mad_u64_u32 v[0:1], s[28:29], v4, s6, 0
	v_mov_b32_e32 v2, v1
	v_mad_u64_u32 v[2:3], s[28:29], v4, s7, v[2:3]
	v_mov_b32_e32 v1, v2
	v_lshl_add_u64 v[0:1], v[0:1], 2, s[4:5]
	global_load_dword v0, v[0:1], off
	s_waitcnt vmcnt(0)
	v_mul_f32_e32 v6, s24, v0
.LBB77_16:
	s_mul_i32 s23, s3, s23
	s_mul_hi_u32 s28, s3, s22
	s_add_i32 s23, s28, s23
	s_mul_i32 s22, s3, s22
	s_lshl_b64 s[22:23], s[22:23], 2
	s_add_u32 s22, s16, s22
	s_addc_u32 s23, s17, s23
	s_lshl_b64 s[16:17], s[18:19], 2
	s_add_u32 s18, s22, s16
	s_addc_u32 s19, s23, s17
	s_mul_i32 s16, s2, s21
	s_mul_hi_u32 s17, s2, s20
	s_add_i32 s16, s17, s16
	s_mul_i32 s17, s25, s20
	s_add_i32 s17, s16, s17
	s_mul_i32 s16, s2, s20
	s_lshl_b64 s[16:17], s[16:17], 2
	s_add_u32 s16, s18, s16
	s_addc_u32 s17, s19, s17
	v_mad_u64_u32 v[0:1], s[18:19], v4, s20, 0
	v_mov_b32_e32 v2, v1
	v_mad_u64_u32 v[2:3], s[18:19], v4, s21, v[2:3]
	v_mov_b32_e32 v1, v2
	v_lshl_add_u64 v[0:1], v[0:1], 2, s[16:17]
	global_load_dword v0, v[0:1], off
	v_lshlrev_b32_e32 v1, 2, v4
	s_waitcnt vmcnt(0)
	ds_write_b32 v1, v0 offset:5120
.LBB77_17:
	s_or_b64 exec, exec, s[26:27]
	s_mul_i32 s15, s3, s15
	s_mul_hi_u32 s16, s3, s14
	s_add_i32 s15, s16, s15
	s_mul_i32 s14, s3, s14
	s_lshl_b64 s[14:15], s[14:15], 2
	s_add_u32 s3, s8, s14
	s_addc_u32 s14, s9, s15
	s_lshl_b64 s[8:9], s[10:11], 2
	s_add_u32 s8, s3, s8
	s_addc_u32 s9, s14, s9
	s_add_u32 s10, s12, 1
	s_addc_u32 s3, s13, 0
	s_mul_i32 s11, s10, s25
	s_mul_hi_u32 s14, s10, s2
	s_add_i32 s11, s14, s11
	s_mul_i32 s3, s3, s2
	s_add_i32 s3, s11, s3
	s_mul_i32 s2, s10, s2
	s_lshl_b64 s[2:3], s[2:3], 2
	s_add_u32 s2, s8, s2
	s_addc_u32 s3, s9, s3
	v_mad_u64_u32 v[0:1], s[8:9], v5, s12, 0
	v_mov_b32_e32 v2, v1
	v_mad_u64_u32 v[2:3], s[8:9], v5, s13, v[2:3]
	v_mov_b32_e32 v1, v2
	v_lshl_add_u64 v[2:3], v[0:1], 2, s[2:3]
	v_lshlrev_b32_e32 v0, 2, v4
	v_mov_b32_e32 v1, 0
	v_lshl_add_u64 v[2:3], v[2:3], 0, v[0:1]
	s_lshl_b64 s[2:3], s[12:13], 4
	v_lshl_add_u64 v[8:9], v[2:3], 0, s[2:3]
	global_load_dword v13, v[2:3], off
	global_load_dword v14, v[8:9], off
	v_lshl_add_u64 v[2:3], v[8:9], 0, s[2:3]
	global_load_dword v15, v[2:3], off
	v_lshl_add_u64 v[2:3], v[2:3], 0, s[2:3]
	global_load_dword v16, v[2:3], off
	v_add_u32_e32 v12, 4, v5
	v_add_u32_e32 v11, 8, v5
	;; [unrolled: 1-line block ×3, first 2 shown]
	v_lshl_add_u32 v1, v5, 5, v4
	v_lshlrev_b32_e32 v7, 5, v12
	v_lshlrev_b32_e32 v8, 5, v11
	;; [unrolled: 1-line block ×4, first 2 shown]
	v_add_lshl_u32 v9, v7, v4, 2
	v_add_lshl_u32 v8, v8, v4, 2
	;; [unrolled: 1-line block ×3, first 2 shown]
	v_cmp_lt_u32_e32 vcc, 15, v4
	s_waitcnt vmcnt(3)
	ds_write_b32 v1, v13
	s_waitcnt vmcnt(2)
	ds_write_b32 v9, v14
	;; [unrolled: 2-line block ×4, first 2 shown]
	s_and_saveexec_b64 s[8:9], vcc
	s_cbranch_execz .LBB77_19
; %bb.18:
	s_lshl_b64 s[10:11], s[12:13], 2
	v_lshl_add_u64 v[2:3], v[2:3], 0, s[2:3]
	global_load_dword v13, v[2:3], off
	v_lshl_add_u64 v[2:3], s[10:11], 2, v[2:3]
	global_load_dword v14, v[2:3], off
	;; [unrolled: 2-line block ×4, first 2 shown]
	s_waitcnt vmcnt(2)
	ds_write2st64_b32 v1, v13, v14 offset0:8 offset1:10
	s_waitcnt vmcnt(0)
	ds_write2st64_b32 v1, v15, v2 offset0:12 offset1:14
.LBB77_19:
	s_or_b64 exec, exec, s[8:9]
	v_cmp_lt_u32_e32 vcc, v4, v5
	v_lshlrev_b32_e32 v2, 5, v4
	s_waitcnt lgkmcnt(0)
	s_barrier
	s_and_saveexec_b64 s[2:3], vcc
	s_cbranch_execz .LBB77_21
; %bb.20:
	v_add_lshl_u32 v3, v2, v5, 2
	ds_read_b32 v3, v3
	s_waitcnt lgkmcnt(0)
	ds_write_b32 v1, v3
.LBB77_21:
	s_or_b64 exec, exec, s[2:3]
	v_sub_u32_e32 v3, v4, v5
	v_sub_u32_e32 v13, 0, v3
	v_max_i32_e32 v13, v3, v13
	v_cmp_gt_u32_e32 vcc, 4, v13
	v_add_lshl_u32 v14, v5, v2, 2
	s_and_saveexec_b64 s[2:3], vcc
	s_cbranch_execnz .LBB77_35
; %bb.22:
	s_or_b64 exec, exec, s[2:3]
	v_cmp_gt_u32_e32 vcc, 8, v13
	s_and_saveexec_b64 s[2:3], vcc
	s_cbranch_execnz .LBB77_36
.LBB77_23:
	s_or_b64 exec, exec, s[2:3]
	v_cmp_gt_u32_e32 vcc, 12, v13
	s_and_saveexec_b64 s[2:3], vcc
	s_cbranch_execz .LBB77_25
.LBB77_24:
	ds_read_b32 v3, v14 offset:48
	s_waitcnt lgkmcnt(0)
	ds_write_b32 v7, v3
.LBB77_25:
	s_or_b64 exec, exec, s[2:3]
	v_add_u32_e32 v3, 16, v5
	v_cmp_gt_u32_e32 vcc, 16, v13
	v_lshlrev_b32_e32 v3, 5, v3
	s_and_saveexec_b64 s[2:3], vcc
	s_cbranch_execnz .LBB77_37
; %bb.26:
	s_or_b64 exec, exec, s[2:3]
	v_cmp_gt_u32_e32 vcc, 20, v13
	s_and_saveexec_b64 s[2:3], vcc
	s_cbranch_execnz .LBB77_38
.LBB77_27:
	s_or_b64 exec, exec, s[2:3]
	v_cmp_gt_u32_e32 vcc, 24, v13
	s_and_saveexec_b64 s[2:3], vcc
	s_cbranch_execz .LBB77_29
.LBB77_28:
	v_add_lshl_u32 v11, v11, v2, 2
	ds_read_b32 v11, v11 offset:64
	s_waitcnt lgkmcnt(0)
	ds_write_b32 v1, v11 offset:3072
.LBB77_29:
	s_or_b64 exec, exec, s[2:3]
	v_cmp_lt_u32_e32 vcc, 27, v13
	v_add_u32_e32 v11, 28, v5
                                        ; implicit-def: $vgpr12
	s_and_saveexec_b64 s[2:3], vcc
	s_xor_b64 s[2:3], exec, s[2:3]
; %bb.30:
	v_add_u32_e32 v11, 28, v5
	v_lshl_add_u32 v12, v11, 5, v4
                                        ; implicit-def: $vgpr10
                                        ; implicit-def: $vgpr2
; %bb.31:
	s_andn2_saveexec_b64 s[2:3], s[2:3]
	s_cbranch_execz .LBB77_33
; %bb.32:
	v_add_lshl_u32 v2, v10, v2, 2
	ds_read_b32 v2, v2 offset:64
	v_lshl_add_u32 v12, v11, 5, v4
	v_lshlrev_b32_e32 v10, 2, v12
	s_waitcnt lgkmcnt(0)
	ds_write_b32 v10, v2
.LBB77_33:
	s_or_b64 exec, exec, s[2:3]
	v_lshlrev_b32_e32 v2, 2, v5
	v_add_u32_e32 v10, 0x1400, v2
	s_waitcnt lgkmcnt(0)
	s_barrier
	ds_read2_b32 v[14:15], v10 offset1:4
	ds_read2_b32 v[16:17], v10 offset0:8 offset1:12
	ds_read_b32 v13, v1
	ds_read_b32 v18, v9
	;; [unrolled: 1-line block ×4, first 2 shown]
	v_add_lshl_u32 v3, v3, v4, 2
	v_lshlrev_b32_e32 v8, 2, v12
	v_lshlrev_b32_e32 v5, 5, v5
	v_lshlrev_b32_e32 v9, 2, v11
	ds_read_b32 v11, v8
	ds_read_b32 v12, v9 offset:5120
	ds_read_b32 v20, v3
	ds_read_b32 v21, v2 offset:5216
	ds_read2_b32 v[2:3], v10 offset0:16 offset1:20
	v_add_lshl_u32 v5, v5, v4, 2
	s_waitcnt lgkmcnt(8)
	v_fma_f32 v13, v13, v14, 0
	ds_read2st64_b32 v[8:9], v5 offset0:10 offset1:12
	s_waitcnt lgkmcnt(8)
	v_fmac_f32_e32 v13, v18, v15
	s_waitcnt lgkmcnt(7)
	v_fmac_f32_e32 v13, v19, v16
	;; [unrolled: 2-line block ×5, first 2 shown]
	v_fmac_f32_e32 v13, v9, v21
	v_fmac_f32_e32 v13, v11, v12
	ds_write_b32 v1, v13 offset:4096
	s_waitcnt lgkmcnt(0)
	s_barrier
	s_and_saveexec_b64 s[2:3], s[0:1]
	s_cbranch_execz .LBB77_9
; %bb.34:
	v_add_u32_e32 v2, 0x1000, v0
	ds_read2_b32 v[0:1], v2 offset1:32
	ds_read2_b32 v[2:3], v2 offset0:64 offset1:96
	v_cmp_neq_f32_e64 vcc, s24, 0
	s_waitcnt lgkmcnt(1)
	v_add_f32_e32 v0, 0, v0
	v_add_f32_e32 v0, v0, v1
	s_waitcnt lgkmcnt(0)
	v_add_f32_e32 v0, v0, v2
	v_add_f32_e32 v0, v0, v3
	v_mul_f32_e32 v1, s33, v0
	v_fmac_f32_e32 v6, s33, v0
	v_cndmask_b32_e32 v5, v1, v6, vcc
	v_mad_u64_u32 v[0:1], s[0:1], v4, s6, 0
	v_mov_b32_e32 v2, v1
	v_mad_u64_u32 v[2:3], s[0:1], v4, s7, v[2:3]
	v_mov_b32_e32 v1, v2
	v_lshl_add_u64 v[0:1], v[0:1], 2, s[4:5]
	global_store_dword v[0:1], v5, off
	s_endpgm
.LBB77_35:
	ds_read_b32 v3, v14 offset:16
	s_waitcnt lgkmcnt(0)
	ds_write_b32 v9, v3
	s_or_b64 exec, exec, s[2:3]
	v_cmp_gt_u32_e32 vcc, 8, v13
	s_and_saveexec_b64 s[2:3], vcc
	s_cbranch_execz .LBB77_23
.LBB77_36:
	ds_read_b32 v3, v14 offset:32
	s_waitcnt lgkmcnt(0)
	ds_write_b32 v8, v3
	s_or_b64 exec, exec, s[2:3]
	v_cmp_gt_u32_e32 vcc, 12, v13
	s_and_saveexec_b64 s[2:3], vcc
	s_cbranch_execnz .LBB77_24
	s_branch .LBB77_25
.LBB77_37:
	ds_read_b32 v14, v14 offset:64
	v_add_lshl_u32 v15, v3, v4, 2
	s_waitcnt lgkmcnt(0)
	ds_write_b32 v15, v14
	s_or_b64 exec, exec, s[2:3]
	v_cmp_gt_u32_e32 vcc, 20, v13
	s_and_saveexec_b64 s[2:3], vcc
	s_cbranch_execz .LBB77_27
.LBB77_38:
	v_add_lshl_u32 v12, v12, v2, 2
	ds_read_b32 v12, v12 offset:64
	s_waitcnt lgkmcnt(0)
	ds_write_b32 v1, v12 offset:2560
	s_or_b64 exec, exec, s[2:3]
	v_cmp_gt_u32_e32 vcc, 24, v13
	s_and_saveexec_b64 s[2:3], vcc
	s_cbranch_execnz .LBB77_28
	s_branch .LBB77_29
	.section	.rodata,"a",@progbits
	.p2align	6, 0x0
	.amdhsa_kernel _ZL50rocblas_symv_kernel_lower_double_buffered_diagonalILi32ELi4E24rocblas_internal_val_ptrIfEPKfPfEvbiT1_lT2_lllS6_lllS5_lT3_llli
		.amdhsa_group_segment_fixed_size 5248
		.amdhsa_private_segment_fixed_size 0
		.amdhsa_kernarg_size 140
		.amdhsa_user_sgpr_count 2
		.amdhsa_user_sgpr_dispatch_ptr 0
		.amdhsa_user_sgpr_queue_ptr 0
		.amdhsa_user_sgpr_kernarg_segment_ptr 1
		.amdhsa_user_sgpr_dispatch_id 0
		.amdhsa_user_sgpr_kernarg_preload_length 0
		.amdhsa_user_sgpr_kernarg_preload_offset 0
		.amdhsa_user_sgpr_private_segment_size 0
		.amdhsa_uses_dynamic_stack 0
		.amdhsa_enable_private_segment 0
		.amdhsa_system_sgpr_workgroup_id_x 1
		.amdhsa_system_sgpr_workgroup_id_y 0
		.amdhsa_system_sgpr_workgroup_id_z 1
		.amdhsa_system_sgpr_workgroup_info 0
		.amdhsa_system_vgpr_workitem_id 1
		.amdhsa_next_free_vgpr 22
		.amdhsa_next_free_sgpr 34
		.amdhsa_accum_offset 24
		.amdhsa_reserve_vcc 1
		.amdhsa_float_round_mode_32 0
		.amdhsa_float_round_mode_16_64 0
		.amdhsa_float_denorm_mode_32 3
		.amdhsa_float_denorm_mode_16_64 3
		.amdhsa_dx10_clamp 1
		.amdhsa_ieee_mode 1
		.amdhsa_fp16_overflow 0
		.amdhsa_tg_split 0
		.amdhsa_exception_fp_ieee_invalid_op 0
		.amdhsa_exception_fp_denorm_src 0
		.amdhsa_exception_fp_ieee_div_zero 0
		.amdhsa_exception_fp_ieee_overflow 0
		.amdhsa_exception_fp_ieee_underflow 0
		.amdhsa_exception_fp_ieee_inexact 0
		.amdhsa_exception_int_div_zero 0
	.end_amdhsa_kernel
	.section	.text._ZL50rocblas_symv_kernel_lower_double_buffered_diagonalILi32ELi4E24rocblas_internal_val_ptrIfEPKfPfEvbiT1_lT2_lllS6_lllS5_lT3_llli,"axG",@progbits,_ZL50rocblas_symv_kernel_lower_double_buffered_diagonalILi32ELi4E24rocblas_internal_val_ptrIfEPKfPfEvbiT1_lT2_lllS6_lllS5_lT3_llli,comdat
.Lfunc_end77:
	.size	_ZL50rocblas_symv_kernel_lower_double_buffered_diagonalILi32ELi4E24rocblas_internal_val_ptrIfEPKfPfEvbiT1_lT2_lllS6_lllS5_lT3_llli, .Lfunc_end77-_ZL50rocblas_symv_kernel_lower_double_buffered_diagonalILi32ELi4E24rocblas_internal_val_ptrIfEPKfPfEvbiT1_lT2_lllS6_lllS5_lT3_llli
                                        ; -- End function
	.section	.AMDGPU.csdata,"",@progbits
; Kernel info:
; codeLenInByte = 1884
; NumSgprs: 40
; NumVgprs: 22
; NumAgprs: 0
; TotalNumVgprs: 22
; ScratchSize: 0
; MemoryBound: 0
; FloatMode: 240
; IeeeMode: 1
; LDSByteSize: 5248 bytes/workgroup (compile time only)
; SGPRBlocks: 4
; VGPRBlocks: 2
; NumSGPRsForWavesPerEU: 40
; NumVGPRsForWavesPerEU: 22
; AccumOffset: 24
; Occupancy: 6
; WaveLimiterHint : 0
; COMPUTE_PGM_RSRC2:SCRATCH_EN: 0
; COMPUTE_PGM_RSRC2:USER_SGPR: 2
; COMPUTE_PGM_RSRC2:TRAP_HANDLER: 0
; COMPUTE_PGM_RSRC2:TGID_X_EN: 1
; COMPUTE_PGM_RSRC2:TGID_Y_EN: 0
; COMPUTE_PGM_RSRC2:TGID_Z_EN: 1
; COMPUTE_PGM_RSRC2:TIDIG_COMP_CNT: 1
; COMPUTE_PGM_RSRC3_GFX90A:ACCUM_OFFSET: 5
; COMPUTE_PGM_RSRC3_GFX90A:TG_SPLIT: 0
	.section	.text._ZL54rocblas_symv_kernel_lower_double_buffered_non_diagonalILi32ELi4ELi4E24rocblas_internal_val_ptrIfEPKfPfEvbiT2_lT3_lllS6_lllT4_llli,"axG",@progbits,_ZL54rocblas_symv_kernel_lower_double_buffered_non_diagonalILi32ELi4ELi4E24rocblas_internal_val_ptrIfEPKfPfEvbiT2_lT3_lllS6_lllT4_llli,comdat
	.globl	_ZL54rocblas_symv_kernel_lower_double_buffered_non_diagonalILi32ELi4ELi4E24rocblas_internal_val_ptrIfEPKfPfEvbiT2_lT3_lllS6_lllT4_llli ; -- Begin function _ZL54rocblas_symv_kernel_lower_double_buffered_non_diagonalILi32ELi4ELi4E24rocblas_internal_val_ptrIfEPKfPfEvbiT2_lT3_lllS6_lllT4_llli
	.p2align	8
	.type	_ZL54rocblas_symv_kernel_lower_double_buffered_non_diagonalILi32ELi4ELi4E24rocblas_internal_val_ptrIfEPKfPfEvbiT2_lT3_lllS6_lllT4_llli,@function
_ZL54rocblas_symv_kernel_lower_double_buffered_non_diagonalILi32ELi4ELi4E24rocblas_internal_val_ptrIfEPKfPfEvbiT2_lT3_lllS6_lllT4_llli: ; @_ZL54rocblas_symv_kernel_lower_double_buffered_non_diagonalILi32ELi4ELi4E24rocblas_internal_val_ptrIfEPKfPfEvbiT2_lT3_lllS6_lllT4_llli
; %bb.0:
	s_load_dword s5, s[0:1], 0x0
	s_load_dwordx16 s[8:23], s[0:1], 0x8
	s_waitcnt lgkmcnt(0)
	s_bitcmp0_b32 s5, 0
	s_cbranch_scc0 .LBB78_2
; %bb.1:
	s_mul_i32 s5, s4, s11
	s_mul_hi_u32 s6, s4, s10
	s_add_i32 s7, s6, s5
	s_mul_i32 s6, s4, s10
	s_lshl_b64 s[6:7], s[6:7], 2
	s_add_u32 s6, s8, s6
	s_addc_u32 s7, s9, s7
	s_load_dword s33, s[6:7], 0x0
	s_cbranch_execz .LBB78_3
	s_branch .LBB78_4
.LBB78_2:
                                        ; implicit-def: $sgpr33
.LBB78_3:
	s_waitcnt lgkmcnt(0)
	s_mov_b32 s33, s8
.LBB78_4:
	s_waitcnt lgkmcnt(0)
	v_cmp_eq_f32_e64 s[6:7], s33, 0
	s_and_b64 vcc, exec, s[6:7]
	s_cbranch_vccnz .LBB78_21
; %bb.5:
	s_load_dwordx2 s[6:7], s[0:1], 0x80
	s_waitcnt lgkmcnt(0)
	v_cvt_f32_u32_e32 v1, s7
	s_add_i32 s5, s6, -1
	s_cmp_eq_u32 s2, s5
	v_rcp_iflag_f32_e32 v1, v1
	s_nop 0
	v_mul_f32_e32 v1, 0x4f7ffffe, v1
	v_cvt_u32_f32_e32 v1, v1
	s_nop 0
	v_readfirstlane_b32 s8, v1
	s_cbranch_scc1 .LBB78_21
; %bb.6:
	s_not_b32 s5, s2
	s_load_dwordx4 s[24:27], s[0:1], 0x48
	s_add_i32 s5, s6, s5
	s_sub_i32 s6, 0, s7
	s_mul_i32 s6, s6, s8
	s_mul_hi_u32 s6, s8, s6
	s_add_i32 s8, s8, s6
	s_mul_hi_u32 s6, s5, s8
	v_and_b32_e32 v32, 0x3ff, v0
	v_bfe_u32 v0, v0, 10, 10
	s_waitcnt lgkmcnt(0)
	s_mul_i32 s8, s4, s27
	s_mul_hi_u32 s9, s4, s26
	s_lshl_b32 s28, s2, 5
	s_add_i32 s27, s9, s8
	s_mul_i32 s26, s4, s26
	s_ashr_i32 s29, s28, 31
	v_cmp_eq_u32_e32 vcc, 0, v0
	s_and_saveexec_b64 s[8:9], vcc
	s_cbranch_execz .LBB78_8
; %bb.7:
	s_lshl_b64 s[10:11], s[26:27], 2
	s_add_u32 s2, s20, s10
	s_addc_u32 s30, s21, s11
	s_lshl_b64 s[10:11], s[22:23], 2
	s_add_u32 s2, s2, s10
	s_addc_u32 s30, s30, s11
	s_mul_i32 s10, s28, s25
	s_mul_hi_u32 s11, s28, s24
	s_add_i32 s10, s11, s10
	s_mul_i32 s11, s29, s24
	s_add_i32 s11, s10, s11
	s_mul_i32 s10, s28, s24
	s_lshl_b64 s[10:11], s[10:11], 2
	s_add_u32 s10, s2, s10
	s_addc_u32 s11, s30, s11
	v_mad_u64_u32 v[2:3], s[30:31], v32, s24, 0
	v_mov_b32_e32 v4, v3
	v_mad_u64_u32 v[4:5], s[30:31], v32, s25, v[4:5]
	v_mov_b32_e32 v3, v4
	v_lshl_add_u64 v[2:3], v[2:3], 2, s[10:11]
	global_load_dword v1, v[2:3], off
	v_lshlrev_b32_e32 v2, 2, v32
	s_waitcnt vmcnt(0)
	ds_write_b32 v2, v1 offset:3072
.LBB78_8:
	s_or_b64 exec, exec, s[8:9]
	s_mul_i32 s2, s6, s7
	s_sub_i32 s2, s5, s2
	s_add_i32 s8, s6, 1
	s_sub_i32 s9, s2, s7
	s_cmp_ge_u32 s2, s7
	s_cselect_b32 s6, s8, s6
	s_cselect_b32 s2, s9, s2
	s_add_i32 s8, s6, 1
	s_cmp_ge_u32 s2, s7
	s_cselect_b32 s2, s8, s6
	s_add_i32 s6, s7, -1
	s_cmp_lg_u32 s3, s6
	s_mov_b32 s34, s2
	s_cbranch_scc1 .LBB78_10
; %bb.9:
	s_mul_i32 s6, s2, s7
	s_sub_i32 s5, s5, s6
	s_add_i32 s34, s5, s2
.LBB78_10:
	s_cmp_eq_u32 s34, 0
	s_cbranch_scc1 .LBB78_21
; %bb.11:
	s_load_dwordx2 s[6:7], s[0:1], 0x70
	s_load_dwordx2 s[30:31], s[0:1], 0x58
	s_load_dwordx4 s[8:11], s[0:1], 0x60
	v_lshl_add_u32 v0, v0, 5, v32
	v_and_b32_e32 v4, 15, v32
	s_waitcnt lgkmcnt(0)
	s_mul_i32 s1, s4, s7
	s_mul_hi_u32 s5, s4, s6
	s_mul_i32 s0, s4, s6
	s_add_i32 s1, s5, s1
	s_lshl_b64 s[0:1], s[0:1], 2
	s_add_u32 s5, s30, s0
	s_addc_u32 s6, s31, s1
	s_lshl_b64 s[0:1], s[8:9], 2
	s_add_u32 s5, s5, s0
	s_addc_u32 s6, s6, s1
	s_mul_i32 s0, s28, s11
	s_mul_hi_u32 s1, s28, s10
	s_add_i32 s0, s1, s0
	s_mul_i32 s1, s29, s10
	s_add_i32 s1, s0, s1
	s_mul_i32 s0, s28, s10
	s_lshl_b64 s[0:1], s[0:1], 2
	s_add_u32 s0, s5, s0
	s_addc_u32 s1, s6, s1
	v_lshrrev_b32_e32 v33, 4, v0
	s_cmp_lt_i32 s34, 1
	v_mov_b32_e32 v41, 0
	v_lshlrev_b32_e32 v6, 2, v4
	v_mov_b32_e32 v42, 0
	v_mov_b32_e32 v43, 0
	;; [unrolled: 1-line block ×3, first 2 shown]
	s_barrier
	s_cbranch_scc1 .LBB78_19
; %bb.12:
	s_mul_i32 s3, s3, s2
	v_lshlrev_b32_e32 v1, 2, v33
	v_mov_b32_e32 v5, 0
	s_lshl_b32 s2, s3, 5
	v_mad_u64_u32 v[2:3], s[6:7], v1, s16, v[4:5]
	s_ashr_i32 s3, s2, 31
	s_mul_i32 s5, s2, s11
	s_mul_hi_u32 s8, s2, s10
	v_mov_b32_e32 v8, v3
	s_add_i32 s5, s8, s5
	s_mul_i32 s8, s3, s10
	v_mad_u64_u32 v[8:9], s[6:7], v1, s17, v[8:9]
	s_add_i32 s9, s5, s8
	s_mul_i32 s8, s2, s10
	s_lshl_b64 s[6:7], s[24:25], 7
	s_lshl_b64 s[8:9], s[8:9], 2
	s_add_u32 s30, s0, s8
	s_mul_i32 s5, s4, s19
	s_mul_hi_u32 s8, s4, s18
	s_addc_u32 s31, s1, s9
	s_add_i32 s5, s8, s5
	s_mul_i32 s4, s4, s18
	s_lshl_b64 s[18:19], s[4:5], 2
	s_add_u32 s4, s12, s18
	s_addc_u32 s5, s13, s19
	s_lshl_b64 s[36:37], s[14:15], 2
	s_add_u32 s8, s4, s36
	s_addc_u32 s9, s5, s37
	s_add_u32 s4, s16, 1
	s_addc_u32 s5, s17, 0
	s_mul_i32 s14, s4, s29
	s_mul_hi_u32 s15, s4, s28
	s_add_i32 s14, s15, s14
	s_mul_i32 s5, s5, s28
	s_add_i32 s5, s14, s5
	s_mul_i32 s4, s4, s28
	s_lshl_b64 s[14:15], s[4:5], 2
	s_add_u32 s4, s8, s14
	s_addc_u32 s5, s9, s15
	s_lshl_b64 s[38:39], s[2:3], 2
	s_add_u32 s2, s4, s38
	v_mov_b32_e32 v3, v8
	s_addc_u32 s3, s5, s39
	v_lshl_add_u64 v[2:3], v[2:3], 2, s[2:3]
	s_lshl_b64 s[2:3], s[16:17], 2
	global_load_dword v37, v[2:3], off offset:128
	v_lshl_add_u64 v[2:3], v[2:3], 0, s[2:3]
	global_load_dword v38, v[2:3], off offset:128
	v_lshl_add_u64 v[2:3], v[2:3], 0, s[2:3]
	;; [unrolled: 2-line block ×3, first 2 shown]
	global_load_dword v40, v[2:3], off offset:128
	v_mad_u64_u32 v[8:9], s[4:5], v32, s10, 0
	v_mov_b32_e32 v2, v9
	v_mad_u64_u32 v[2:3], s[4:5], v32, s11, v[2:3]
	s_lshl_b64 s[2:3], s[10:11], 7
	s_lshl_b64 s[4:5], s[22:23], 2
	;; [unrolled: 1-line block ×4, first 2 shown]
	s_add_u32 s8, s38, s8
	s_addc_u32 s9, s39, s9
	v_lshl_or_b32 v1, v33, 7, v6
	v_mov_b32_e32 v7, v5
	s_add_u32 s20, s20, s22
	v_add_u32_e32 v34, 0x800, v1
	v_mov_b32_e32 v9, v2
	v_mov_b32_e32 v1, 0xc00
	v_lshl_add_u64 v[2:3], s[8:9], 0, v[6:7]
	s_mov_b64 s[8:9], 0x80
	s_addc_u32 s21, s21, s23
	v_lshl_add_u32 v35, v33, 4, v1
	v_mov_b32_e32 v1, 0x800
	v_lshl_add_u64 v[10:11], v[2:3], 0, s[8:9]
	v_mov_b64_e32 v[12:13], s[20:21]
	v_lshl_add_u32 v36, v32, 2, v1
	v_mul_lo_u32 v1, s24, v11
	v_mul_lo_u32 v14, s25, v10
	v_mad_u64_u32 v[10:11], s[20:21], s24, v10, v[12:13]
	s_mov_b64 s[20:21], 0xc0
	s_nop 0
	v_lshl_add_u64 v[2:3], v[2:3], 0, s[20:21]
	v_mad_u64_u32 v[12:13], s[20:21], s24, v2, v[12:13]
	s_add_u32 s20, s14, s18
	s_addc_u32 s21, s15, s19
	s_add_u32 s12, s12, s38
	s_addc_u32 s13, s13, s39
	;; [unrolled: 2-line block ×3, first 2 shown]
	s_add_u32 s12, s22, s20
	v_add3_u32 v11, v14, v11, v1
	v_mul_lo_u32 v1, s24, v3
	v_mul_lo_u32 v3, s25, v2
	v_and_b32_e32 v18, 0xfff0, v0
	s_addc_u32 s13, s23, s21
	v_add3_u32 v13, v3, v13, v1
	v_or_b32_e32 v3, 4, v18
	v_mov_b64_e32 v[0:1], s[12:13]
	v_mad_u64_u32 v[14:15], s[12:13], s16, v3, v[0:1]
	v_mov_b32_e32 v2, v15
	v_mad_u64_u32 v[2:3], s[12:13], s17, v3, v[2:3]
	v_or_b32_e32 v3, 8, v18
	v_mad_u64_u32 v[16:17], s[12:13], s16, v3, v[0:1]
	v_mov_b32_e32 v15, v2
	v_mov_b32_e32 v2, v17
	v_mad_u64_u32 v[2:3], s[12:13], s17, v3, v[2:3]
	v_mov_b32_e32 v17, v2
	v_or_b32_e32 v2, 12, v18
	v_mad_u64_u32 v[18:19], s[12:13], s16, v2, v[0:1]
	v_mov_b32_e32 v0, v19
	v_mad_u64_u32 v[0:1], s[12:13], s17, v2, v[0:1]
	v_mov_b32_e32 v19, v0
	;; [unrolled: 2-line block ×3, first 2 shown]
	v_mad_u64_u32 v[2:3], s[12:13], s17, v33, v[2:3]
	s_add_u32 s12, s22, s18
	s_addc_u32 s13, s23, s19
	s_add_u32 s12, s12, s14
	v_mov_b32_e32 v1, v2
	s_addc_u32 s13, s13, s15
	v_lshl_add_u64 v[20:21], v[0:1], 4, s[12:13]
	v_mov_b64_e32 v[22:23], s[30:31]
	v_mov_b32_e32 v43, v5
	v_mov_b32_e32 v42, v5
	v_mov_b32_e32 v41, v5
	s_waitcnt vmcnt(3)
	v_mov_b32_e32 v44, v37
	s_waitcnt vmcnt(2)
	v_mov_b32_e32 v45, v38
	;; [unrolled: 2-line block ×4, first 2 shown]
.LBB78_13:                              ; =>This Inner Loop Header: Depth=1
	v_lshl_add_u64 v[0:1], v[10:11], 0, s[4:5]
	global_load_dword v49, v[0:1], off
	v_lshl_add_u64 v[0:1], v[12:13], 0, s[4:5]
	v_lshl_add_u64 v[24:25], v[20:21], 0, v[6:7]
	;; [unrolled: 1-line block ×5, first 2 shown]
	global_load_dword v48, v[0:1], off
	global_load_dword v50, v[24:25], off offset:192
	global_load_dword v51, v[26:27], off offset:192
	;; [unrolled: 1-line block ×4, first 2 shown]
	ds_read_b128 v[0:3], v35
	s_cmp_eq_u32 s34, 1
	s_cbranch_scc1 .LBB78_15
; %bb.14:                               ;   in Loop: Header=BB78_13 Depth=1
	global_load_dword v44, v[24:25], off offset:256
	global_load_dword v45, v[26:27], off offset:256
	;; [unrolled: 1-line block ×4, first 2 shown]
.LBB78_15:                              ;   in Loop: Header=BB78_13 Depth=1
	s_waitcnt lgkmcnt(0)
	v_fma_f32 v24, v37, v0, 0
	s_waitcnt vmcnt(3)
	v_fma_f32 v0, v50, v0, 0
	v_fmac_f32_e32 v24, v38, v1
	s_waitcnt vmcnt(2)
	v_fmac_f32_e32 v0, v51, v1
	v_fmac_f32_e32 v24, v39, v2
	s_waitcnt vmcnt(1)
	v_fmac_f32_e32 v0, v52, v2
	;; [unrolled: 3-line block ×3, first 2 shown]
	s_barrier
	ds_write2_b32 v34, v24, v0 offset1:16
	s_waitcnt lgkmcnt(0)
	s_barrier
	s_and_saveexec_b64 s[12:13], vcc
	s_cbranch_execz .LBB78_17
; %bb.16:                               ;   in Loop: Header=BB78_13 Depth=1
	ds_read2_b32 v[0:1], v36 offset1:32
	ds_read2_b32 v[2:3], v36 offset0:64 offset1:96
	ds_read2_b32 v[24:25], v36 offset0:128 offset1:160
	;; [unrolled: 1-line block ×3, first 2 shown]
	v_lshl_add_u64 v[22:23], v[22:23], 0, s[2:3]
	s_waitcnt lgkmcnt(3)
	v_add_f32_e32 v0, 0, v0
	v_add_f32_e32 v0, v0, v1
	s_waitcnt lgkmcnt(2)
	v_add_f32_e32 v0, v0, v2
	v_add_f32_e32 v0, v0, v3
	;; [unrolled: 3-line block ×4, first 2 shown]
	v_lshl_add_u64 v[0:1], v[8:9], 2, v[22:23]
	v_mul_f32_e32 v2, s33, v2
	global_atomic_add_f32 v[0:1], v2, off
.LBB78_17:                              ;   in Loop: Header=BB78_13 Depth=1
	s_or_b64 exec, exec, s[12:13]
	v_fmac_f32_e32 v5, v49, v37
	v_fmac_f32_e32 v43, v49, v38
	;; [unrolled: 1-line block ×4, first 2 shown]
	s_add_i32 s34, s34, -1
	v_fmac_f32_e32 v5, v48, v50
	v_fmac_f32_e32 v43, v48, v51
	;; [unrolled: 1-line block ×4, first 2 shown]
	v_lshl_add_u64 v[10:11], v[10:11], 0, s[6:7]
	v_lshl_add_u64 v[12:13], v[12:13], 0, s[6:7]
	;; [unrolled: 1-line block ×5, first 2 shown]
	s_cmp_eq_u32 s34, 0
	v_lshl_add_u64 v[20:21], v[20:21], 0, s[8:9]
	s_cbranch_scc1 .LBB78_19
; %bb.18:                               ;   in Loop: Header=BB78_13 Depth=1
	v_mov_b32_e32 v37, v44
	v_mov_b32_e32 v38, v45
	;; [unrolled: 1-line block ×4, first 2 shown]
	s_branch .LBB78_13
.LBB78_19:
	v_lshl_or_b32 v0, v33, 8, v6
	ds_write2_b32 v0, v5, v43 offset1:16
	ds_write2_b32 v0, v42, v41 offset0:32 offset1:48
	s_waitcnt lgkmcnt(0)
	s_barrier
	s_and_saveexec_b64 s[2:3], vcc
	s_cbranch_execz .LBB78_21
; %bb.20:
	v_lshlrev_b32_e32 v0, 4, v32
	v_or_b32_e32 v1, v4, v0
	v_add_u32_e32 v3, 1, v32
	v_add_u32_e32 v4, 2, v32
	;; [unrolled: 1-line block ×7, first 2 shown]
	v_and_or_b32 v3, v3, 15, v0
	v_and_or_b32 v4, v4, 15, v0
	;; [unrolled: 1-line block ×7, first 2 shown]
	v_lshlrev_b32_e32 v2, 2, v1
	v_lshlrev_b32_e32 v3, 2, v3
	;; [unrolled: 1-line block ×8, first 2 shown]
	ds_read_b32 v2, v2
	ds_read_b32 v3, v3
	;; [unrolled: 1-line block ×8, first 2 shown]
	s_waitcnt lgkmcnt(7)
	v_add_f32_e32 v2, 0, v2
	s_waitcnt lgkmcnt(6)
	v_add_f32_e32 v2, v2, v3
	;; [unrolled: 2-line block ×8, first 2 shown]
	v_add_u32_e32 v3, 9, v32
	v_add_u32_e32 v4, 10, v32
	;; [unrolled: 1-line block ×6, first 2 shown]
	v_add_u32_e32 v9, -1, v32
	v_xor_b32_e32 v1, 8, v1
	v_and_or_b32 v3, v3, 15, v0
	v_and_or_b32 v4, v4, 15, v0
	v_and_or_b32 v5, v5, 15, v0
	v_and_or_b32 v6, v6, 15, v0
	v_and_or_b32 v7, v7, 15, v0
	v_and_or_b32 v8, v8, 15, v0
	v_and_or_b32 v0, v9, 15, v0
	v_lshlrev_b32_e32 v1, 2, v1
	v_lshlrev_b32_e32 v3, 2, v3
	;; [unrolled: 1-line block ×8, first 2 shown]
	ds_read_b32 v1, v1
	ds_read_b32 v3, v3
	;; [unrolled: 1-line block ×8, first 2 shown]
	s_waitcnt lgkmcnt(7)
	v_add_f32_e32 v1, v2, v1
	s_waitcnt lgkmcnt(6)
	v_add_f32_e32 v1, v1, v3
	;; [unrolled: 2-line block ×8, first 2 shown]
	v_mad_u64_u32 v[0:1], s[2:3], v32, s10, 0
	v_mov_b32_e32 v2, v1
	v_mad_u64_u32 v[2:3], s[2:3], v32, s11, v[2:3]
	v_mov_b32_e32 v1, v2
	v_lshl_add_u64 v[0:1], v[0:1], 2, s[0:1]
	v_mul_f32_e32 v2, s33, v4
	global_atomic_add_f32 v[0:1], v2, off
.LBB78_21:
	s_endpgm
	.section	.rodata,"a",@progbits
	.p2align	6, 0x0
	.amdhsa_kernel _ZL54rocblas_symv_kernel_lower_double_buffered_non_diagonalILi32ELi4ELi4E24rocblas_internal_val_ptrIfEPKfPfEvbiT2_lT3_lllS6_lllT4_llli
		.amdhsa_group_segment_fixed_size 3200
		.amdhsa_private_segment_fixed_size 0
		.amdhsa_kernarg_size 384
		.amdhsa_user_sgpr_count 2
		.amdhsa_user_sgpr_dispatch_ptr 0
		.amdhsa_user_sgpr_queue_ptr 0
		.amdhsa_user_sgpr_kernarg_segment_ptr 1
		.amdhsa_user_sgpr_dispatch_id 0
		.amdhsa_user_sgpr_kernarg_preload_length 0
		.amdhsa_user_sgpr_kernarg_preload_offset 0
		.amdhsa_user_sgpr_private_segment_size 0
		.amdhsa_uses_dynamic_stack 0
		.amdhsa_enable_private_segment 0
		.amdhsa_system_sgpr_workgroup_id_x 1
		.amdhsa_system_sgpr_workgroup_id_y 1
		.amdhsa_system_sgpr_workgroup_id_z 1
		.amdhsa_system_sgpr_workgroup_info 0
		.amdhsa_system_vgpr_workitem_id 1
		.amdhsa_next_free_vgpr 54
		.amdhsa_next_free_sgpr 40
		.amdhsa_accum_offset 56
		.amdhsa_reserve_vcc 1
		.amdhsa_float_round_mode_32 0
		.amdhsa_float_round_mode_16_64 0
		.amdhsa_float_denorm_mode_32 3
		.amdhsa_float_denorm_mode_16_64 3
		.amdhsa_dx10_clamp 1
		.amdhsa_ieee_mode 1
		.amdhsa_fp16_overflow 0
		.amdhsa_tg_split 0
		.amdhsa_exception_fp_ieee_invalid_op 0
		.amdhsa_exception_fp_denorm_src 0
		.amdhsa_exception_fp_ieee_div_zero 0
		.amdhsa_exception_fp_ieee_overflow 0
		.amdhsa_exception_fp_ieee_underflow 0
		.amdhsa_exception_fp_ieee_inexact 0
		.amdhsa_exception_int_div_zero 0
	.end_amdhsa_kernel
	.section	.text._ZL54rocblas_symv_kernel_lower_double_buffered_non_diagonalILi32ELi4ELi4E24rocblas_internal_val_ptrIfEPKfPfEvbiT2_lT3_lllS6_lllT4_llli,"axG",@progbits,_ZL54rocblas_symv_kernel_lower_double_buffered_non_diagonalILi32ELi4ELi4E24rocblas_internal_val_ptrIfEPKfPfEvbiT2_lT3_lllS6_lllT4_llli,comdat
.Lfunc_end78:
	.size	_ZL54rocblas_symv_kernel_lower_double_buffered_non_diagonalILi32ELi4ELi4E24rocblas_internal_val_ptrIfEPKfPfEvbiT2_lT3_lllS6_lllT4_llli, .Lfunc_end78-_ZL54rocblas_symv_kernel_lower_double_buffered_non_diagonalILi32ELi4ELi4E24rocblas_internal_val_ptrIfEPKfPfEvbiT2_lT3_lllS6_lllT4_llli
                                        ; -- End function
	.section	.AMDGPU.csdata,"",@progbits
; Kernel info:
; codeLenInByte = 2332
; NumSgprs: 46
; NumVgprs: 54
; NumAgprs: 0
; TotalNumVgprs: 54
; ScratchSize: 0
; MemoryBound: 0
; FloatMode: 240
; IeeeMode: 1
; LDSByteSize: 3200 bytes/workgroup (compile time only)
; SGPRBlocks: 5
; VGPRBlocks: 6
; NumSGPRsForWavesPerEU: 46
; NumVGPRsForWavesPerEU: 54
; AccumOffset: 56
; Occupancy: 8
; WaveLimiterHint : 0
; COMPUTE_PGM_RSRC2:SCRATCH_EN: 0
; COMPUTE_PGM_RSRC2:USER_SGPR: 2
; COMPUTE_PGM_RSRC2:TRAP_HANDLER: 0
; COMPUTE_PGM_RSRC2:TGID_X_EN: 1
; COMPUTE_PGM_RSRC2:TGID_Y_EN: 1
; COMPUTE_PGM_RSRC2:TGID_Z_EN: 1
; COMPUTE_PGM_RSRC2:TIDIG_COMP_CNT: 1
; COMPUTE_PGM_RSRC3_GFX90A:ACCUM_OFFSET: 13
; COMPUTE_PGM_RSRC3_GFX90A:TG_SPLIT: 0
	.section	.text._ZL58rocblas_symv_kernel_lower_double_buffered_diagonal_genericILi32ELi4E24rocblas_internal_val_ptrIfEPKfPfEvbiT1_lT2_lllS6_lllS5_lT3_lllii,"axG",@progbits,_ZL58rocblas_symv_kernel_lower_double_buffered_diagonal_genericILi32ELi4E24rocblas_internal_val_ptrIfEPKfPfEvbiT1_lT2_lllS6_lllS5_lT3_lllii,comdat
	.globl	_ZL58rocblas_symv_kernel_lower_double_buffered_diagonal_genericILi32ELi4E24rocblas_internal_val_ptrIfEPKfPfEvbiT1_lT2_lllS6_lllS5_lT3_lllii ; -- Begin function _ZL58rocblas_symv_kernel_lower_double_buffered_diagonal_genericILi32ELi4E24rocblas_internal_val_ptrIfEPKfPfEvbiT1_lT2_lllS6_lllS5_lT3_lllii
	.p2align	8
	.type	_ZL58rocblas_symv_kernel_lower_double_buffered_diagonal_genericILi32ELi4E24rocblas_internal_val_ptrIfEPKfPfEvbiT1_lT2_lllS6_lllS5_lT3_lllii,@function
_ZL58rocblas_symv_kernel_lower_double_buffered_diagonal_genericILi32ELi4E24rocblas_internal_val_ptrIfEPKfPfEvbiT1_lT2_lllS6_lllS5_lT3_lllii: ; @_ZL58rocblas_symv_kernel_lower_double_buffered_diagonal_genericILi32ELi4E24rocblas_internal_val_ptrIfEPKfPfEvbiT1_lT2_lllS6_lllS5_lT3_lllii
; %bb.0:
	s_load_dword s20, s[0:1], 0x0
	s_load_dwordx16 s[4:19], s[0:1], 0x8
	s_mov_b64 s[30:31], -1
                                        ; implicit-def: $sgpr33
	s_waitcnt lgkmcnt(0)
	s_bitcmp1_b32 s20, 0
	s_cselect_b64 s[20:21], -1, 0
	s_xor_b64 s[28:29], s[20:21], -1
	s_and_b64 vcc, exec, s[28:29]
	s_cbranch_vccnz .LBB79_13
; %bb.1:
	s_load_dwordx8 s[20:27], s[0:1], 0x48
	s_andn2_b64 vcc, exec, s[30:31]
	s_cbranch_vccz .LBB79_14
.LBB79_2:
	s_andn2_b64 vcc, exec, s[28:29]
	s_cbranch_vccnz .LBB79_4
.LBB79_3:
	s_waitcnt lgkmcnt(0)
	s_mul_i32 s4, s3, s27
	s_mul_hi_u32 s5, s3, s26
	s_add_i32 s5, s5, s4
	s_mul_i32 s4, s3, s26
	s_lshl_b64 s[4:5], s[4:5], 2
	s_add_u32 s4, s24, s4
	s_addc_u32 s5, s25, s5
	s_load_dword s24, s[4:5], 0x0
.LBB79_4:
	s_waitcnt lgkmcnt(0)
	v_cmp_eq_f32_e64 s[4:5], s33, 0
	v_cmp_eq_f32_e64 s[6:7], s24, 1.0
	s_and_b64 s[4:5], s[4:5], s[6:7]
	s_and_b64 vcc, exec, s[4:5]
	s_cbranch_vccnz .LBB79_12
; %bb.5:
	s_load_dwordx2 s[26:27], s[0:1], 0x80
	s_load_dwordx2 s[28:29], s[0:1], 0x68
	s_load_dwordx4 s[4:7], s[0:1], 0x70
	s_load_dword s25, s[0:1], 0x88
	v_bfe_u32 v7, v0, 10, 10
	s_waitcnt lgkmcnt(0)
	s_mul_i32 s27, s3, s27
	s_mul_hi_u32 s30, s3, s26
	s_add_i32 s27, s30, s27
	s_mul_i32 s26, s3, s26
	s_lshl_b64 s[26:27], s[26:27], 2
	s_add_u32 s26, s28, s26
	s_addc_u32 s27, s29, s27
	s_lshl_b64 s[4:5], s[4:5], 2
	s_add_u32 s26, s26, s4
	s_addc_u32 s27, s27, s5
	s_lshl_b32 s34, s2, 5
	s_ashr_i32 s35, s34, 31
	s_mul_i32 s4, s34, s7
	s_mul_hi_u32 s5, s34, s6
	s_add_i32 s4, s5, s4
	s_mul_i32 s5, s35, s6
	s_add_i32 s5, s4, s5
	s_mul_i32 s4, s34, s6
	s_lshl_b64 s[4:5], s[4:5], 2
	s_add_u32 s26, s26, s4
	s_addc_u32 s27, s27, s5
	v_cmp_neq_f32_e64 s[4:5], s33, 0
	v_and_b32_e32 v6, 0x3ff, v0
	s_and_b64 vcc, exec, s[4:5]
	v_cmp_eq_u32_e64 s[4:5], 0, v7
	s_cbranch_vccnz .LBB79_15
; %bb.6:
	s_and_saveexec_b64 s[28:29], s[4:5]
	s_cbranch_execz .LBB79_11
; %bb.7:
	v_cmp_gt_i32_e64 s[4:5], s25, v6
	v_cmp_le_i32_e32 vcc, s25, v6
	s_and_saveexec_b64 s[30:31], vcc
	s_cbranch_execz .LBB79_9
; %bb.8:
	s_load_dword s36, s[0:1], 0x90
	s_waitcnt lgkmcnt(0)
	s_add_i32 s36, s36, -1
	s_cmp_lt_u32 s2, s36
	s_cselect_b64 s[36:37], -1, 0
	s_andn2_b64 s[4:5], s[4:5], exec
	s_and_b64 s[36:37], s[36:37], exec
	s_or_b64 s[4:5], s[4:5], s[36:37]
.LBB79_9:
	s_or_b64 exec, exec, s[30:31]
	s_and_b64 exec, exec, s[4:5]
	s_cbranch_execz .LBB79_11
; %bb.10:
	v_mad_u64_u32 v[0:1], s[4:5], v6, s6, 0
	v_mov_b32_e32 v2, v1
	v_mad_u64_u32 v[2:3], s[4:5], v6, s7, v[2:3]
	v_mov_b32_e32 v1, v2
	v_lshl_add_u64 v[0:1], v[0:1], 2, s[26:27]
	global_load_dword v2, v[0:1], off
	s_waitcnt vmcnt(0)
	v_mul_f32_e32 v2, s24, v2
	global_store_dword v[0:1], v2, off
.LBB79_11:
	s_or_b64 exec, exec, s[28:29]
	s_cbranch_execz .LBB79_16
.LBB79_12:
	s_endpgm
.LBB79_13:
	s_mul_i32 s7, s3, s7
	s_mul_hi_u32 s20, s3, s6
	s_add_i32 s7, s20, s7
	s_mul_i32 s6, s3, s6
	s_lshl_b64 s[6:7], s[6:7], 2
	s_add_u32 s6, s4, s6
	s_addc_u32 s7, s5, s7
	s_load_dword s33, s[6:7], 0x0
	s_load_dwordx8 s[20:27], s[0:1], 0x48
	s_cbranch_execnz .LBB79_2
.LBB79_14:
	s_waitcnt lgkmcnt(0)
	s_mov_b32 s33, s4
	s_andn2_b64 vcc, exec, s[28:29]
	s_cbranch_vccz .LBB79_3
	s_branch .LBB79_4
.LBB79_15:
.LBB79_16:
	s_mul_i32 s4, s3, s23
	s_mul_hi_u32 s5, s3, s22
	s_add_i32 s5, s5, s4
	s_mul_i32 s4, s3, s22
	s_lshl_b64 s[4:5], s[4:5], 2
	s_add_u32 s16, s16, s4
	s_addc_u32 s17, s17, s5
	s_lshl_b64 s[4:5], s[18:19], 2
	s_add_u32 s16, s16, s4
	s_addc_u32 s17, s17, s5
	s_mul_i32 s4, s34, s21
	s_mul_hi_u32 s5, s34, s20
	s_load_dword s18, s[0:1], 0x90
	s_add_i32 s4, s5, s4
	s_mul_i32 s5, s35, s20
	s_add_i32 s5, s4, s5
	s_mul_i32 s4, s34, s20
	s_lshl_b64 s[0:1], s[4:5], 2
	s_add_u32 s16, s16, s0
	s_addc_u32 s17, s17, s1
	s_waitcnt lgkmcnt(0)
	s_add_i32 s18, s18, -1
	s_cmp_lg_u32 s2, s18
	s_cselect_b64 s[4:5], -1, 0
	v_mov_b32_e32 v8, 0
	v_cmp_eq_u32_e64 s[0:1], 0, v7
	s_and_b64 vcc, exec, s[4:5]
	s_cbranch_vccz .LBB79_21
; %bb.17:
	s_and_saveexec_b64 s[18:19], s[0:1]
	s_cbranch_execz .LBB79_20
; %bb.18:
	v_mad_u64_u32 v[0:1], s[22:23], v6, s20, 0
	v_mov_b32_e32 v2, v1
	v_mad_u64_u32 v[2:3], s[22:23], v6, s21, v[2:3]
	v_mov_b32_e32 v1, v2
	v_lshl_add_u64 v[0:1], v[0:1], 2, s[16:17]
	global_load_dword v0, v[0:1], off
	v_cmp_eq_f32_e64 s[22:23], s24, 0
	v_lshlrev_b32_e32 v1, 2, v6
	v_mov_b32_e32 v8, 0
	s_and_b64 vcc, exec, s[22:23]
	s_waitcnt vmcnt(0)
	ds_write_b32 v1, v0 offset:5120
	s_cbranch_vccnz .LBB79_20
; %bb.19:
	v_mad_u64_u32 v[0:1], s[22:23], v6, s6, 0
	v_mov_b32_e32 v2, v1
	v_mad_u64_u32 v[2:3], s[22:23], v6, s7, v[2:3]
	v_mov_b32_e32 v1, v2
	v_lshl_add_u64 v[0:1], v[0:1], 2, s[26:27]
	global_load_dword v0, v[0:1], off
	s_waitcnt vmcnt(0)
	v_mul_f32_e32 v8, s24, v0
.LBB79_20:
	s_or_b64 exec, exec, s[18:19]
	s_cbranch_execz .LBB79_22
	s_branch .LBB79_30
.LBB79_21:
                                        ; implicit-def: $vgpr8
.LBB79_22:
	v_mov_b32_e32 v8, 0
	s_and_saveexec_b64 s[18:19], s[0:1]
	s_cbranch_execz .LBB79_29
; %bb.23:
	v_cmp_le_i32_e32 vcc, s25, v6
                                        ; implicit-def: $sgpr2
	s_and_saveexec_b64 s[22:23], vcc
	s_xor_b64 s[22:23], exec, s[22:23]
	s_cbranch_execz .LBB79_25
; %bb.24:
	v_lshlrev_b32_e32 v0, 2, v6
	v_mov_b32_e32 v1, 0
	ds_write_b32 v0, v1 offset:5120
	s_mov_b32 s2, 0
.LBB79_25:
	s_or_saveexec_b64 s[22:23], s[22:23]
	v_mov_b32_e32 v8, s2
	s_xor_b64 exec, exec, s[22:23]
	s_cbranch_execz .LBB79_28
; %bb.26:
	v_mad_u64_u32 v[0:1], s[28:29], v6, s20, 0
	v_mov_b32_e32 v2, v1
	v_mad_u64_u32 v[2:3], s[20:21], v6, s21, v[2:3]
	v_mov_b32_e32 v1, v2
	v_lshl_add_u64 v[0:1], v[0:1], 2, s[16:17]
	global_load_dword v0, v[0:1], off
	v_cmp_eq_f32_e64 s[16:17], s24, 0
	v_lshlrev_b32_e32 v1, 2, v6
	v_mov_b32_e32 v8, 0
	s_and_b64 vcc, exec, s[16:17]
	s_waitcnt vmcnt(0)
	ds_write_b32 v1, v0 offset:5120
	s_cbranch_vccnz .LBB79_28
; %bb.27:
	v_mad_u64_u32 v[0:1], s[16:17], v6, s6, 0
	v_mov_b32_e32 v2, v1
	v_mad_u64_u32 v[2:3], s[16:17], v6, s7, v[2:3]
	v_mov_b32_e32 v1, v2
	v_lshl_add_u64 v[0:1], v[0:1], 2, s[26:27]
	global_load_dword v0, v[0:1], off
	s_waitcnt vmcnt(0)
	v_mul_f32_e32 v8, s24, v0
.LBB79_28:
	s_or_b64 exec, exec, s[22:23]
.LBB79_29:
	s_or_b64 exec, exec, s[18:19]
.LBB79_30:
	s_mul_i32 s2, s3, s15
	s_mul_hi_u32 s15, s3, s14
	s_add_i32 s15, s15, s2
	s_mul_i32 s14, s3, s14
	s_lshl_b64 s[14:15], s[14:15], 2
	s_add_u32 s2, s8, s14
	s_addc_u32 s3, s9, s15
	s_lshl_b64 s[10:11], s[10:11], 2
	s_add_u32 s18, s2, s10
	s_addc_u32 s19, s3, s11
	s_add_u32 s2, s12, 1
	s_addc_u32 s3, s13, 0
	s_mul_i32 s16, s2, s35
	s_mul_hi_u32 s17, s2, s34
	s_add_i32 s16, s17, s16
	s_mul_i32 s3, s3, s34
	s_add_i32 s3, s16, s3
	s_mul_i32 s2, s2, s34
	s_lshl_b64 s[16:17], s[2:3], 2
	s_add_u32 s2, s18, s16
	s_addc_u32 s3, s19, s17
	v_mad_u64_u32 v[2:3], s[18:19], v7, s12, 0
	v_mov_b32_e32 v1, 0
	v_mov_b32_e32 v0, v3
	v_mad_u64_u32 v[4:5], s[18:19], v7, s13, v[0:1]
	v_mov_b32_e32 v3, v4
	v_lshl_add_u64 v[2:3], v[2:3], 2, s[2:3]
	v_lshlrev_b32_e32 v0, 2, v6
	v_lshl_add_u32 v10, v7, 5, v6
	v_lshl_add_u64 v[2:3], v[2:3], 0, v[0:1]
	s_andn2_b64 vcc, exec, s[4:5]
	v_lshlrev_b32_e32 v9, 2, v10
	s_cbranch_vccnz .LBB79_32
; %bb.31:
	s_lshl_b64 s[2:3], s[12:13], 4
	v_lshl_add_u64 v[4:5], v[2:3], 0, s[2:3]
	global_load_dword v11, v[2:3], off
	global_load_dword v16, v[4:5], off
	v_lshl_add_u64 v[4:5], v[4:5], 0, s[2:3]
	v_mad_u64_u32 v[12:13], s[2:3], s12, 48, v[2:3]
	v_mov_b32_e32 v14, v13
	v_mad_u64_u32 v[14:15], s[2:3], s13, 48, v[14:15]
	s_lshl_b64 s[2:3], s[12:13], 5
	global_load_dword v17, v[4:5], off
	v_lshl_add_u64 v[4:5], v[4:5], 0, s[2:3]
	v_mov_b32_e32 v1, 0x50
	global_load_dword v18, v[4:5], off
	v_mad_u64_u32 v[4:5], s[2:3], s12, v1, v[2:3]
	s_mul_i32 s2, s13, 0x50
	v_mov_b32_e32 v1, 0x60
	v_mov_b32_e32 v13, v14
	v_add_u32_e32 v5, s2, v5
	v_mad_u64_u32 v[14:15], s[2:3], s12, v1, v[2:3]
	s_mul_i32 s2, s13, 0x60
	s_nop 0
	v_add_u32_e32 v15, s2, v15
	global_load_dword v19, v[12:13], off
	global_load_dword v20, v[4:5], off
	;; [unrolled: 1-line block ×3, first 2 shown]
	v_mov_b32_e32 v4, 0x70
	s_mul_i32 s20, s13, 0x70
	v_mad_u64_u32 v[4:5], s[2:3], s12, v4, v[2:3]
	v_add_u32_e32 v1, 0x380, v10
	v_add_u32_e32 v5, s20, v5
	s_mov_b64 s[2:3], -1
	s_waitcnt vmcnt(5)
	ds_write2st64_b32 v9, v11, v16 offset1:2
	s_waitcnt vmcnt(2)
	ds_write2st64_b32 v9, v17, v19 offset0:4 offset1:6
	s_waitcnt vmcnt(1)
	ds_write2st64_b32 v9, v18, v20 offset0:8 offset1:10
	s_waitcnt vmcnt(0)
	ds_write_b32 v9, v21 offset:3072
	s_cbranch_execz .LBB79_33
	s_branch .LBB79_51
.LBB79_32:
	s_mov_b64 s[2:3], 0
                                        ; implicit-def: $vgpr4_vgpr5
                                        ; implicit-def: $vgpr1
.LBB79_33:
	v_mov_b32_e32 v1, 0
	v_cmp_gt_i32_e32 vcc, s25, v6
	ds_write2st64_b32 v9, v1, v1 offset1:2
	ds_write2st64_b32 v9, v1, v1 offset0:4 offset1:6
	ds_write2st64_b32 v9, v1, v1 offset0:8 offset1:10
	;; [unrolled: 1-line block ×3, first 2 shown]
                                        ; implicit-def: $vgpr4_vgpr5
                                        ; implicit-def: $vgpr1
	s_and_saveexec_b64 s[18:19], vcc
	s_cbranch_execz .LBB79_50
; %bb.34:
	s_cmp_lt_u32 s25, 4
	s_mov_b32 s28, 0
	s_cbranch_scc1 .LBB79_47
; %bb.35:
	s_lshr_b32 s28, s25, 2
	s_cmp_lt_u32 s25, 8
	s_cbranch_scc1 .LBB79_39
; %bb.36:
	s_add_i32 s22, s28, -2
	s_cmp_lt_u32 s22, 2
	s_cbranch_scc1 .LBB79_40
; %bb.37:
	s_lshr_b32 s21, s22, 1
	s_add_i32 s21, s21, 1
	s_mov_b32 s20, 1
	s_and_b32 s23, s21, -2
	s_mov_b32 s21, 0
.LBB79_38:                              ; =>This Inner Loop Header: Depth=1
	s_lshl_b32 s29, s21, 2
	s_lshl_b32 s30, s20, 2
	s_add_i32 s40, s20, 2
	s_add_i32 s41, s21, 2
	s_mul_i32 s31, s13, s30
	s_mul_hi_u32 s35, s12, s30
	s_mul_i32 s36, s13, s29
	s_mul_hi_u32 s37, s12, s29
	s_mul_i32 s34, s12, s29
	s_lshl_b32 s29, s41, 2
	s_lshl_b32 s38, s40, 2
	s_add_i32 s31, s35, s31
	s_add_i32 s35, s37, s36
	s_mul_i32 s37, s13, s38
	s_mul_hi_u32 s39, s12, s38
	s_mul_i32 s42, s13, s29
	s_mul_hi_u32 s43, s12, s29
	s_mul_i32 s30, s12, s30
	s_mul_i32 s36, s12, s38
	;; [unrolled: 1-line block ×3, first 2 shown]
	v_lshl_add_u64 v[4:5], s[34:35], 2, v[2:3]
	s_add_i32 s37, s39, s37
	s_add_i32 s39, s43, s42
	v_lshl_add_u64 v[12:13], s[30:31], 2, v[2:3]
	v_lshl_add_u64 v[14:15], s[38:39], 2, v[2:3]
	;; [unrolled: 1-line block ×3, first 2 shown]
	global_load_dword v1, v[4:5], off
	global_load_dword v11, v[12:13], off
	;; [unrolled: 1-line block ×4, first 2 shown]
	s_lshl_b32 s29, s20, 7
	s_lshl_b32 s30, s21, 7
	s_add_i32 s21, s21, 4
	s_add_i32 s20, s20, 4
	s_add_i32 s23, s23, -2
	v_add_lshl_u32 v4, s30, v10, 2
	v_add_lshl_u32 v5, s29, v10, 2
	s_lshl_b32 s29, s40, 7
	s_lshl_b32 s30, s41, 7
	s_cmp_lg_u32 s23, 0
	v_add_lshl_u32 v12, s30, v10, 2
	v_add_lshl_u32 v13, s29, v10, 2
	s_waitcnt vmcnt(3)
	ds_write_b32 v4, v1
	s_waitcnt vmcnt(2)
	ds_write_b32 v5, v11
	;; [unrolled: 2-line block ×4, first 2 shown]
	s_cbranch_scc1 .LBB79_38
	s_branch .LBB79_41
.LBB79_39:
	s_mov_b64 s[22:23], -1
	s_mov_b32 s20, 0
	s_branch .LBB79_44
.LBB79_40:
	s_mov_b32 s21, 0
	s_mov_b32 s20, 1
.LBB79_41:
	s_bitcmp1_b32 s22, 1
	s_cbranch_scc1 .LBB79_43
; %bb.42:
	s_lshl_b32 s22, s20, 2
	s_lshl_b32 s29, s21, 2
	s_mul_i32 s23, s13, s22
	s_mul_hi_u32 s30, s12, s22
	s_add_i32 s23, s30, s23
	s_mul_i32 s30, s13, s29
	s_mul_hi_u32 s31, s12, s29
	s_add_i32 s31, s31, s30
	s_mul_i32 s30, s12, s29
	s_mul_i32 s22, s12, s22
	v_lshl_add_u64 v[4:5], s[30:31], 2, v[2:3]
	v_lshl_add_u64 v[12:13], s[22:23], 2, v[2:3]
	global_load_dword v1, v[4:5], off
	global_load_dword v11, v[12:13], off
	s_lshl_b32 s21, s21, 7
	s_lshl_b32 s20, s20, 7
	v_add_lshl_u32 v4, s21, v10, 2
	v_add_lshl_u32 v5, s20, v10, 2
	s_waitcnt vmcnt(1)
	ds_write_b32 v4, v1
	s_waitcnt vmcnt(0)
	ds_write_b32 v5, v11
.LBB79_43:
	s_and_b32 s20, s28, 0x3ffffffe
	s_cmp_lg_u32 s28, s20
	s_cselect_b64 s[22:23], -1, 0
.LBB79_44:
	s_and_b64 vcc, exec, s[22:23]
	s_cbranch_vccz .LBB79_47
; %bb.45:
	s_lshl_b32 s21, s20, 9
	s_sub_i32 s22, s28, s20
	s_add_u32 s14, s16, s14
	s_addc_u32 s15, s17, s15
	v_lshlrev_b32_e32 v1, 7, v7
	s_add_u32 s10, s10, s14
	v_add3_u32 v11, s21, v1, v0
	s_mov_b32 s21, 0
	v_lshlrev_b32_e32 v4, 2, v7
	v_mov_b32_e32 v5, 0
	s_addc_u32 s11, s11, s15
	v_lshl_add_u64 v[12:13], s[20:21], 4, v[4:5]
	v_mov_b64_e32 v[14:15], s[10:11]
	v_mad_u64_u32 v[14:15], s[10:11], s12, v12, v[14:15]
	v_mul_lo_u32 v1, s12, v13
	v_mul_lo_u32 v4, s13, v12
	v_add3_u32 v15, v4, v15, v1
	v_mov_b32_e32 v1, v5
	v_lshl_add_u64 v[4:5], v[14:15], 0, v[0:1]
	v_lshl_add_u64 v[4:5], s[8:9], 0, v[4:5]
	s_lshl_b64 s[8:9], s[12:13], 4
.LBB79_46:                              ; =>This Inner Loop Header: Depth=1
	global_load_dword v1, v[4:5], off
	s_add_i32 s22, s22, -1
	v_lshl_add_u64 v[4:5], v[4:5], 0, s[8:9]
	s_cmp_lg_u32 s22, 0
	s_waitcnt vmcnt(0)
	ds_write_b32 v11, v1
	v_add_u32_e32 v11, 0x200, v11
	s_cbranch_scc1 .LBB79_46
.LBB79_47:
	s_and_b32 s8, s25, 3
	v_cmp_gt_u32_e32 vcc, s8, v7
	s_mov_b64 s[10:11], s[2:3]
                                        ; implicit-def: $vgpr4_vgpr5
                                        ; implicit-def: $vgpr1
	s_and_saveexec_b64 s[8:9], vcc
; %bb.48:
	s_lshl_b32 s10, s28, 2
	s_mul_i32 s11, s10, s13
	s_mul_hi_u32 s13, s10, s12
	s_add_i32 s11, s13, s11
	s_mul_i32 s10, s10, s12
	v_lshl_add_u64 v[4:5], s[10:11], 2, v[2:3]
	v_lshl_add_u32 v1, s28, 7, v10
	s_or_b64 s[10:11], s[2:3], exec
; %bb.49:
	s_or_b64 exec, exec, s[8:9]
	s_andn2_b64 s[2:3], s[2:3], exec
	s_and_b64 s[8:9], s[10:11], exec
	s_or_b64 s[2:3], s[2:3], s[8:9]
.LBB79_50:
	s_or_b64 exec, exec, s[18:19]
.LBB79_51:
	s_and_saveexec_b64 s[8:9], s[2:3]
	s_cbranch_execz .LBB79_53
; %bb.52:
	global_load_dword v2, v[4:5], off
	v_lshlrev_b32_e32 v1, 2, v1
	s_waitcnt vmcnt(0)
	ds_write_b32 v1, v2
.LBB79_53:
	s_or_b64 exec, exec, s[8:9]
	v_cmp_ge_u32_e32 vcc, v6, v7
	v_lshlrev_b32_e32 v2, 5, v6
	s_waitcnt lgkmcnt(0)
	s_barrier
	s_and_saveexec_b64 s[2:3], vcc
	s_xor_b64 s[2:3], exec, s[2:3]
; %bb.54:
	v_lshlrev_b32_e32 v2, 5, v6
; %bb.55:
	s_andn2_saveexec_b64 s[2:3], s[2:3]
	s_cbranch_execz .LBB79_57
; %bb.56:
	v_add_lshl_u32 v1, v2, v7, 2
	ds_read_b32 v1, v1
	s_waitcnt lgkmcnt(0)
	ds_write_b32 v9, v1
.LBB79_57:
	s_or_b64 exec, exec, s[2:3]
	v_sub_u32_e32 v1, v6, v7
	v_sub_u32_e32 v3, 0, v1
	v_max_i32_e32 v4, v1, v3
	v_cmp_gt_u32_e32 vcc, 4, v4
	v_lshlrev_b32_e32 v1, 5, v7
	v_add_lshl_u32 v3, v2, v7, 2
	s_and_saveexec_b64 s[2:3], vcc
	s_cbranch_execnz .LBB79_75
; %bb.58:
	s_or_b64 exec, exec, s[2:3]
	v_cmp_gt_u32_e32 vcc, 8, v4
	s_and_saveexec_b64 s[2:3], vcc
	s_cbranch_execnz .LBB79_76
.LBB79_59:
	s_or_b64 exec, exec, s[2:3]
	v_cmp_gt_u32_e32 vcc, 12, v4
	s_and_saveexec_b64 s[2:3], vcc
	s_cbranch_execz .LBB79_61
.LBB79_60:
	ds_read_b32 v2, v3 offset:48
	v_add_lshl_u32 v5, v1, v6, 2
	s_waitcnt lgkmcnt(0)
	ds_write_b32 v5, v2 offset:1536
.LBB79_61:
	s_or_b64 exec, exec, s[2:3]
	v_add_u32_e32 v2, 16, v7
	v_cmp_gt_u32_e32 vcc, 16, v4
	v_lshlrev_b32_e32 v2, 5, v2
	s_and_saveexec_b64 s[2:3], vcc
	s_cbranch_execnz .LBB79_77
; %bb.62:
	s_or_b64 exec, exec, s[2:3]
	v_cmp_gt_u32_e32 vcc, 20, v4
	s_and_saveexec_b64 s[2:3], vcc
	s_cbranch_execnz .LBB79_78
.LBB79_63:
	s_or_b64 exec, exec, s[2:3]
	v_cmp_gt_u32_e32 vcc, 24, v4
	s_and_saveexec_b64 s[2:3], vcc
	s_cbranch_execz .LBB79_65
.LBB79_64:
	ds_read_b32 v5, v3 offset:96
	s_waitcnt lgkmcnt(0)
	ds_write_b32 v9, v5 offset:3072
.LBB79_65:
	s_or_b64 exec, exec, s[2:3]
	v_cmp_lt_u32_e32 vcc, 27, v4
	v_add_u32_e32 v4, 28, v7
                                        ; implicit-def: $vgpr5
	s_and_saveexec_b64 s[2:3], vcc
	s_xor_b64 s[2:3], exec, s[2:3]
; %bb.66:
	v_add_u32_e32 v4, 28, v7
	v_lshl_add_u32 v5, v4, 5, v6
                                        ; implicit-def: $vgpr3
; %bb.67:
	s_andn2_saveexec_b64 s[2:3], s[2:3]
	s_cbranch_execz .LBB79_69
; %bb.68:
	ds_read_b32 v3, v3 offset:112
	v_lshl_add_u32 v5, v4, 5, v6
	v_lshlrev_b32_e32 v10, 2, v5
	s_waitcnt lgkmcnt(0)
	ds_write_b32 v10, v3
.LBB79_69:
	s_or_b64 exec, exec, s[2:3]
	v_lshlrev_b32_e32 v7, 2, v7
	s_waitcnt lgkmcnt(0)
	s_barrier
	ds_read_b32 v3, v9
	v_add_u32_e32 v16, 0x1400, v7
	v_add_lshl_u32 v1, v1, v6, 2
	ds_read2_b32 v[10:11], v16 offset1:4
	ds_read2_b32 v[12:13], v16 offset0:8 offset1:12
	ds_read2st64_b32 v[14:15], v1 offset0:2 offset1:4
	v_lshlrev_b32_e32 v5, 2, v5
	v_lshlrev_b32_e32 v4, 2, v4
	ds_read_b32 v17, v5
	ds_read_b32 v18, v4 offset:5120
	ds_read2st64_b32 v[4:5], v1 offset0:6 offset1:10
	s_waitcnt lgkmcnt(5)
	v_fma_f32 v10, v3, v10, 0
	s_waitcnt lgkmcnt(3)
	v_fmac_f32_e32 v10, v14, v11
	v_add_lshl_u32 v11, v2, v6, 2
	ds_read2_b32 v[2:3], v16 offset0:16 offset1:20
	ds_read_b32 v11, v11
	ds_read_b32 v1, v1 offset:3072
	ds_read_b32 v7, v7 offset:5216
	v_fmac_f32_e32 v10, v15, v12
	s_waitcnt lgkmcnt(4)
	v_fmac_f32_e32 v10, v4, v13
	s_waitcnt lgkmcnt(2)
	v_fmac_f32_e32 v10, v11, v2
	v_fmac_f32_e32 v10, v5, v3
	s_waitcnt lgkmcnt(0)
	v_fmac_f32_e32 v10, v1, v7
	v_fmac_f32_e32 v10, v17, v18
	ds_write_b32 v9, v10 offset:4096
	s_waitcnt lgkmcnt(0)
	s_barrier
	s_and_saveexec_b64 s[2:3], s[0:1]
	s_cbranch_execz .LBB79_12
; %bb.70:
	v_add_u32_e32 v2, 0x1000, v0
	ds_read2_b32 v[0:1], v2 offset1:32
	ds_read2_b32 v[2:3], v2 offset0:64 offset1:96
	v_cmp_neq_f32_e64 vcc, s24, 0
	s_mov_b64 s[0:1], -1
	s_waitcnt lgkmcnt(1)
	v_add_f32_e32 v0, 0, v0
	v_add_f32_e32 v0, v0, v1
	s_waitcnt lgkmcnt(0)
	v_add_f32_e32 v0, v0, v2
	v_add_f32_e32 v0, v0, v3
	v_mul_f32_e32 v1, s33, v0
	v_fmac_f32_e32 v8, s33, v0
	v_cndmask_b32_e32 v0, v1, v8, vcc
	s_and_b64 vcc, exec, s[4:5]
	s_cbranch_vccz .LBB79_72
; %bb.71:
	v_mad_u64_u32 v[2:3], s[0:1], v6, s6, 0
	v_mov_b32_e32 v4, v3
	v_mad_u64_u32 v[4:5], s[0:1], v6, s7, v[4:5]
	v_mov_b32_e32 v3, v4
	v_lshl_add_u64 v[2:3], v[2:3], 2, s[26:27]
	global_store_dword v[2:3], v0, off
	s_mov_b64 s[0:1], 0
.LBB79_72:
	s_andn2_b64 vcc, exec, s[0:1]
	s_cbranch_vccnz .LBB79_12
; %bb.73:
	v_cmp_gt_i32_e32 vcc, s25, v6
	s_and_b64 exec, exec, vcc
	s_cbranch_execz .LBB79_12
; %bb.74:
	v_mad_u64_u32 v[2:3], s[0:1], v6, s6, 0
	v_mov_b32_e32 v4, v3
	v_mad_u64_u32 v[4:5], s[0:1], v6, s7, v[4:5]
	v_mov_b32_e32 v3, v4
	v_lshl_add_u64 v[2:3], v[2:3], 2, s[26:27]
	global_store_dword v[2:3], v0, off
	s_endpgm
.LBB79_75:
	ds_read_b32 v2, v3 offset:16
	v_add_lshl_u32 v5, v1, v6, 2
	s_waitcnt lgkmcnt(0)
	ds_write_b32 v5, v2 offset:512
	s_or_b64 exec, exec, s[2:3]
	v_cmp_gt_u32_e32 vcc, 8, v4
	s_and_saveexec_b64 s[2:3], vcc
	s_cbranch_execz .LBB79_59
.LBB79_76:
	ds_read_b32 v2, v3 offset:32
	v_add_lshl_u32 v5, v1, v6, 2
	s_waitcnt lgkmcnt(0)
	ds_write_b32 v5, v2 offset:1024
	s_or_b64 exec, exec, s[2:3]
	v_cmp_gt_u32_e32 vcc, 12, v4
	s_and_saveexec_b64 s[2:3], vcc
	s_cbranch_execnz .LBB79_60
	s_branch .LBB79_61
.LBB79_77:
	ds_read_b32 v5, v3 offset:64
	v_add_lshl_u32 v10, v2, v6, 2
	s_waitcnt lgkmcnt(0)
	ds_write_b32 v10, v5
	s_or_b64 exec, exec, s[2:3]
	v_cmp_gt_u32_e32 vcc, 20, v4
	s_and_saveexec_b64 s[2:3], vcc
	s_cbranch_execz .LBB79_63
.LBB79_78:
	ds_read_b32 v5, v3 offset:80
	s_waitcnt lgkmcnt(0)
	ds_write_b32 v9, v5 offset:2560
	s_or_b64 exec, exec, s[2:3]
	v_cmp_gt_u32_e32 vcc, 24, v4
	s_and_saveexec_b64 s[2:3], vcc
	s_cbranch_execnz .LBB79_64
	s_branch .LBB79_65
	.section	.rodata,"a",@progbits
	.p2align	6, 0x0
	.amdhsa_kernel _ZL58rocblas_symv_kernel_lower_double_buffered_diagonal_genericILi32ELi4E24rocblas_internal_val_ptrIfEPKfPfEvbiT1_lT2_lllS6_lllS5_lT3_lllii
		.amdhsa_group_segment_fixed_size 5248
		.amdhsa_private_segment_fixed_size 0
		.amdhsa_kernarg_size 400
		.amdhsa_user_sgpr_count 2
		.amdhsa_user_sgpr_dispatch_ptr 0
		.amdhsa_user_sgpr_queue_ptr 0
		.amdhsa_user_sgpr_kernarg_segment_ptr 1
		.amdhsa_user_sgpr_dispatch_id 0
		.amdhsa_user_sgpr_kernarg_preload_length 0
		.amdhsa_user_sgpr_kernarg_preload_offset 0
		.amdhsa_user_sgpr_private_segment_size 0
		.amdhsa_uses_dynamic_stack 0
		.amdhsa_enable_private_segment 0
		.amdhsa_system_sgpr_workgroup_id_x 1
		.amdhsa_system_sgpr_workgroup_id_y 0
		.amdhsa_system_sgpr_workgroup_id_z 1
		.amdhsa_system_sgpr_workgroup_info 0
		.amdhsa_system_vgpr_workitem_id 1
		.amdhsa_next_free_vgpr 22
		.amdhsa_next_free_sgpr 44
		.amdhsa_accum_offset 24
		.amdhsa_reserve_vcc 1
		.amdhsa_float_round_mode_32 0
		.amdhsa_float_round_mode_16_64 0
		.amdhsa_float_denorm_mode_32 3
		.amdhsa_float_denorm_mode_16_64 3
		.amdhsa_dx10_clamp 1
		.amdhsa_ieee_mode 1
		.amdhsa_fp16_overflow 0
		.amdhsa_tg_split 0
		.amdhsa_exception_fp_ieee_invalid_op 0
		.amdhsa_exception_fp_denorm_src 0
		.amdhsa_exception_fp_ieee_div_zero 0
		.amdhsa_exception_fp_ieee_overflow 0
		.amdhsa_exception_fp_ieee_underflow 0
		.amdhsa_exception_fp_ieee_inexact 0
		.amdhsa_exception_int_div_zero 0
	.end_amdhsa_kernel
	.section	.text._ZL58rocblas_symv_kernel_lower_double_buffered_diagonal_genericILi32ELi4E24rocblas_internal_val_ptrIfEPKfPfEvbiT1_lT2_lllS6_lllS5_lT3_lllii,"axG",@progbits,_ZL58rocblas_symv_kernel_lower_double_buffered_diagonal_genericILi32ELi4E24rocblas_internal_val_ptrIfEPKfPfEvbiT1_lT2_lllS6_lllS5_lT3_lllii,comdat
.Lfunc_end79:
	.size	_ZL58rocblas_symv_kernel_lower_double_buffered_diagonal_genericILi32ELi4E24rocblas_internal_val_ptrIfEPKfPfEvbiT1_lT2_lllS6_lllS5_lT3_lllii, .Lfunc_end79-_ZL58rocblas_symv_kernel_lower_double_buffered_diagonal_genericILi32ELi4E24rocblas_internal_val_ptrIfEPKfPfEvbiT1_lT2_lllS6_lllS5_lT3_lllii
                                        ; -- End function
	.section	.AMDGPU.csdata,"",@progbits
; Kernel info:
; codeLenInByte = 3112
; NumSgprs: 50
; NumVgprs: 22
; NumAgprs: 0
; TotalNumVgprs: 22
; ScratchSize: 0
; MemoryBound: 0
; FloatMode: 240
; IeeeMode: 1
; LDSByteSize: 5248 bytes/workgroup (compile time only)
; SGPRBlocks: 6
; VGPRBlocks: 2
; NumSGPRsForWavesPerEU: 50
; NumVGPRsForWavesPerEU: 22
; AccumOffset: 24
; Occupancy: 6
; WaveLimiterHint : 0
; COMPUTE_PGM_RSRC2:SCRATCH_EN: 0
; COMPUTE_PGM_RSRC2:USER_SGPR: 2
; COMPUTE_PGM_RSRC2:TRAP_HANDLER: 0
; COMPUTE_PGM_RSRC2:TGID_X_EN: 1
; COMPUTE_PGM_RSRC2:TGID_Y_EN: 0
; COMPUTE_PGM_RSRC2:TGID_Z_EN: 1
; COMPUTE_PGM_RSRC2:TIDIG_COMP_CNT: 1
; COMPUTE_PGM_RSRC3_GFX90A:ACCUM_OFFSET: 5
; COMPUTE_PGM_RSRC3_GFX90A:TG_SPLIT: 0
	.section	.text._ZL62rocblas_symv_kernel_lower_double_buffered_non_diagonal_genericILi32ELi4ELi4E24rocblas_internal_val_ptrIfEPKfPfEvbiT2_lT3_lllS6_lllT4_lllii,"axG",@progbits,_ZL62rocblas_symv_kernel_lower_double_buffered_non_diagonal_genericILi32ELi4ELi4E24rocblas_internal_val_ptrIfEPKfPfEvbiT2_lT3_lllS6_lllT4_lllii,comdat
	.globl	_ZL62rocblas_symv_kernel_lower_double_buffered_non_diagonal_genericILi32ELi4ELi4E24rocblas_internal_val_ptrIfEPKfPfEvbiT2_lT3_lllS6_lllT4_lllii ; -- Begin function _ZL62rocblas_symv_kernel_lower_double_buffered_non_diagonal_genericILi32ELi4ELi4E24rocblas_internal_val_ptrIfEPKfPfEvbiT2_lT3_lllS6_lllT4_lllii
	.p2align	8
	.type	_ZL62rocblas_symv_kernel_lower_double_buffered_non_diagonal_genericILi32ELi4ELi4E24rocblas_internal_val_ptrIfEPKfPfEvbiT2_lT3_lllS6_lllT4_lllii,@function
_ZL62rocblas_symv_kernel_lower_double_buffered_non_diagonal_genericILi32ELi4ELi4E24rocblas_internal_val_ptrIfEPKfPfEvbiT2_lT3_lllS6_lllT4_lllii: ; @_ZL62rocblas_symv_kernel_lower_double_buffered_non_diagonal_genericILi32ELi4ELi4E24rocblas_internal_val_ptrIfEPKfPfEvbiT2_lT3_lllS6_lllT4_lllii
; %bb.0:
	s_load_dword s5, s[0:1], 0x0
	s_load_dwordx16 s[8:23], s[0:1], 0x8
	s_waitcnt lgkmcnt(0)
	s_bitcmp0_b32 s5, 0
	s_cbranch_scc0 .LBB80_2
; %bb.1:
	s_mul_i32 s5, s4, s11
	s_mul_hi_u32 s6, s4, s10
	s_add_i32 s7, s6, s5
	s_mul_i32 s6, s4, s10
	s_lshl_b64 s[6:7], s[6:7], 2
	s_add_u32 s6, s8, s6
	s_addc_u32 s7, s9, s7
	s_load_dword s33, s[6:7], 0x0
	s_cbranch_execz .LBB80_3
	s_branch .LBB80_4
.LBB80_2:
                                        ; implicit-def: $sgpr33
.LBB80_3:
	s_waitcnt lgkmcnt(0)
	s_mov_b32 s33, s8
.LBB80_4:
	s_waitcnt lgkmcnt(0)
	v_cmp_eq_f32_e64 s[6:7], s33, 0
	s_and_b64 vcc, exec, s[6:7]
	s_cbranch_vccnz .LBB80_33
; %bb.5:
	s_load_dwordx2 s[8:9], s[0:1], 0x80
	s_waitcnt lgkmcnt(0)
	v_cvt_f32_u32_e32 v1, s9
	s_add_i32 s5, s8, -1
	s_cmp_eq_u32 s2, s5
	v_rcp_iflag_f32_e32 v1, v1
	s_nop 0
	v_mul_f32_e32 v1, 0x4f7ffffe, v1
	v_cvt_u32_f32_e32 v1, v1
	s_nop 0
	v_readfirstlane_b32 s6, v1
	s_cbranch_scc1 .LBB80_33
; %bb.6:
	s_not_b32 s7, s2
	s_load_dwordx4 s[24:27], s[0:1], 0x48
	s_add_i32 s5, s5, s7
	s_sub_i32 s7, 0, s9
	s_mul_i32 s7, s7, s6
	s_mul_hi_u32 s7, s6, s7
	s_add_i32 s6, s6, s7
	s_mul_hi_u32 s34, s5, s6
	s_waitcnt lgkmcnt(0)
	s_mul_i32 s6, s4, s27
	s_mul_hi_u32 s7, s4, s26
	s_add_i32 s7, s7, s6
	s_mul_i32 s6, s4, s26
	s_lshl_b64 s[28:29], s[6:7], 2
	s_add_u32 s6, s20, s28
	s_addc_u32 s7, s21, s29
	s_lshl_b64 s[22:23], s[22:23], 2
	s_add_u32 s10, s6, s22
	s_addc_u32 s11, s7, s23
	s_lshl_b32 s30, s2, 5
	s_ashr_i32 s31, s30, 31
	s_mul_i32 s6, s30, s25
	s_mul_hi_u32 s7, s30, s24
	s_add_i32 s6, s7, s6
	s_mul_i32 s7, s31, s24
	s_add_i32 s7, s6, s7
	s_mul_i32 s6, s30, s24
	s_lshl_b64 s[6:7], s[6:7], 2
	v_and_b32_e32 v34, 0x3ff, v0
	v_bfe_u32 v0, v0, 10, 10
	s_add_u32 s10, s10, s6
	s_addc_u32 s11, s11, s7
	v_cmp_eq_u32_e64 s[6:7], 0, v0
	s_and_saveexec_b64 s[26:27], s[6:7]
	s_cbranch_execz .LBB80_8
; %bb.7:
	v_mad_u64_u32 v[2:3], s[36:37], v34, s24, 0
	v_mov_b32_e32 v4, v3
	v_mad_u64_u32 v[4:5], s[36:37], v34, s25, v[4:5]
	v_mov_b32_e32 v3, v4
	v_lshl_add_u64 v[2:3], v[2:3], 2, s[10:11]
	global_load_dword v1, v[2:3], off
	v_lshlrev_b32_e32 v2, 2, v34
	s_waitcnt vmcnt(0)
	ds_write_b32 v2, v1 offset:3072
.LBB80_8:
	s_or_b64 exec, exec, s[26:27]
	s_mul_i32 s26, s34, s9
	s_sub_i32 s26, s5, s26
	s_add_i32 s27, s34, 1
	s_sub_i32 s35, s26, s9
	s_cmp_ge_u32 s26, s9
	s_cselect_b32 s27, s27, s34
	s_cselect_b32 s26, s35, s26
	s_add_i32 s34, s27, 1
	s_cmp_ge_u32 s26, s9
	s_cselect_b32 s34, s34, s27
	s_add_i32 s35, s9, -1
	s_cmp_eq_u32 s3, s35
	s_cselect_b64 s[26:27], -1, 0
	s_cmp_lg_u32 s3, s35
	s_mov_b32 s38, s34
	s_cbranch_scc1 .LBB80_10
; %bb.9:
	s_mul_i32 s9, s34, s9
	s_sub_i32 s5, s5, s9
	s_add_i32 s38, s5, s34
.LBB80_10:
	s_cmp_lg_u32 s3, s35
	s_cselect_b64 s[36:37], -1, 0
	s_cmp_eq_u32 s38, 0
	s_cselect_b64 s[40:41], -1, 0
	s_and_b64 s[36:37], s[36:37], s[40:41]
	s_and_b64 vcc, exec, s[36:37]
	s_cbranch_vccnz .LBB80_33
; %bb.11:
	s_mul_i32 s3, s3, s34
	s_lshl_b32 s34, s3, 5
	s_mul_i32 s3, s4, s19
	s_mul_hi_u32 s5, s4, s18
	s_add_i32 s19, s5, s3
	s_mul_i32 s18, s4, s18
	s_ashr_i32 s35, s34, 31
	s_lshl_b64 s[18:19], s[18:19], 2
	s_add_u32 s3, s12, s18
	s_addc_u32 s5, s13, s19
	s_lshl_b64 s[12:13], s[14:15], 2
	s_add_u32 s3, s3, s12
	s_addc_u32 s5, s5, s13
	s_add_u32 s9, s16, 1
	s_addc_u32 s12, s17, 0
	s_mul_i32 s13, s9, s31
	s_mul_hi_u32 s14, s9, s30
	s_add_i32 s13, s14, s13
	s_mul_i32 s12, s12, s30
	s_add_i32 s13, s13, s12
	s_mul_i32 s12, s9, s30
	s_lshl_b64 s[12:13], s[12:13], 2
	s_add_u32 s3, s3, s12
	s_addc_u32 s5, s5, s13
	s_lshl_b64 s[18:19], s[34:35], 2
	s_add_u32 s12, s3, s18
	s_addc_u32 s13, s5, s19
	s_mul_i32 s3, s34, s25
	s_mul_hi_u32 s5, s34, s24
	s_add_i32 s3, s5, s3
	s_mul_i32 s5, s35, s24
	s_add_i32 s15, s3, s5
	s_mul_i32 s14, s34, s24
	v_lshl_add_u32 v0, v0, 5, v34
	s_lshl_b64 s[14:15], s[14:15], 2
	v_lshrrev_b32_e32 v35, 4, v0
	s_load_dwordx2 s[36:37], s[0:1], 0x58
	s_add_u32 s39, s10, s14
	v_and_b32_e32 v4, 15, v34
	v_lshlrev_b32_e32 v36, 2, v35
	v_mov_b32_e32 v5, 0
	s_addc_u32 s40, s11, s15
	v_mad_u64_u32 v[8:9], s[10:11], v36, s16, v[4:5]
	v_mov_b32_e32 v2, v9
	v_mad_u64_u32 v[2:3], s[10:11], v36, s17, v[2:3]
	s_lshl_b64 s[14:15], s[24:25], 5
	s_add_i32 s3, s8, -2
	v_mov_b32_e32 v9, v2
	s_cmp_ge_u32 s2, s3
	s_waitcnt lgkmcnt(0)
	s_barrier
	s_cbranch_scc1 .LBB80_13
; %bb.12:
	v_lshl_add_u64 v[2:3], v[8:9], 2, s[12:13]
	global_load_dword v41, v[2:3], off offset:128
	v_lshl_add_u64 v[6:7], s[16:17], 2, v[2:3]
	v_lshl_add_u64 v[10:11], s[16:17], 3, v[2:3]
	v_mad_u64_u32 v[2:3], s[8:9], s16, 12, v[2:3]
	global_load_dword v42, v[6:7], off offset:128
	global_load_dword v43, v[10:11], off offset:128
	v_mov_b32_e32 v6, v3
	v_mad_u64_u32 v[6:7], s[8:9], s17, 12, v[6:7]
	v_mov_b32_e32 v3, v6
	global_load_dword v44, v[2:3], off offset:128
	v_mad_u64_u32 v[2:3], s[8:9], v4, s24, 0
	s_lshl_b64 s[2:3], s[14:15], 2
	v_mov_b32_e32 v6, v3
	s_add_u32 s2, s39, s2
	v_mad_u64_u32 v[6:7], s[8:9], v4, s25, v[6:7]
	s_addc_u32 s3, s40, s3
	v_mov_b32_e32 v3, v6
	v_lshl_add_u64 v[2:3], v[2:3], 2, s[2:3]
	global_load_dword v5, v[2:3], off
	s_branch .LBB80_14
.LBB80_13:
                                        ; implicit-def: $vgpr41
                                        ; implicit-def: $vgpr42
                                        ; implicit-def: $vgpr43
                                        ; implicit-def: $vgpr44
.LBB80_14:
	s_load_dwordx2 s[2:3], s[0:1], 0x70
	s_load_dwordx4 s[8:11], s[0:1], 0x60
	v_mov_b32_e32 v6, 0
	v_lshlrev_b32_e32 v37, 2, v4
	s_waitcnt lgkmcnt(0)
	s_mul_i32 s3, s4, s3
	s_mul_hi_u32 s5, s4, s2
	s_mul_i32 s2, s4, s2
	s_add_i32 s3, s5, s3
	s_lshl_b64 s[2:3], s[2:3], 2
	s_add_u32 s4, s36, s2
	s_addc_u32 s5, s37, s3
	s_lshl_b64 s[2:3], s[8:9], 2
	s_add_u32 s4, s4, s2
	s_addc_u32 s5, s5, s3
	s_mul_i32 s2, s30, s11
	s_mul_hi_u32 s3, s30, s10
	s_add_i32 s2, s3, s2
	s_mul_i32 s3, s31, s10
	s_add_i32 s3, s2, s3
	s_mul_i32 s2, s30, s10
	s_lshl_b64 s[2:3], s[2:3], 2
	s_add_u32 s2, s4, s2
	s_addc_u32 s3, s5, s3
	s_mul_i32 s4, s34, s11
	s_mul_hi_u32 s5, s34, s10
	s_add_i32 s4, s5, s4
	s_mul_i32 s5, s35, s10
	s_add_i32 s5, s4, s5
	s_mul_i32 s4, s34, s10
	s_lshl_b64 s[4:5], s[4:5], 2
	s_add_u32 s34, s2, s4
	s_addc_u32 s35, s3, s5
	s_cmp_lt_i32 s38, 1
	s_cbranch_scc1 .LBB80_22
; %bb.15:
	v_mad_u64_u32 v[12:13], s[8:9], v34, s10, 0
	v_mov_b32_e32 v2, v13
	v_mad_u64_u32 v[2:3], s[8:9], v34, s11, v[2:3]
	v_mov_b32_e32 v13, v2
	;; [unrolled: 2-line block ×3, first 2 shown]
	v_lshl_or_b32 v1, v35, 7, v37
	v_mad_u64_u32 v[6:7], s[8:9], s17, v35, v[6:7]
	v_add_u32_e32 v45, 0x800, v1
	v_mov_b32_e32 v1, 0xc00
	v_mov_b32_e32 v3, v6
	v_lshlrev_b32_e32 v6, 2, v4
	v_mov_b32_e32 v7, 0
	v_lshl_add_u32 v46, v36, 2, v1
	v_mov_b32_e32 v1, 0x800
	v_lshl_add_u64 v[14:15], v[2:3], 4, v[6:7]
	v_and_b32_e32 v2, 0xfff0, v0
	v_lshl_add_u32 v47, v34, 2, v1
	v_or_b32_e32 v1, 8, v2
	v_mad_u64_u32 v[16:17], s[8:9], s16, v1, v[6:7]
	v_mov_b32_e32 v0, v17
	v_mad_u64_u32 v[0:1], s[8:9], s17, v1, v[0:1]
	v_or_b32_e32 v1, 12, v2
	v_mad_u64_u32 v[18:19], s[8:9], s16, v1, v[6:7]
	v_mov_b32_e32 v17, v0
	v_mov_b32_e32 v0, v19
	v_mad_u64_u32 v[0:1], s[8:9], s17, v1, v[0:1]
	v_or_b32_e32 v1, 4, v2
	v_mad_u64_u32 v[20:21], s[8:9], s16, v1, v[6:7]
	v_mov_b32_e32 v19, v0
	v_mov_b32_e32 v0, v21
	v_mad_u64_u32 v[0:1], s[8:9], s17, v1, v[0:1]
	s_lshl_b64 s[4:5], s[10:11], 7
	s_lshl_b64 s[8:9], s[30:31], 2
	s_add_u32 s18, s18, s8
	s_addc_u32 s19, s19, s9
	s_mul_i32 s8, s24, s19
	s_mul_hi_u32 s9, s24, s18
	s_add_i32 s8, s9, s8
	s_mul_i32 s9, s25, s18
	s_add_i32 s8, s8, s9
	s_mul_i32 s9, s24, s18
	s_add_u32 s9, s28, s9
	s_addc_u32 s8, s29, s8
	s_add_u32 s30, s20, s9
	v_mov_b32_e32 v21, v0
	s_addc_u32 s31, s21, s8
	s_lshl_b64 s[8:9], s[24:25], 7
	v_lshl_add_u64 v[0:1], s[18:19], 0, v[6:7]
	s_mov_b64 s[18:19], 0xc0
	v_lshl_add_u64 v[2:3], v[0:1], 0, s[18:19]
	s_add_u32 s18, s20, s28
	s_addc_u32 s19, s21, s29
	v_mov_b64_e32 v[10:11], s[18:19]
	v_mad_u64_u32 v[22:23], s[18:19], s24, v2, v[10:11]
	s_mov_b64 s[18:19], 0x100
	s_nop 0
	v_lshl_add_u64 v[0:1], v[0:1], 0, s[18:19]
	v_mul_lo_u32 v3, s24, v3
	v_mul_lo_u32 v6, s25, v2
	;; [unrolled: 1-line block ×4, first 2 shown]
	v_mad_u64_u32 v[24:25], s[18:19], s24, v0, v[10:11]
	v_add3_u32 v23, v6, v23, v3
	v_add3_u32 v25, v2, v25, v1
	v_mov_b64_e32 v[10:11], s[34:35]
	v_mov_b32_e32 v39, v7
	v_mov_b32_e32 v38, v7
	;; [unrolled: 1-line block ×3, first 2 shown]
	s_waitcnt vmcnt(4)
	v_mov_b32_e32 v49, v41
	s_waitcnt vmcnt(3)
	v_mov_b32_e32 v50, v42
	;; [unrolled: 2-line block ×4, first 2 shown]
.LBB80_16:                              ; =>This Inner Loop Header: Depth=1
	v_lshl_add_u64 v[0:1], v[22:23], 0, s[22:23]
	v_lshl_add_u64 v[26:27], s[12:13], 0, v[14:15]
	global_load_dword v40, v[0:1], off
	v_lshl_add_u64 v[28:29], s[12:13], 0, v[20:21]
	v_lshl_add_u64 v[30:31], s[12:13], 0, v[16:17]
	v_lshl_add_u64 v[32:33], s[12:13], 0, v[18:19]
	global_load_dword v56, v[26:27], off offset:192
	global_load_dword v55, v[28:29], off offset:192
	global_load_dword v54, v[30:31], off offset:192
	global_load_dword v53, v[32:33], off offset:192
	ds_read_b128 v[0:3], v46
	s_cmp_eq_u32 s38, 1
	s_waitcnt vmcnt(5)
	v_mov_b32_e32 v48, v5
	s_cbranch_scc1 .LBB80_18
; %bb.17:                               ;   in Loop: Header=BB80_16 Depth=1
	global_load_dword v49, v[26:27], off offset:256
	global_load_dword v50, v[28:29], off offset:256
	;; [unrolled: 1-line block ×4, first 2 shown]
	v_lshl_add_u64 v[26:27], v[24:25], 0, s[22:23]
	global_load_dword v48, v[26:27], off
.LBB80_18:                              ;   in Loop: Header=BB80_16 Depth=1
	s_waitcnt lgkmcnt(0)
	v_fma_f32 v26, v41, v0, 0
	s_waitcnt vmcnt(3)
	v_fma_f32 v0, v56, v0, 0
	v_fmac_f32_e32 v26, v42, v1
	s_waitcnt vmcnt(2)
	v_fmac_f32_e32 v0, v55, v1
	v_fmac_f32_e32 v26, v43, v2
	s_waitcnt vmcnt(1)
	v_fmac_f32_e32 v0, v54, v2
	;; [unrolled: 3-line block ×3, first 2 shown]
	s_barrier
	ds_write2_b32 v45, v26, v0 offset1:16
	s_waitcnt lgkmcnt(0)
	s_barrier
	s_and_saveexec_b64 s[18:19], s[6:7]
	s_cbranch_execz .LBB80_20
; %bb.19:                               ;   in Loop: Header=BB80_16 Depth=1
	ds_read2_b32 v[0:1], v47 offset1:32
	ds_read2_b32 v[2:3], v47 offset0:64 offset1:96
	ds_read2_b32 v[26:27], v47 offset0:128 offset1:160
	;; [unrolled: 1-line block ×3, first 2 shown]
	v_lshl_add_u64 v[10:11], v[10:11], 0, s[4:5]
	s_waitcnt lgkmcnt(3)
	v_add_f32_e32 v0, 0, v0
	v_add_f32_e32 v0, v0, v1
	s_waitcnt lgkmcnt(2)
	v_add_f32_e32 v0, v0, v2
	v_add_f32_e32 v0, v0, v3
	;; [unrolled: 3-line block ×4, first 2 shown]
	v_lshl_add_u64 v[0:1], v[12:13], 2, v[10:11]
	v_mul_f32_e32 v2, s33, v2
	global_atomic_add_f32 v[0:1], v2, off
.LBB80_20:                              ;   in Loop: Header=BB80_16 Depth=1
	s_or_b64 exec, exec, s[18:19]
	s_add_u32 s12, s12, 0x80
	s_addc_u32 s13, s13, 0
	s_add_i32 s38, s38, -1
	s_add_u32 s30, s30, s8
	s_addc_u32 s31, s31, s9
	s_add_u32 s39, s30, s22
	v_fmac_f32_e32 v7, v5, v41
	v_fmac_f32_e32 v39, v5, v42
	;; [unrolled: 1-line block ×4, first 2 shown]
	s_addc_u32 s40, s31, s23
	v_fmac_f32_e32 v7, v40, v56
	v_fmac_f32_e32 v39, v40, v55
	;; [unrolled: 1-line block ×4, first 2 shown]
	v_lshl_add_u64 v[22:23], v[22:23], 0, s[8:9]
	s_cmp_eq_u32 s38, 0
	v_lshl_add_u64 v[24:25], v[24:25], 0, s[8:9]
	s_cbranch_scc1 .LBB80_23
; %bb.21:                               ;   in Loop: Header=BB80_16 Depth=1
	v_mov_b32_e32 v5, v48
	v_mov_b32_e32 v41, v49
	;; [unrolled: 1-line block ×5, first 2 shown]
	s_branch .LBB80_16
.LBB80_22:
	v_mov_b64_e32 v[10:11], s[34:35]
	v_mov_b32_e32 v38, 0
	v_mov_b32_e32 v39, 0
	;; [unrolled: 1-line block ×4, first 2 shown]
	s_waitcnt vmcnt(0)
	v_mov_b32_e32 v48, v5
.LBB80_23:
	s_and_b64 vcc, exec, s[26:27]
	s_cbranch_vccz .LBB80_31
; %bb.24:
	s_load_dword s8, s[0:1], 0x78
	s_lshl_b64 s[0:1], s[14:15], 2
	s_add_u32 s0, s39, s0
	v_mov_b32_e32 v0, 0
	s_addc_u32 s1, s40, s1
	s_waitcnt lgkmcnt(0)
	v_cmp_gt_i32_e32 vcc, s8, v4
	v_mov_b32_e32 v3, 0
	v_mov_b32_e32 v5, 0
	;; [unrolled: 1-line block ×4, first 2 shown]
	s_and_saveexec_b64 s[4:5], vcc
	s_cbranch_execz .LBB80_26
; %bb.25:
	v_lshl_add_u64 v[14:15], v[8:9], 2, s[12:13]
	v_lshl_add_u64 v[16:17], s[16:17], 2, v[14:15]
	;; [unrolled: 1-line block ×3, first 2 shown]
	global_load_dword v3, v[14:15], off offset:128
	global_load_dword v5, v[16:17], off offset:128
	;; [unrolled: 1-line block ×3, first 2 shown]
	v_mad_u64_u32 v[14:15], s[14:15], s16, 12, v[14:15]
	v_mov_b32_e32 v2, v15
	s_waitcnt vmcnt(2)
	v_mad_u64_u32 v[16:17], s[14:15], s17, 12, v[2:3]
	v_mov_b32_e32 v15, v16
	v_mad_u64_u32 v[16:17], s[14:15], v4, s24, 0
	v_mov_b32_e32 v2, v17
	;; [unrolled: 2-line block ×3, first 2 shown]
	v_lshl_add_u64 v[16:17], v[16:17], 2, s[0:1]
	global_load_dword v14, v[14:15], off offset:128
	s_nop 0
	global_load_dword v48, v[16:17], off
.LBB80_26:
	s_or_b64 exec, exec, s[4:5]
	v_or_b32_e32 v15, 16, v4
	v_cmp_gt_i32_e32 vcc, s8, v15
	v_mov_b32_e32 v1, 0
	v_mov_b32_e32 v2, 0
	v_mov_b32_e32 v13, 0
	s_and_saveexec_b64 s[4:5], vcc
	s_cbranch_execz .LBB80_28
; %bb.27:
	v_lshl_add_u64 v[8:9], v[8:9], 2, s[12:13]
	s_mov_b64 s[12:13], 0x80
	v_lshl_add_u64 v[16:17], v[8:9], 0, s[12:13]
	v_lshl_add_u64 v[18:19], s[16:17], 2, v[16:17]
	;; [unrolled: 1-line block ×3, first 2 shown]
	global_load_dword v0, v[8:9], off offset:192
	global_load_dword v1, v[18:19], off offset:64
	;; [unrolled: 1-line block ×3, first 2 shown]
	v_mad_u64_u32 v[8:9], s[12:13], s16, 12, v[16:17]
	v_mov_b32_e32 v16, v9
	v_mad_u64_u32 v[16:17], s[12:13], s17, 12, v[16:17]
	v_mov_b32_e32 v9, v16
	global_load_dword v13, v[8:9], off offset:64
	v_mad_u64_u32 v[8:9], s[12:13], v15, s24, 0
	v_mov_b32_e32 v16, v9
	v_mad_u64_u32 v[16:17], s[12:13], v15, s25, v[16:17]
	v_mov_b32_e32 v9, v16
	v_lshl_add_u64 v[8:9], v[8:9], 2, s[0:1]
	global_load_dword v40, v[8:9], off
.LBB80_28:
	s_or_b64 exec, exec, s[4:5]
	v_lshlrev_b32_e32 v8, 2, v36
	ds_read_b128 v[16:19], v8 offset:3072
	s_waitcnt vmcnt(0)
	v_fmac_f32_e32 v7, v48, v3
	v_fmac_f32_e32 v39, v48, v5
	v_cmp_gt_i32_e32 vcc, s8, v34
	v_fmac_f32_e32 v38, v48, v12
	s_waitcnt lgkmcnt(0)
	v_fma_f32 v8, v0, v16, 0
	v_fma_f32 v3, v3, v16, 0
	v_fmac_f32_e32 v8, v1, v17
	v_fmac_f32_e32 v3, v5, v17
	;; [unrolled: 1-line block ×4, first 2 shown]
	v_lshl_or_b32 v5, v35, 7, v37
	v_fmac_f32_e32 v6, v48, v14
	v_fmac_f32_e32 v8, v13, v19
	;; [unrolled: 1-line block ×3, first 2 shown]
	v_add_u32_e32 v5, 0x800, v5
	s_and_b64 s[4:5], s[6:7], vcc
	s_barrier
	ds_write2_b32 v5, v3, v8 offset1:16
	s_waitcnt lgkmcnt(0)
	s_barrier
	s_and_saveexec_b64 s[0:1], s[4:5]
	s_cbranch_execz .LBB80_30
; %bb.29:
	v_lshlrev_b32_e32 v3, 2, v34
	v_add_u32_e32 v3, 0x800, v3
	ds_read2_b32 v[8:9], v3 offset1:32
	ds_read2_b32 v[14:15], v3 offset0:64 offset1:96
	ds_read2_b32 v[16:17], v3 offset0:128 offset1:160
	s_lshl_b64 s[4:5], s[10:11], 7
	v_lshl_add_u64 v[10:11], v[10:11], 0, s[4:5]
	s_waitcnt lgkmcnt(2)
	v_add_f32_e32 v5, 0, v8
	v_add_f32_e32 v5, v5, v9
	ds_read2_b32 v[8:9], v3 offset0:192 offset1:224
	s_waitcnt lgkmcnt(2)
	v_add_f32_e32 v3, v5, v14
	v_add_f32_e32 v3, v3, v15
	s_waitcnt lgkmcnt(1)
	v_add_f32_e32 v3, v3, v16
	v_add_f32_e32 v3, v3, v17
	;; [unrolled: 3-line block ×3, first 2 shown]
	v_mad_u64_u32 v[8:9], s[4:5], v34, s10, 0
	v_mov_b32_e32 v12, v9
	v_mad_u64_u32 v[14:15], s[4:5], v34, s11, v[12:13]
	v_mov_b32_e32 v9, v14
	v_lshl_add_u64 v[8:9], v[8:9], 2, v[10:11]
	v_mul_f32_e32 v3, s33, v3
	global_atomic_add_f32 v[8:9], v3, off
.LBB80_30:
	s_or_b64 exec, exec, s[0:1]
	v_fmac_f32_e32 v7, v40, v0
	v_fmac_f32_e32 v39, v40, v1
	;; [unrolled: 1-line block ×4, first 2 shown]
.LBB80_31:
	v_lshl_or_b32 v0, v35, 8, v37
	ds_write2_b32 v0, v7, v39 offset1:16
	ds_write2_b32 v0, v38, v6 offset0:32 offset1:48
	s_waitcnt lgkmcnt(0)
	s_barrier
	s_and_saveexec_b64 s[0:1], s[6:7]
	s_cbranch_execz .LBB80_33
; %bb.32:
	v_lshlrev_b32_e32 v0, 4, v34
	v_or_b32_e32 v1, v4, v0
	v_add_u32_e32 v3, 1, v34
	v_add_u32_e32 v4, 2, v34
	;; [unrolled: 1-line block ×7, first 2 shown]
	v_and_or_b32 v3, v3, 15, v0
	v_and_or_b32 v4, v4, 15, v0
	;; [unrolled: 1-line block ×7, first 2 shown]
	v_lshlrev_b32_e32 v2, 2, v1
	v_lshlrev_b32_e32 v3, 2, v3
	;; [unrolled: 1-line block ×8, first 2 shown]
	ds_read_b32 v2, v2
	ds_read_b32 v3, v3
	ds_read_b32 v4, v4
	ds_read_b32 v5, v5
	ds_read_b32 v6, v6
	ds_read_b32 v7, v7
	ds_read_b32 v8, v8
	ds_read_b32 v9, v9
	s_waitcnt lgkmcnt(7)
	v_add_f32_e32 v2, 0, v2
	s_waitcnt lgkmcnt(6)
	v_add_f32_e32 v2, v2, v3
	;; [unrolled: 2-line block ×8, first 2 shown]
	v_add_u32_e32 v3, 9, v34
	v_add_u32_e32 v4, 10, v34
	v_add_u32_e32 v5, 11, v34
	v_add_u32_e32 v6, 12, v34
	v_add_u32_e32 v7, 13, v34
	v_add_u32_e32 v8, 14, v34
	v_add_u32_e32 v9, -1, v34
	v_xor_b32_e32 v1, 8, v1
	v_and_or_b32 v3, v3, 15, v0
	v_and_or_b32 v4, v4, 15, v0
	;; [unrolled: 1-line block ×7, first 2 shown]
	v_lshlrev_b32_e32 v1, 2, v1
	v_lshlrev_b32_e32 v3, 2, v3
	;; [unrolled: 1-line block ×8, first 2 shown]
	ds_read_b32 v1, v1
	ds_read_b32 v3, v3
	;; [unrolled: 1-line block ×8, first 2 shown]
	s_waitcnt lgkmcnt(7)
	v_add_f32_e32 v1, v2, v1
	s_waitcnt lgkmcnt(6)
	v_add_f32_e32 v1, v1, v3
	s_waitcnt lgkmcnt(5)
	v_add_f32_e32 v1, v1, v4
	s_waitcnt lgkmcnt(4)
	v_add_f32_e32 v1, v1, v5
	s_waitcnt lgkmcnt(3)
	v_add_f32_e32 v1, v1, v6
	s_waitcnt lgkmcnt(2)
	v_add_f32_e32 v1, v1, v7
	s_waitcnt lgkmcnt(1)
	v_add_f32_e32 v1, v1, v8
	s_waitcnt lgkmcnt(0)
	v_add_f32_e32 v4, v1, v0
	v_mad_u64_u32 v[0:1], s[0:1], v34, s10, 0
	v_mov_b32_e32 v2, v1
	v_mad_u64_u32 v[2:3], s[0:1], v34, s11, v[2:3]
	v_mov_b32_e32 v1, v2
	v_lshl_add_u64 v[0:1], v[0:1], 2, s[2:3]
	v_mul_f32_e32 v2, s33, v4
	global_atomic_add_f32 v[0:1], v2, off
.LBB80_33:
	s_endpgm
	.section	.rodata,"a",@progbits
	.p2align	6, 0x0
	.amdhsa_kernel _ZL62rocblas_symv_kernel_lower_double_buffered_non_diagonal_genericILi32ELi4ELi4E24rocblas_internal_val_ptrIfEPKfPfEvbiT2_lT3_lllS6_lllT4_lllii
		.amdhsa_group_segment_fixed_size 3200
		.amdhsa_private_segment_fixed_size 0
		.amdhsa_kernarg_size 384
		.amdhsa_user_sgpr_count 2
		.amdhsa_user_sgpr_dispatch_ptr 0
		.amdhsa_user_sgpr_queue_ptr 0
		.amdhsa_user_sgpr_kernarg_segment_ptr 1
		.amdhsa_user_sgpr_dispatch_id 0
		.amdhsa_user_sgpr_kernarg_preload_length 0
		.amdhsa_user_sgpr_kernarg_preload_offset 0
		.amdhsa_user_sgpr_private_segment_size 0
		.amdhsa_uses_dynamic_stack 0
		.amdhsa_enable_private_segment 0
		.amdhsa_system_sgpr_workgroup_id_x 1
		.amdhsa_system_sgpr_workgroup_id_y 1
		.amdhsa_system_sgpr_workgroup_id_z 1
		.amdhsa_system_sgpr_workgroup_info 0
		.amdhsa_system_vgpr_workitem_id 1
		.amdhsa_next_free_vgpr 57
		.amdhsa_next_free_sgpr 42
		.amdhsa_accum_offset 60
		.amdhsa_reserve_vcc 1
		.amdhsa_float_round_mode_32 0
		.amdhsa_float_round_mode_16_64 0
		.amdhsa_float_denorm_mode_32 3
		.amdhsa_float_denorm_mode_16_64 3
		.amdhsa_dx10_clamp 1
		.amdhsa_ieee_mode 1
		.amdhsa_fp16_overflow 0
		.amdhsa_tg_split 0
		.amdhsa_exception_fp_ieee_invalid_op 0
		.amdhsa_exception_fp_denorm_src 0
		.amdhsa_exception_fp_ieee_div_zero 0
		.amdhsa_exception_fp_ieee_overflow 0
		.amdhsa_exception_fp_ieee_underflow 0
		.amdhsa_exception_fp_ieee_inexact 0
		.amdhsa_exception_int_div_zero 0
	.end_amdhsa_kernel
	.section	.text._ZL62rocblas_symv_kernel_lower_double_buffered_non_diagonal_genericILi32ELi4ELi4E24rocblas_internal_val_ptrIfEPKfPfEvbiT2_lT3_lllS6_lllT4_lllii,"axG",@progbits,_ZL62rocblas_symv_kernel_lower_double_buffered_non_diagonal_genericILi32ELi4ELi4E24rocblas_internal_val_ptrIfEPKfPfEvbiT2_lT3_lllS6_lllT4_lllii,comdat
.Lfunc_end80:
	.size	_ZL62rocblas_symv_kernel_lower_double_buffered_non_diagonal_genericILi32ELi4ELi4E24rocblas_internal_val_ptrIfEPKfPfEvbiT2_lT3_lllS6_lllT4_lllii, .Lfunc_end80-_ZL62rocblas_symv_kernel_lower_double_buffered_non_diagonal_genericILi32ELi4ELi4E24rocblas_internal_val_ptrIfEPKfPfEvbiT2_lT3_lllS6_lllT4_lllii
                                        ; -- End function
	.section	.AMDGPU.csdata,"",@progbits
; Kernel info:
; codeLenInByte = 3156
; NumSgprs: 48
; NumVgprs: 57
; NumAgprs: 0
; TotalNumVgprs: 57
; ScratchSize: 0
; MemoryBound: 0
; FloatMode: 240
; IeeeMode: 1
; LDSByteSize: 3200 bytes/workgroup (compile time only)
; SGPRBlocks: 5
; VGPRBlocks: 7
; NumSGPRsForWavesPerEU: 48
; NumVGPRsForWavesPerEU: 57
; AccumOffset: 60
; Occupancy: 8
; WaveLimiterHint : 0
; COMPUTE_PGM_RSRC2:SCRATCH_EN: 0
; COMPUTE_PGM_RSRC2:USER_SGPR: 2
; COMPUTE_PGM_RSRC2:TRAP_HANDLER: 0
; COMPUTE_PGM_RSRC2:TGID_X_EN: 1
; COMPUTE_PGM_RSRC2:TGID_Y_EN: 1
; COMPUTE_PGM_RSRC2:TGID_Z_EN: 1
; COMPUTE_PGM_RSRC2:TIDIG_COMP_CNT: 1
; COMPUTE_PGM_RSRC3_GFX90A:ACCUM_OFFSET: 14
; COMPUTE_PGM_RSRC3_GFX90A:TG_SPLIT: 0
	.section	.text._ZL26rocblas_hemvn_kernel_lowerILb0ELi64ELi4ELi33ELi32ELi16ElPKfS1_PfEviT6_lT7_lT5_lS4_lS5_lS3_lT8_i,"axG",@progbits,_ZL26rocblas_hemvn_kernel_lowerILb0ELi64ELi4ELi33ELi32ELi16ElPKfS1_PfEviT6_lT7_lT5_lS4_lS5_lS3_lT8_i,comdat
	.globl	_ZL26rocblas_hemvn_kernel_lowerILb0ELi64ELi4ELi33ELi32ELi16ElPKfS1_PfEviT6_lT7_lT5_lS4_lS5_lS3_lT8_i ; -- Begin function _ZL26rocblas_hemvn_kernel_lowerILb0ELi64ELi4ELi33ELi32ELi16ElPKfS1_PfEviT6_lT7_lT5_lS4_lS5_lS3_lT8_i
	.p2align	8
	.type	_ZL26rocblas_hemvn_kernel_lowerILb0ELi64ELi4ELi33ELi32ELi16ElPKfS1_PfEviT6_lT7_lT5_lS4_lS5_lS3_lT8_i,@function
_ZL26rocblas_hemvn_kernel_lowerILb0ELi64ELi4ELi33ELi32ELi16ElPKfS1_PfEviT6_lT7_lT5_lS4_lS5_lS3_lT8_i: ; @_ZL26rocblas_hemvn_kernel_lowerILb0ELi64ELi4ELi33ELi32ELi16ElPKfS1_PfEviT6_lT7_lT5_lS4_lS5_lS3_lT8_i
; %bb.0:
	s_load_dwordx2 s[6:7], s[0:1], 0x84
	s_add_u32 s4, s0, 0x78
	s_addc_u32 s5, s1, 0
	s_waitcnt lgkmcnt(0)
	s_lshr_b32 s8, s6, 16
	s_and_b32 s6, s6, 0xffff
	s_and_b32 s7, s7, 0xffff
	s_mul_i32 s6, s8, s6
	s_mul_i32 s6, s6, s7
	s_cmpk_lg_i32 s6, 0x100
	s_cbranch_scc1 .LBB81_76
; %bb.1:
	s_load_dwordx16 s[16:31], s[0:1], 0x8
	s_load_dwordx8 s[36:43], s[0:1], 0x48
	s_waitcnt lgkmcnt(0)
	s_mul_i32 s7, s3, s19
	s_mul_hi_u32 s8, s3, s18
	s_mul_i32 s6, s3, s18
	s_add_i32 s7, s8, s7
	s_lshl_b64 s[6:7], s[6:7], 2
	s_add_u32 s6, s16, s6
	s_addc_u32 s7, s17, s7
	s_mul_i32 s9, s3, s43
	s_load_dword s8, s[6:7], 0x0
	s_mul_hi_u32 s6, s3, s42
	s_add_i32 s7, s6, s9
	s_mul_i32 s6, s3, s42
	s_lshl_b64 s[6:7], s[6:7], 2
	s_add_u32 s6, s40, s6
	s_addc_u32 s7, s41, s7
	s_load_dword s9, s[6:7], 0x0
	s_waitcnt lgkmcnt(0)
	v_cmp_eq_f32_e64 s[6:7], s8, 0
	v_cmp_eq_f32_e64 s[8:9], s9, 1.0
	s_and_b64 s[8:9], s[6:7], s[8:9]
	s_and_b64 vcc, exec, s[8:9]
	s_cbranch_vccnz .LBB81_76
; %bb.2:
	s_and_b64 vcc, exec, s[6:7]
	s_cbranch_vccnz .LBB81_76
; %bb.3:
	s_load_dword s42, s[4:5], 0x0
	s_load_dwordx2 s[34:35], s[0:1], 0x68
	s_load_dword s33, s[0:1], 0x0
	s_mul_i32 s0, s3, s39
	s_mul_hi_u32 s1, s3, s38
	s_add_i32 s1, s1, s0
	s_mul_i32 s0, s3, s38
	s_lshl_b64 s[0:1], s[0:1], 2
	s_add_u32 s4, s28, s0
	s_addc_u32 s5, s29, s1
	s_lshl_b64 s[0:1], s[30:31], 2
	s_add_u32 s0, s4, s0
	s_addc_u32 s1, s5, s1
	s_waitcnt lgkmcnt(0)
	s_ashr_i32 s43, s33, 31
	s_lshr_b32 s5, s43, 26
	s_add_i32 s5, s33, s5
	v_and_b32_e32 v18, 0x3ff, v0
	s_lshl_b32 s30, s2, 6
	s_andn2_b32 s5, s5, 63
	s_add_i32 s4, s42, -1
	s_sub_i32 s5, s33, s5
	v_add_u32_e32 v4, s30, v18
	s_cmp_eq_u32 s2, s4
	v_ashrrev_i32_e32 v5, 31, v4
	v_bfe_u32 v16, v0, 10, 10
	s_cselect_b32 s28, s5, 0
	v_mul_lo_u32 v2, v5, s36
	v_mul_lo_u32 v3, v4, s37
	v_mad_u64_u32 v[0:1], s[4:5], v4, s36, 0
	v_add3_u32 v1, v1, v3, v2
	v_lshl_add_u64 v[6:7], v[0:1], 2, s[0:1]
	v_cmp_ne_u32_e64 s[0:1], 0, v16
	v_cmp_eq_u32_e64 s[16:17], 0, v16
	s_and_saveexec_b64 s[4:5], s[16:17]
	s_cbranch_execz .LBB81_7
; %bb.4:
	s_cmp_eq_u32 s28, 0
	s_cselect_b64 s[6:7], -1, 0
	v_cmp_gt_i32_e32 vcc, s28, v18
	s_or_b64 s[8:9], s[6:7], vcc
	v_mov_b32_e32 v0, 0
	s_and_saveexec_b64 s[6:7], s[8:9]
	s_cbranch_execz .LBB81_6
; %bb.5:
	global_load_dword v0, v[6:7], off
.LBB81_6:
	s_or_b64 exec, exec, s[6:7]
	v_lshlrev_b32_e32 v1, 2, v18
	s_waitcnt vmcnt(0)
	ds_write_b32 v1, v0 offset:4544
.LBB81_7:
	s_or_b64 exec, exec, s[4:5]
	s_mul_i32 s4, s3, s27
	s_mul_hi_u32 s5, s3, s26
	s_add_i32 s5, s5, s4
	s_mul_i32 s4, s3, s26
	s_lshl_b64 s[4:5], s[4:5], 2
	s_add_u32 s6, s20, s4
	s_addc_u32 s7, s21, s5
	s_lshl_b64 s[4:5], s[22:23], 2
	s_add_u32 s6, s6, s4
	s_addc_u32 s7, s7, s5
	s_ashr_i32 s31, s30, 31
	v_lshl_add_u32 v19, v16, 6, v18
	s_lshl_b64 s[4:5], s[30:31], 2
	v_and_b32_e32 v0, 31, v18
	v_lshrrev_b32_e32 v14, 5, v19
	s_add_u32 s6, s6, s4
	v_mov_b32_e32 v1, 0
	s_addc_u32 s7, s7, s5
	v_mad_u64_u32 v[8:9], s[4:5], v14, s24, v[0:1]
	v_mov_b32_e32 v2, v9
	v_mad_u64_u32 v[2:3], s[4:5], v14, s25, v[2:3]
	s_mul_i32 s4, s30, s25
	s_mul_hi_u32 s5, s30, s24
	s_add_i32 s4, s5, s4
	s_mul_i32 s5, s31, s24
	s_add_i32 s5, s4, s5
	s_mul_i32 s4, s30, s24
	s_lshl_b64 s[22:23], s[4:5], 2
	s_add_u32 s4, s22, s6
	s_addc_u32 s5, s23, s7
	s_cmp_lg_u32 s28, 0
	v_mov_b32_e32 v9, v2
	s_cselect_b64 s[26:27], -1, 0
	s_cmp_eq_u32 s28, 0
	v_lshl_add_u64 v[2:3], v[8:9], 2, s[4:5]
	s_cselect_b64 s[18:19], -1, 0
	s_and_b64 vcc, exec, s[26:27]
	s_cbranch_vccnz .LBB81_9
; %bb.8:
	s_lshl_b64 s[4:5], s[24:25], 5
	v_lshl_add_u64 v[10:11], v[2:3], 0, s[4:5]
	global_load_dword v1, v[10:11], off
	global_load_dword v13, v[2:3], off
	v_lshl_add_u64 v[10:11], v[10:11], 0, s[4:5]
	global_load_dword v12, v[10:11], off
	v_mov_b32_e32 v10, 0x60
	v_mad_u64_u32 v[10:11], s[4:5], s24, v10, v[2:3]
	s_mul_i32 s4, s25, 0x60
	s_nop 0
	v_add_u32_e32 v11, s4, v11
	global_load_dword v10, v[10:11], off
	v_mul_u32_u24_e32 v11, 33, v14
	v_add_lshl_u32 v11, v11, v0, 2
	s_waitcnt vmcnt(2)
	ds_write_b32 v11, v13
	ds_write_b32 v11, v1 offset:1056
	s_waitcnt vmcnt(1)
	ds_write_b32 v11, v12 offset:2112
	s_waitcnt vmcnt(0)
	ds_write_b32 v11, v10 offset:3168
	s_cbranch_execz .LBB81_10
	s_branch .LBB81_19
.LBB81_9:
.LBB81_10:
	v_lshlrev_b32_e32 v10, 2, v0
	v_sub_co_u32_e32 v12, vcc, v2, v10
	s_ashr_i32 s29, s28, 31
	s_nop 0
	v_subbrev_co_u32_e32 v13, vcc, 0, v3, vcc
	v_lshl_add_u64 v[12:13], s[28:29], 2, v[12:13]
	v_lshl_add_u64 v[12:13], v[12:13], 0, -4
	v_cmp_gt_i32_e32 vcc, s28, v0
	v_mov_b32_e32 v11, 0
	v_cmp_gt_i32_e64 s[4:5], s28, v14
	v_cndmask_b32_e32 v13, v13, v3, vcc
	v_cndmask_b32_e32 v12, v12, v2, vcc
	v_mov_b32_e32 v15, 0
	s_and_saveexec_b64 s[6:7], s[4:5]
	s_cbranch_execz .LBB81_12
; %bb.11:
	global_load_dword v15, v[12:13], off
.LBB81_12:
	s_or_b64 exec, exec, s[6:7]
	v_mul_u32_u24_e32 v1, 33, v14
	v_add_lshl_u32 v1, v1, v0, 2
	s_waitcnt vmcnt(0)
	ds_write_b32 v1, v15
	v_add_u32_e32 v15, 8, v14
	v_cmp_gt_i32_e64 s[4:5], s28, v15
	s_and_saveexec_b64 s[6:7], s[4:5]
	s_cbranch_execz .LBB81_14
; %bb.13:
	s_lshl_b64 s[4:5], s[24:25], 5
	v_lshl_add_u64 v[20:21], v[12:13], 0, s[4:5]
	global_load_dword v11, v[20:21], off
.LBB81_14:
	s_or_b64 exec, exec, s[6:7]
	s_waitcnt vmcnt(0)
	ds_write_b32 v1, v11 offset:1056
	v_add_u32_e32 v11, 16, v14
	v_cmp_gt_i32_e64 s[4:5], s28, v11
	v_mov_b32_e32 v11, 0
	v_mov_b32_e32 v15, 0
	s_and_saveexec_b64 s[6:7], s[4:5]
	s_cbranch_execz .LBB81_16
; %bb.15:
	s_lshl_b64 s[4:5], s[24:25], 6
	v_lshl_add_u64 v[20:21], v[12:13], 0, s[4:5]
	global_load_dword v15, v[20:21], off
.LBB81_16:
	s_or_b64 exec, exec, s[6:7]
	s_waitcnt vmcnt(0)
	ds_write_b32 v1, v15 offset:2112
	v_add_u32_e32 v15, 24, v14
	v_cmp_gt_i32_e64 s[4:5], s28, v15
	s_and_saveexec_b64 s[6:7], s[4:5]
	s_cbranch_execz .LBB81_18
; %bb.17:
	v_mov_b32_e32 v11, 0x60
	v_mad_u64_u32 v[20:21], s[4:5], s24, v11, v[12:13]
	s_mul_i32 s4, s25, 0x60
	s_nop 0
	v_add_u32_e32 v21, s4, v21
	global_load_dword v11, v[20:21], off
.LBB81_18:
	s_or_b64 exec, exec, s[6:7]
	s_waitcnt vmcnt(0)
	ds_write_b32 v1, v11 offset:3168
	v_mov_b32_e32 v11, 0
	v_lshl_add_u64 v[10:11], v[12:13], 0, v[10:11]
	s_lshl_b64 s[4:5], s[28:29], 2
	v_mov_b32_e32 v1, s5
	v_subrev_co_u32_e64 v10, s[4:5], s4, v10
	s_nop 1
	v_subb_co_u32_e64 v11, s[4:5], v11, v1, s[4:5]
	v_lshl_add_u64 v[10:11], v[10:11], 0, 4
	v_cndmask_b32_e32 v3, v11, v3, vcc
	v_cndmask_b32_e32 v2, v10, v2, vcc
.LBB81_19:
	v_lshlrev_b32_e32 v1, 2, v14
	v_mul_u32_u24_e32 v20, 33, v0
	v_cmp_lt_u32_e64 s[6:7], v1, v0
	v_add_lshl_u32 v21, v1, v20, 2
	s_waitcnt lgkmcnt(0)
	s_barrier
	s_and_saveexec_b64 s[4:5], s[6:7]
	s_cbranch_execz .LBB81_21
; %bb.20:
	v_mul_u32_u24_e32 v10, 0x84, v14
	v_add_lshl_u32 v10, v10, v0, 2
	ds_read_b32 v10, v10
	s_waitcnt lgkmcnt(0)
	ds_write_b32 v21, v10
.LBB81_21:
	s_or_b64 exec, exec, s[4:5]
	v_or_b32_e32 v10, 1, v1
	v_cmp_lt_u32_e64 s[8:9], v10, v0
	s_and_saveexec_b64 s[4:5], s[8:9]
	s_cbranch_execz .LBB81_23
; %bb.22:
	v_mul_u32_u24_e32 v10, 33, v10
	v_add_lshl_u32 v10, v10, v0, 2
	ds_read_b32 v10, v10
	s_waitcnt lgkmcnt(0)
	ds_write_b32 v21, v10 offset:4
.LBB81_23:
	s_or_b64 exec, exec, s[4:5]
	v_or_b32_e32 v10, 2, v1
	v_cmp_lt_u32_e64 s[10:11], v10, v0
	s_and_saveexec_b64 s[4:5], s[10:11]
	s_cbranch_execz .LBB81_25
; %bb.24:
	v_mul_u32_u24_e32 v10, 33, v10
	v_add_lshl_u32 v10, v10, v0, 2
	ds_read_b32 v10, v10
	s_waitcnt lgkmcnt(0)
	ds_write_b32 v21, v10 offset:8
.LBB81_25:
	s_or_b64 exec, exec, s[4:5]
	v_or_b32_e32 v10, 3, v1
	v_cmp_lt_u32_e64 s[12:13], v10, v0
	v_mad_u32_u24 v10, v10, 33, v0
	v_lshlrev_b32_e32 v15, 2, v10
	s_and_saveexec_b64 s[4:5], s[12:13]
	s_cbranch_execz .LBB81_27
; %bb.26:
	ds_read_b32 v10, v15
	s_waitcnt lgkmcnt(0)
	ds_write_b32 v21, v10 offset:12
.LBB81_27:
	s_or_b64 exec, exec, s[4:5]
	v_mul_u32_u24_e32 v10, 0x84, v14
	v_add_u32_e32 v25, 0xfffffef8, v15
	s_waitcnt lgkmcnt(0)
	s_barrier
	v_add_lshl_u32 v24, v10, v0, 2
	v_lshlrev_b32_e32 v23, 2, v1
	ds_read2_b32 v[26:27], v25 offset1:33
	ds_read_b32 v28, v24
	ds_read_b128 v[10:13], v23 offset:4544
	ds_read_b32 v31, v15
	v_add_lshl_u32 v22, v14, v20, 2
	s_waitcnt lgkmcnt(3)
	v_mov_b32_e32 v29, v26
	v_mov_b32_e32 v30, v27
	s_waitcnt lgkmcnt(1)
	v_pk_mul_f32 v[10:11], v[28:29], v[10:11]
	v_cmp_gt_u32_e64 s[4:5], 32, v19
	v_add_f32_e32 v10, 0, v10
	v_add_f32_e32 v17, v10, v11
	s_waitcnt lgkmcnt(0)
	v_pk_mul_f32 v[10:11], v[30:31], v[12:13]
	s_nop 0
	v_add_f32_e32 v10, v17, v10
	v_add_f32_e32 v10, v10, v11
	v_mov_b32_e32 v17, 0
	s_barrier
	ds_write_b32 v22, v10
	s_waitcnt lgkmcnt(0)
	s_barrier
	s_and_saveexec_b64 s[14:15], s[4:5]
	s_cbranch_execz .LBB81_29
; %bb.28:
	v_lshlrev_b32_e32 v17, 2, v20
	ds_read2_b32 v[10:11], v17 offset1:1
	ds_read2_b32 v[12:13], v17 offset0:2 offset1:3
	ds_read2_b32 v[26:27], v17 offset0:4 offset1:5
	;; [unrolled: 1-line block ×3, first 2 shown]
	s_waitcnt lgkmcnt(3)
	v_add_f32_e32 v10, v10, v11
	s_waitcnt lgkmcnt(2)
	v_add_f32_e32 v10, v10, v12
	v_add_f32_e32 v10, v10, v13
	s_waitcnt lgkmcnt(1)
	v_add_f32_e32 v10, v10, v26
	;; [unrolled: 3-line block ×3, first 2 shown]
	v_add_f32_e32 v17, v10, v29
.LBB81_29:
	s_or_b64 exec, exec, s[14:15]
	s_lshl_b64 s[20:21], s[24:25], 7
	v_lshl_add_u64 v[10:11], v[2:3], 0, s[20:21]
	s_mov_b64 s[40:41], 0x80
	v_cndmask_b32_e64 v2, 0, 1, s[18:19]
	s_lshl_b64 s[38:39], s[24:25], 5
	v_cmp_ne_u32_e64 s[14:15], 1, v2
	s_andn2_b64 vcc, exec, s[18:19]
	v_lshl_add_u64 v[2:3], v[10:11], 0, s[40:41]
	s_barrier
	s_cbranch_vccnz .LBB81_31
; %bb.30:
	v_mov_b32_e32 v28, 0x60
	v_mad_u64_u32 v[28:29], s[18:19], s24, v28, v[10:11]
	v_lshl_add_u64 v[12:13], v[10:11], 0, s[38:39]
	s_mul_i32 s18, s25, 0x60
	v_lshl_add_u64 v[26:27], v[12:13], 0, s[38:39]
	v_add_u32_e32 v29, s18, v29
	global_load_dword v30, v[10:11], off offset:128
	global_load_dword v31, v[12:13], off offset:128
	;; [unrolled: 1-line block ×4, first 2 shown]
	v_mul_u32_u24_e32 v10, 33, v14
	v_add_lshl_u32 v10, v10, v0, 2
	s_waitcnt vmcnt(3)
	ds_write_b32 v10, v30
	s_waitcnt vmcnt(2)
	ds_write_b32 v10, v31 offset:1056
	s_waitcnt vmcnt(1)
	ds_write_b32 v10, v32 offset:2112
	;; [unrolled: 2-line block ×3, first 2 shown]
	s_cbranch_execz .LBB81_32
	s_branch .LBB81_41
.LBB81_31:
.LBB81_32:
	v_lshlrev_b32_e32 v10, 2, v0
	v_sub_co_u32_e32 v12, vcc, v2, v10
	s_ashr_i32 s29, s28, 31
	s_nop 0
	v_subbrev_co_u32_e32 v13, vcc, 0, v3, vcc
	s_movk_i32 s18, 0xff7c
	v_or_b32_e32 v11, 32, v0
	v_lshl_add_u64 v[12:13], s[28:29], 2, v[12:13]
	s_mov_b32 s19, -1
	v_lshl_add_u64 v[12:13], v[12:13], 0, s[18:19]
	v_cmp_gt_i32_e32 vcc, s28, v11
	s_sub_i32 s44, s28, 32
	v_mov_b32_e32 v26, 0
	v_cndmask_b32_e32 v13, v13, v3, vcc
	v_cndmask_b32_e32 v12, v12, v2, vcc
	v_cmp_gt_i32_e64 s[18:19], s44, v14
	v_mov_b32_e32 v27, 0
	s_and_saveexec_b64 s[40:41], s[18:19]
	s_cbranch_execz .LBB81_34
; %bb.33:
	global_load_dword v27, v[12:13], off
.LBB81_34:
	s_or_b64 exec, exec, s[40:41]
	v_mul_u32_u24_e32 v11, 33, v14
	v_add_lshl_u32 v11, v11, v0, 2
	s_waitcnt vmcnt(0)
	ds_write_b32 v11, v27
	v_add_u32_e32 v27, 8, v14
	v_cmp_gt_i32_e64 s[18:19], s44, v27
	s_and_saveexec_b64 s[40:41], s[18:19]
	s_cbranch_execz .LBB81_36
; %bb.35:
	v_lshl_add_u64 v[26:27], v[12:13], 0, s[38:39]
	global_load_dword v26, v[26:27], off
.LBB81_36:
	s_or_b64 exec, exec, s[40:41]
	s_waitcnt vmcnt(0)
	ds_write_b32 v11, v26 offset:1056
	v_add_u32_e32 v26, 16, v14
	v_cmp_gt_i32_e64 s[18:19], s44, v26
	v_mov_b32_e32 v26, 0
	v_mov_b32_e32 v27, 0
	s_and_saveexec_b64 s[40:41], s[18:19]
	s_cbranch_execz .LBB81_38
; %bb.37:
	s_lshl_b64 s[18:19], s[24:25], 6
	v_lshl_add_u64 v[28:29], v[12:13], 0, s[18:19]
	global_load_dword v27, v[28:29], off
.LBB81_38:
	s_or_b64 exec, exec, s[40:41]
	s_waitcnt vmcnt(0)
	ds_write_b32 v11, v27 offset:2112
	v_add_u32_e32 v27, 24, v14
	v_cmp_gt_i32_e64 s[18:19], s44, v27
	s_and_saveexec_b64 s[40:41], s[18:19]
	s_cbranch_execz .LBB81_40
; %bb.39:
	v_mov_b32_e32 v26, 0x60
	v_mad_u64_u32 v[26:27], s[18:19], s24, v26, v[12:13]
	s_mul_i32 s18, s25, 0x60
	s_nop 0
	v_add_u32_e32 v27, s18, v27
	global_load_dword v26, v[26:27], off
.LBB81_40:
	s_or_b64 exec, exec, s[40:41]
	s_waitcnt vmcnt(0)
	ds_write_b32 v11, v26 offset:3168
	v_mov_b32_e32 v11, 0
	v_lshl_add_u64 v[10:11], v[12:13], 0, v[10:11]
	s_lshl_b64 s[18:19], s[28:29], 2
	v_mov_b32_e32 v12, s19
	v_subrev_co_u32_e64 v10, s[18:19], s18, v10
	s_nop 1
	v_subb_co_u32_e64 v11, s[18:19], v11, v12, s[18:19]
	s_mov_b64 s[18:19], 0x84
	s_nop 0
	v_lshl_add_u64 v[10:11], v[10:11], 0, s[18:19]
	v_cndmask_b32_e32 v3, v11, v3, vcc
	v_cndmask_b32_e32 v2, v10, v2, vcc
.LBB81_41:
	v_add_u32_e32 v23, 0x11c0, v23
	s_waitcnt lgkmcnt(0)
	s_barrier
	s_and_saveexec_b64 s[18:19], s[6:7]
	s_cbranch_execnz .LBB81_50
; %bb.42:
	s_or_b64 exec, exec, s[18:19]
	s_and_saveexec_b64 s[6:7], s[8:9]
	s_cbranch_execnz .LBB81_51
.LBB81_43:
	s_or_b64 exec, exec, s[6:7]
	s_and_saveexec_b64 s[6:7], s[10:11]
	s_cbranch_execnz .LBB81_52
.LBB81_44:
	s_or_b64 exec, exec, s[6:7]
	s_and_saveexec_b64 s[6:7], s[12:13]
	s_cbranch_execz .LBB81_46
.LBB81_45:
	ds_read_b32 v10, v15
	s_waitcnt lgkmcnt(0)
	ds_write_b32 v21, v10 offset:12
.LBB81_46:
	s_or_b64 exec, exec, s[6:7]
	s_waitcnt lgkmcnt(0)
	s_barrier
	ds_read_b32 v26, v24
	ds_read_b128 v[10:13], v23 offset:128
	ds_read2_b32 v[24:25], v25 offset1:33
	ds_read_b32 v15, v15
	v_cmp_eq_u32_e64 s[6:7], 1, v14
	s_waitcnt lgkmcnt(0)
	v_fma_f32 v10, v26, v10, 0
	v_fmac_f32_e32 v10, v24, v11
	v_fmac_f32_e32 v10, v25, v12
	;; [unrolled: 1-line block ×3, first 2 shown]
	s_barrier
	ds_write_b32 v22, v10
	s_waitcnt lgkmcnt(0)
	s_barrier
	s_and_saveexec_b64 s[8:9], s[6:7]
	s_cbranch_execz .LBB81_48
; %bb.47:
	v_lshlrev_b32_e32 v15, 2, v20
	ds_read2_b32 v[10:11], v15 offset1:1
	ds_read2_b32 v[12:13], v15 offset0:2 offset1:3
	ds_read2_b32 v[24:25], v15 offset0:4 offset1:5
	;; [unrolled: 1-line block ×3, first 2 shown]
	s_waitcnt lgkmcnt(3)
	v_add_f32_e32 v10, v10, v11
	s_waitcnt lgkmcnt(2)
	v_add_f32_e32 v10, v10, v12
	v_add_f32_e32 v10, v10, v13
	s_waitcnt lgkmcnt(1)
	v_add_f32_e32 v10, v10, v24
	;; [unrolled: 3-line block ×3, first 2 shown]
	v_add_f32_e32 v17, v10, v27
.LBB81_48:
	s_or_b64 exec, exec, s[8:9]
	s_lshl_b64 s[8:9], s[38:39], 2
	v_mov_b32_e32 v11, s9
	v_subrev_co_u32_e64 v10, s[8:9], s8, v2
	s_and_b64 vcc, exec, s[14:15]
	s_nop 0
	v_subb_co_u32_e64 v11, s[8:9], v3, v11, s[8:9]
	s_barrier
	s_cbranch_vccnz .LBB81_53
; %bb.49:
	v_mov_b32_e32 v15, 0x60
	v_mad_u64_u32 v[24:25], s[8:9], s24, v15, v[10:11]
	v_lshl_add_u64 v[2:3], v[10:11], 0, s[38:39]
	s_mul_i32 s8, s25, 0x60
	v_lshl_add_u64 v[12:13], v[2:3], 0, s[38:39]
	v_add_u32_e32 v25, s8, v25
	global_load_dword v30, v[10:11], off
	global_load_dword v31, v[2:3], off
	global_load_dword v32, v[12:13], off
	global_load_dword v33, v[24:25], off
	v_mad_u32_u24 v24, v14, 33, v0
	v_add_u32_e32 v15, 8, v14
	v_add_u32_e32 v25, 16, v14
	;; [unrolled: 1-line block ×3, first 2 shown]
	v_lshlrev_b32_e32 v2, 2, v24
	v_add_u32_e32 v29, 0x108, v24
	v_add_u32_e32 v27, 0x210, v24
	;; [unrolled: 1-line block ×3, first 2 shown]
	s_waitcnt vmcnt(3)
	ds_write_b32 v2, v30
	s_waitcnt vmcnt(2)
	ds_write_b32 v2, v31 offset:1056
	s_waitcnt vmcnt(1)
	ds_write_b32 v2, v32 offset:2112
	;; [unrolled: 2-line block ×3, first 2 shown]
	s_cbranch_execz .LBB81_54
	s_branch .LBB81_63
.LBB81_50:
	ds_read_b32 v10, v24
	s_waitcnt lgkmcnt(0)
	ds_write_b32 v21, v10
	s_or_b64 exec, exec, s[18:19]
	s_and_saveexec_b64 s[6:7], s[8:9]
	s_cbranch_execz .LBB81_43
.LBB81_51:
	ds_read_b32 v10, v25
	s_waitcnt lgkmcnt(0)
	ds_write_b32 v21, v10 offset:4
	s_or_b64 exec, exec, s[6:7]
	s_and_saveexec_b64 s[6:7], s[10:11]
	s_cbranch_execz .LBB81_44
.LBB81_52:
	ds_read_b32 v10, v25 offset:132
	s_waitcnt lgkmcnt(0)
	ds_write_b32 v21, v10 offset:8
	s_or_b64 exec, exec, s[6:7]
	s_and_saveexec_b64 s[6:7], s[12:13]
	s_cbranch_execnz .LBB81_45
	s_branch .LBB81_46
.LBB81_53:
                                        ; implicit-def: $vgpr24
                                        ; implicit-def: $vgpr15
                                        ; implicit-def: $vgpr29
                                        ; implicit-def: $vgpr25
                                        ; implicit-def: $vgpr27
                                        ; implicit-def: $vgpr26
                                        ; implicit-def: $vgpr28
.LBB81_54:
	v_lshlrev_b32_e32 v2, 2, v0
	v_sub_co_u32_e32 v12, vcc, v10, v2
	s_ashr_i32 s29, s28, 31
	s_nop 0
	v_subbrev_co_u32_e32 v13, vcc, 0, v11, vcc
	s_movk_i32 s8, 0xff7c
	v_or_b32_e32 v15, 32, v0
	v_lshl_add_u64 v[12:13], s[28:29], 2, v[12:13]
	s_mov_b32 s9, -1
	v_lshl_add_u64 v[12:13], v[12:13], 0, s[8:9]
	v_cmp_gt_i32_e32 vcc, s28, v15
	v_mov_b32_e32 v3, 0
	v_cmp_gt_i32_e64 s[8:9], s28, v14
	v_cndmask_b32_e32 v13, v13, v11, vcc
	v_cndmask_b32_e32 v12, v12, v10, vcc
	v_mov_b32_e32 v15, 0
	s_and_saveexec_b64 s[10:11], s[8:9]
	s_cbranch_execz .LBB81_56
; %bb.55:
	global_load_dword v15, v[12:13], off
.LBB81_56:
	s_or_b64 exec, exec, s[10:11]
	v_mad_u32_u24 v24, v14, 33, v0
	v_lshlrev_b32_e32 v0, 2, v24
	s_waitcnt vmcnt(0)
	ds_write_b32 v0, v15
	v_add_u32_e32 v15, 8, v14
	v_cmp_gt_i32_e64 s[8:9], s28, v15
	s_and_saveexec_b64 s[10:11], s[8:9]
	s_cbranch_execz .LBB81_58
; %bb.57:
	v_lshl_add_u64 v[26:27], v[12:13], 0, s[38:39]
	global_load_dword v3, v[26:27], off
.LBB81_58:
	s_or_b64 exec, exec, s[10:11]
	v_add_u32_e32 v25, 16, v14
	s_waitcnt vmcnt(0)
	ds_write_b32 v0, v3 offset:1056
	v_cmp_gt_i32_e64 s[8:9], s28, v25
	v_mov_b32_e32 v3, 0
	v_mov_b32_e32 v26, 0
	s_and_saveexec_b64 s[10:11], s[8:9]
	s_cbranch_execz .LBB81_60
; %bb.59:
	s_lshl_b64 s[8:9], s[24:25], 6
	v_lshl_add_u64 v[26:27], v[12:13], 0, s[8:9]
	global_load_dword v26, v[26:27], off
.LBB81_60:
	s_or_b64 exec, exec, s[10:11]
	s_waitcnt vmcnt(0)
	ds_write_b32 v0, v26 offset:2112
	v_add_u32_e32 v26, 24, v14
	v_cmp_gt_i32_e64 s[8:9], s28, v26
	s_and_saveexec_b64 s[10:11], s[8:9]
	s_cbranch_execz .LBB81_62
; %bb.61:
	v_mov_b32_e32 v3, 0x60
	v_mad_u64_u32 v[28:29], s[8:9], s24, v3, v[12:13]
	s_mul_i32 s8, s25, 0x60
	s_nop 0
	v_add_u32_e32 v29, s8, v29
	global_load_dword v3, v[28:29], off
.LBB81_62:
	s_or_b64 exec, exec, s[10:11]
	s_waitcnt vmcnt(0)
	ds_write_b32 v0, v3 offset:3168
	v_mov_b32_e32 v3, 0
	v_lshl_add_u64 v[2:3], v[12:13], 0, v[2:3]
	s_lshl_b64 s[8:9], s[28:29], 2
	v_mov_b32_e32 v0, s9
	v_subrev_co_u32_e64 v2, s[8:9], s8, v2
	v_add_u32_e32 v29, 0x108, v24
	s_nop 0
	v_subb_co_u32_e64 v3, s[8:9], v3, v0, s[8:9]
	s_mov_b64 s[8:9], 0x84
	s_nop 0
	v_lshl_add_u64 v[2:3], v[2:3], 0, s[8:9]
	v_add_u32_e32 v27, 0x210, v24
	v_add_u32_e32 v28, 0x318, v24
	v_cndmask_b32_e32 v11, v3, v11, vcc
	v_cndmask_b32_e32 v10, v2, v10, vcc
.LBB81_63:
	s_waitcnt lgkmcnt(0)
	s_barrier
	v_lshlrev_b32_e32 v0, 2, v24
	ds_read_b32 v24, v1 offset:4544
	v_lshlrev_b32_e32 v1, 2, v29
	ds_read_b32 v29, v0
	ds_read_b32 v30, v1
	v_lshlrev_b32_e32 v0, 2, v15
	v_lshlrev_b32_e32 v1, 2, v27
	;; [unrolled: 1-line block ×5, first 2 shown]
	ds_read_b32 v25, v0 offset:4544
	ds_read_b32 v26, v1
	ds_read_b32 v27, v2 offset:4544
	ds_read_b32 v28, v3
	ds_read_b32 v31, v12 offset:4544
	ds_read2_b32 v[14:15], v21 offset1:1
	ds_read_b128 v[0:3], v23 offset:128
	ds_read2_b32 v[12:13], v21 offset0:2 offset1:3
	s_waitcnt lgkmcnt(9)
	v_fma_f32 v21, v29, v24, 0
	s_waitcnt lgkmcnt(7)
	v_fmac_f32_e32 v21, v30, v25
	s_waitcnt lgkmcnt(5)
	v_fmac_f32_e32 v21, v26, v27
	;; [unrolled: 2-line block ×3, first 2 shown]
	s_waitcnt lgkmcnt(0)
	s_barrier
	ds_write_b32 v22, v21
	s_waitcnt lgkmcnt(0)
	s_barrier
	s_and_saveexec_b64 s[8:9], s[6:7]
	s_cbranch_execz .LBB81_65
; %bb.64:
	v_lshlrev_b32_e32 v21, 2, v20
	ds_read2_b32 v[24:25], v21 offset1:1
	ds_read2_b32 v[26:27], v21 offset0:2 offset1:3
	ds_read2_b32 v[28:29], v21 offset0:4 offset1:5
	;; [unrolled: 1-line block ×3, first 2 shown]
	s_waitcnt lgkmcnt(3)
	v_add_f32_e32 v17, v17, v24
	v_add_f32_e32 v17, v17, v25
	s_waitcnt lgkmcnt(2)
	v_add_f32_e32 v17, v17, v26
	v_add_f32_e32 v17, v17, v27
	s_waitcnt lgkmcnt(1)
	v_add_f32_e32 v17, v17, v28
	v_add_f32_e32 v17, v17, v29
	s_waitcnt lgkmcnt(0)
	v_add_f32_e32 v17, v17, v30
	v_add_f32_e32 v17, v17, v31
.LBB81_65:
	s_or_b64 exec, exec, s[8:9]
	v_fma_f32 v0, v14, v0, 0
	v_fmac_f32_e32 v0, v15, v1
	v_fmac_f32_e32 v0, v12, v2
	;; [unrolled: 1-line block ×3, first 2 shown]
	s_barrier
	ds_write_b32 v22, v0
	s_waitcnt lgkmcnt(0)
	s_barrier
	s_and_saveexec_b64 s[6:7], s[4:5]
	s_cbranch_execz .LBB81_67
; %bb.66:
	v_lshlrev_b32_e32 v14, 2, v20
	ds_read2_b32 v[0:1], v14 offset1:1
	ds_read2_b32 v[2:3], v14 offset0:2 offset1:3
	ds_read2_b32 v[12:13], v14 offset0:4 offset1:5
	;; [unrolled: 1-line block ×3, first 2 shown]
	s_waitcnt lgkmcnt(3)
	v_add_f32_e32 v0, v17, v0
	v_add_f32_e32 v0, v0, v1
	s_waitcnt lgkmcnt(2)
	v_add_f32_e32 v0, v0, v2
	v_add_f32_e32 v0, v0, v3
	;; [unrolled: 3-line block ×4, first 2 shown]
.LBB81_67:
	s_or_b64 exec, exec, s[6:7]
	s_mul_hi_u32 s4, s33, s3
	s_mul_i32 s43, s43, s3
	s_add_i32 s4, s4, s43
	s_mul_i32 s3, s33, s3
	s_mul_i32 s4, s4, s42
	s_mul_hi_u32 s5, s3, s42
	s_add_i32 s5, s5, s4
	s_mul_i32 s4, s3, s42
	s_lshl_b64 s[4:5], s[4:5], 2
	s_add_u32 s3, s34, s4
	s_mul_i32 s4, s2, s33
	s_addc_u32 s7, s35, s5
	s_ashr_i32 s5, s4, 31
	s_lshl_b64 s[4:5], s[4:5], 2
	s_add_u32 s6, s3, s4
	v_cmp_le_i32_e32 vcc, s28, v18
	s_addc_u32 s7, s7, s5
	s_and_b64 vcc, s[26:27], vcc
	s_cmp_lt_i32 s2, 1
	v_lshlrev_b32_e32 v0, 2, v18
	s_barrier
	s_cbranch_scc1 .LBB81_74
; %bb.68:
	s_mul_i32 s3, s30, s37
	s_mul_hi_u32 s4, s30, s36
	s_add_i32 s3, s4, s3
	s_mul_i32 s4, s31, s36
	s_add_i32 s5, s3, s4
	s_mul_i32 s4, s30, s36
	s_lshl_b64 s[4:5], s[4:5], 2
	v_mov_b32_e32 v1, s5
	v_subrev_co_u32_e64 v2, s[4:5], s4, v6
	v_mov_b32_e32 v6, s23
	s_nop 0
	v_subb_co_u32_e64 v3, s[4:5], v7, v1, s[4:5]
	v_subrev_co_u32_e64 v10, s[4:5], s22, v10
	v_lshlrev_b32_e32 v1, 2, v16
	s_nop 0
	v_subb_co_u32_e64 v11, s[4:5], v11, v6, s[4:5]
	v_lshlrev_b64 v[6:7], 2, v[8:9]
	v_sub_co_u32_e64 v6, s[4:5], v10, v6
	s_ashr_i32 s29, s28, 31
	s_nop 0
	v_subb_co_u32_e64 v7, s[4:5], v11, v7, s[4:5]
	v_mad_u64_u32 v[8:9], s[4:5], v1, s24, 0
	v_mov_b32_e32 v10, v9
	v_mad_u64_u32 v[10:11], s[4:5], v1, s25, v[10:11]
	v_mov_b32_e32 v9, v10
	v_lshl_add_u64 v[8:9], v[8:9], 2, v[6:7]
	s_movk_i32 s4, 0xff7c
	v_lshl_add_u64 v[6:7], s[28:29], 2, v[8:9]
	s_mov_b32 s5, -1
	v_lshl_add_u64 v[10:11], v[6:7], 0, s[4:5]
	v_mov_b32_e32 v7, 0
	v_mov_b32_e32 v1, v7
	s_movk_i32 s4, 0xff80
	v_lshl_add_u64 v[8:9], v[8:9], 0, v[0:1]
	s_mov_b32 s5, -1
	v_lshl_add_u64 v[8:9], v[8:9], 0, s[4:5]
	v_lshrrev_b32_e32 v6, 2, v19
	v_and_b32_e32 v21, 48, v18
	v_and_b32_e32 v20, 15, v18
	v_cndmask_b32_e32 v9, v9, v11, vcc
	v_and_b32_e32 v6, 0x7ffc, v6
	v_lshlrev_b32_e32 v11, 2, v21
	s_movk_i32 s3, 0x10c
	v_or_b32_e32 v12, 60, v0
	v_and_b32_e32 v13, 0x1fff0, v19
	v_mad_u32_u24 v11, v20, s3, v11
	v_mad_u32_u24 v12, v20, s3, v12
	;; [unrolled: 1-line block ×4, first 2 shown]
	s_mul_i32 s3, s25, 12
	s_mul_hi_u32 s14, s24, 12
	s_add_i32 s15, s14, s3
	s_mul_i32 s3, s25, 0x48
	s_mul_hi_u32 s18, s24, 0x48
	s_add_i32 s19, s18, s3
	;; [unrolled: 3-line block ×9, first 2 shown]
	s_mul_i32 s3, s25, 0x84
	s_mul_hi_u32 s33, s24, 0x84
	v_mov_b32_e32 v14, 0x10c0
	s_movk_i32 s8, 0x430
	s_add_i32 s43, s33, s3
	s_mul_i32 s3, s25, 0x44
	s_mul_hi_u32 s33, s24, 0x44
	v_cndmask_b32_e32 v8, v8, v10, vcc
	v_add_u32_e32 v1, 0x10c0, v0
	v_add_u32_e32 v10, 0x11c0, v0
	v_cmp_gt_u32_e64 s[4:5], 64, v19
	v_lshl_add_u32 v14, v16, 4, v14
	v_mad_u32_u24 v15, v16, s8, v0
	s_lshl_b64 s[8:9], s[24:25], 2
	s_lshl_b64 s[10:11], s[24:25], 8
	;; [unrolled: 1-line block ×3, first 2 shown]
	s_mul_i32 s14, s24, 12
	s_mul_i32 s18, s24, 0x48
	;; [unrolled: 1-line block ×10, first 2 shown]
	s_add_i32 s45, s33, s3
	s_mul_i32 s44, s24, 0x44
	s_lshl_b64 s[24:25], s[24:25], 6
	v_or_b32_e32 v19, v21, v20
	s_mov_b32 s3, 0
	s_branch .LBB81_70
.LBB81_69:                              ;   in Loop: Header=BB81_70 Depth=1
	s_or_b64 exec, exec, s[46:47]
	v_fmac_f32_e32 v17, v20, v24
	v_fmac_f32_e32 v17, v22, v25
	v_fmac_f32_e32 v17, v21, v26
	v_fmac_f32_e32 v17, v23, v27
	v_fmac_f32_e32 v17, v31, v32
	v_fmac_f32_e32 v17, v30, v33
	v_fmac_f32_e32 v17, v29, v34
	v_fmac_f32_e32 v17, v28, v35
	v_fmac_f32_e32 v17, v39, v40
	v_fmac_f32_e32 v17, v38, v41
	v_fmac_f32_e32 v17, v37, v42
	v_fmac_f32_e32 v17, v36, v43
	v_fmac_f32_e32 v17, v47, v48
	v_fmac_f32_e32 v17, v45, v49
	v_fmac_f32_e32 v17, v44, v50
	s_add_i32 s3, s3, 64
	s_add_i32 s2, s2, -1
	v_fmac_f32_e32 v17, v46, v51
	s_cmp_eq_u32 s2, 0
	v_lshl_add_u64 v[8:9], v[8:9], 0, s[10:11]
	s_barrier
	s_cbranch_scc1 .LBB81_74
.LBB81_70:                              ; =>This Inner Loop Header: Depth=1
	s_and_saveexec_b64 s[46:47], s[16:17]
	s_cbranch_execz .LBB81_72
; %bb.71:                               ;   in Loop: Header=BB81_70 Depth=1
	s_mul_i32 s33, s3, s37
	s_mul_hi_u32 s48, s3, s36
	s_add_i32 s49, s48, s33
	s_mul_i32 s48, s3, s36
	v_lshl_add_u64 v[20:21], s[48:49], 2, v[2:3]
	global_load_dword v6, v[20:21], off
	s_waitcnt vmcnt(0)
	ds_write_b32 v1, v6
.LBB81_72:                              ;   in Loop: Header=BB81_70 Depth=1
	s_or_b64 exec, exec, s[46:47]
	s_waitcnt lgkmcnt(0)
	s_barrier
	global_load_dword v20, v[8:9], off
	v_lshl_add_u64 v[24:25], v[8:9], 0, s[8:9]
	v_lshl_add_u64 v[26:27], v[8:9], 0, s[12:13]
	global_load_dword v22, v[24:25], off
	global_load_dword v21, v[26:27], off
	v_lshl_add_u64 v[24:25], v[8:9], 0, s[14:15]
	global_load_dword v23, v[24:25], off
	ds_read_b32 v6, v10
	ds_read_b32 v24, v14
	v_lshl_add_u64 v[32:33], v[8:9], 0, s[24:25]
	v_lshl_add_u64 v[34:35], v[8:9], 0, s[44:45]
	;; [unrolled: 1-line block ×11, first 2 shown]
	s_waitcnt vmcnt(3) lgkmcnt(1)
	v_mul_f32_e32 v25, v20, v6
	ds_write_b32 v15, v25
	s_waitcnt vmcnt(2)
	v_mul_f32_e32 v26, v22, v6
	s_waitcnt vmcnt(1)
	v_mul_f32_e32 v27, v21, v6
	ds_read_b32 v25, v14 offset:4
	ds_write_b32 v15, v26 offset:268
	s_waitcnt vmcnt(0)
	v_mul_f32_e32 v6, v23, v6
	ds_read_b32 v26, v14 offset:8
	ds_write_b32 v15, v27 offset:536
	ds_read_b32 v27, v14 offset:12
	ds_write_b32 v15, v6 offset:804
	s_waitcnt lgkmcnt(0)
	s_barrier
	ds_read2_b32 v[48:49], v13 offset1:1
	ds_read2_b32 v[50:51], v13 offset0:2 offset1:3
	s_waitcnt lgkmcnt(0)
	s_barrier
	global_load_dword v31, v[32:33], off
	global_load_dword v30, v[34:35], off
	;; [unrolled: 1-line block ×4, first 2 shown]
	ds_read_b32 v6, v10
	ds_read_b32 v32, v14 offset:64
	s_waitcnt vmcnt(3) lgkmcnt(1)
	v_mul_f32_e32 v33, v31, v6
	s_waitcnt vmcnt(2)
	v_mul_f32_e32 v34, v30, v6
	ds_write_b32 v15, v33
	s_waitcnt vmcnt(1)
	v_mul_f32_e32 v35, v29, v6
	ds_read_b32 v33, v14 offset:68
	ds_write_b32 v15, v34 offset:268
	s_waitcnt vmcnt(0)
	v_mul_f32_e32 v6, v28, v6
	ds_read_b32 v34, v14 offset:72
	ds_write_b32 v15, v35 offset:536
	ds_read_b32 v35, v14 offset:76
	ds_write_b32 v15, v6 offset:804
	s_waitcnt lgkmcnt(0)
	s_barrier
	ds_read2_b32 v[52:53], v13 offset1:1
	ds_read2_b32 v[54:55], v13 offset0:2 offset1:3
	s_waitcnt lgkmcnt(0)
	s_barrier
	global_load_dword v39, v[40:41], off
	global_load_dword v38, v[42:43], off
	;; [unrolled: 1-line block ×4, first 2 shown]
	ds_read_b32 v6, v10
	ds_read_b32 v40, v14 offset:128
	v_lshl_add_u64 v[44:45], v[8:9], 0, s[40:41]
	s_waitcnt vmcnt(3) lgkmcnt(1)
	v_mul_f32_e32 v41, v39, v6
	s_waitcnt vmcnt(2)
	v_mul_f32_e32 v42, v38, v6
	ds_write_b32 v15, v41
	s_waitcnt vmcnt(1)
	v_mul_f32_e32 v43, v37, v6
	ds_read_b32 v41, v14 offset:132
	ds_write_b32 v15, v42 offset:268
	s_waitcnt vmcnt(0)
	v_mul_f32_e32 v6, v36, v6
	ds_read_b32 v42, v14 offset:136
	ds_write_b32 v15, v43 offset:536
	ds_read_b32 v43, v14 offset:140
	ds_write_b32 v15, v6 offset:804
	s_waitcnt lgkmcnt(0)
	s_barrier
	ds_read2_b32 v[62:63], v13 offset1:1
	ds_read2_b32 v[64:65], v13 offset0:2 offset1:3
	s_waitcnt lgkmcnt(0)
	s_barrier
	global_load_dword v47, v[44:45], off
	s_nop 0
	global_load_dword v45, v[56:57], off
	global_load_dword v44, v[58:59], off
                                        ; kill: killed $vgpr56_vgpr57
                                        ; kill: killed $vgpr58_vgpr59
	global_load_dword v46, v[60:61], off
	v_add_f32_e32 v6, 0, v48
	v_add_f32_e32 v48, 0, v52
	;; [unrolled: 1-line block ×6, first 2 shown]
	ds_read_b32 v49, v10
	ds_read_b32 v48, v14 offset:192
	v_add_f32_e32 v6, v6, v50
	v_add_f32_e32 v50, 0, v62
	;; [unrolled: 1-line block ×6, first 2 shown]
	s_waitcnt vmcnt(3) lgkmcnt(1)
	v_mul_f32_e32 v50, v47, v49
	s_waitcnt vmcnt(2)
	v_mul_f32_e32 v51, v45, v49
	ds_write_b32 v15, v50
	s_waitcnt vmcnt(1)
	v_mul_f32_e32 v52, v44, v49
	s_waitcnt vmcnt(0)
	v_mul_f32_e32 v53, v46, v49
	ds_read_b32 v49, v14 offset:196
	ds_write_b32 v15, v51 offset:268
	ds_read_b32 v50, v14 offset:200
	ds_write_b32 v15, v52 offset:536
	;; [unrolled: 2-line block ×3, first 2 shown]
	s_waitcnt lgkmcnt(0)
	s_barrier
	ds_read2_b32 v[52:53], v13 offset1:1
	ds_read2_b32 v[54:55], v13 offset0:2 offset1:3
	s_waitcnt lgkmcnt(0)
	s_barrier
	ds_write2_b32 v18, v6, v56 offset1:16
	v_add_f32_e32 v6, 0, v52
	v_add_f32_e32 v6, v6, v53
	;; [unrolled: 1-line block ×4, first 2 shown]
	ds_write2_b32 v18, v57, v6 offset0:32 offset1:48
	s_waitcnt lgkmcnt(0)
	s_barrier
	s_and_saveexec_b64 s[46:47], s[4:5]
	s_cbranch_execz .LBB81_69
; %bb.73:                               ;   in Loop: Header=BB81_70 Depth=1
	ds_read2_b32 v[52:53], v11 offset1:1
	ds_read2_b32 v[54:55], v11 offset0:2 offset1:3
	ds_read2_b32 v[56:57], v11 offset0:4 offset1:5
	;; [unrolled: 1-line block ×3, first 2 shown]
	s_waitcnt lgkmcnt(3)
	v_add_f32_e32 v6, v52, v53
	s_waitcnt lgkmcnt(2)
	v_add_f32_e32 v6, v6, v54
	v_add_f32_e32 v6, v6, v55
	ds_read2_b32 v[52:53], v11 offset0:8 offset1:9
	s_waitcnt lgkmcnt(2)
	v_add_f32_e32 v6, v6, v56
	v_add_f32_e32 v6, v6, v57
	s_waitcnt lgkmcnt(1)
	v_add_f32_e32 v6, v6, v58
	v_add_f32_e32 v6, v6, v59
	ds_read2_b32 v[54:55], v11 offset0:10 offset1:11
	ds_read2_b32 v[56:57], v11 offset0:12 offset1:13
	ds_read_b32 v58, v11 offset:56
	s_waitcnt lgkmcnt(3)
	v_add_f32_e32 v6, v6, v52
	v_add_f32_e32 v6, v6, v53
	s_waitcnt lgkmcnt(2)
	v_add_f32_e32 v6, v6, v54
	ds_read_b32 v52, v12
	v_add_f32_e32 v6, v6, v55
	s_waitcnt lgkmcnt(2)
	v_add_f32_e32 v6, v6, v56
	v_add_f32_e32 v6, v6, v57
	s_waitcnt lgkmcnt(1)
	v_add_f32_e32 v6, v6, v58
	s_waitcnt lgkmcnt(0)
	v_add_f32_e32 v54, v6, v52
	v_add_u32_e32 v6, s3, v19
	v_lshl_add_u64 v[52:53], v[6:7], 2, s[6:7]
	global_store_dword v[52:53], v54, off
	s_branch .LBB81_69
.LBB81_74:
	s_movk_i32 s2, 0x10c
	s_or_b64 s[0:1], s[0:1], vcc
	v_mad_u32_u24 v1, v16, s2, v0
	s_xor_b64 s[0:1], s[0:1], -1
	ds_write_b32 v1, v17
	s_waitcnt lgkmcnt(0)
	s_barrier
	s_and_saveexec_b64 s[2:3], s[0:1]
	s_cbranch_execz .LBB81_76
; %bb.75:
	ds_read2_b32 v[2:3], v0 offset1:67
	ds_read2_b32 v[0:1], v0 offset0:134 offset1:201
	s_waitcnt lgkmcnt(1)
	v_add_f32_e32 v2, v2, v3
	s_waitcnt lgkmcnt(0)
	v_add_f32_e32 v0, v2, v0
	v_add_f32_e32 v2, v0, v1
	v_lshl_add_u64 v[0:1], v[4:5], 2, s[6:7]
	global_store_dword v[0:1], v2, off
.LBB81_76:
	s_endpgm
	.section	.rodata,"a",@progbits
	.p2align	6, 0x0
	.amdhsa_kernel _ZL26rocblas_hemvn_kernel_lowerILb0ELi64ELi4ELi33ELi32ELi16ElPKfS1_PfEviT6_lT7_lT5_lS4_lS5_lS3_lT8_i
		.amdhsa_group_segment_fixed_size 4800
		.amdhsa_private_segment_fixed_size 0
		.amdhsa_kernarg_size 376
		.amdhsa_user_sgpr_count 2
		.amdhsa_user_sgpr_dispatch_ptr 0
		.amdhsa_user_sgpr_queue_ptr 0
		.amdhsa_user_sgpr_kernarg_segment_ptr 1
		.amdhsa_user_sgpr_dispatch_id 0
		.amdhsa_user_sgpr_kernarg_preload_length 0
		.amdhsa_user_sgpr_kernarg_preload_offset 0
		.amdhsa_user_sgpr_private_segment_size 0
		.amdhsa_uses_dynamic_stack 0
		.amdhsa_enable_private_segment 0
		.amdhsa_system_sgpr_workgroup_id_x 1
		.amdhsa_system_sgpr_workgroup_id_y 0
		.amdhsa_system_sgpr_workgroup_id_z 1
		.amdhsa_system_sgpr_workgroup_info 0
		.amdhsa_system_vgpr_workitem_id 1
		.amdhsa_next_free_vgpr 66
		.amdhsa_next_free_sgpr 50
		.amdhsa_accum_offset 68
		.amdhsa_reserve_vcc 1
		.amdhsa_float_round_mode_32 0
		.amdhsa_float_round_mode_16_64 0
		.amdhsa_float_denorm_mode_32 3
		.amdhsa_float_denorm_mode_16_64 3
		.amdhsa_dx10_clamp 1
		.amdhsa_ieee_mode 1
		.amdhsa_fp16_overflow 0
		.amdhsa_tg_split 0
		.amdhsa_exception_fp_ieee_invalid_op 0
		.amdhsa_exception_fp_denorm_src 0
		.amdhsa_exception_fp_ieee_div_zero 0
		.amdhsa_exception_fp_ieee_overflow 0
		.amdhsa_exception_fp_ieee_underflow 0
		.amdhsa_exception_fp_ieee_inexact 0
		.amdhsa_exception_int_div_zero 0
	.end_amdhsa_kernel
	.section	.text._ZL26rocblas_hemvn_kernel_lowerILb0ELi64ELi4ELi33ELi32ELi16ElPKfS1_PfEviT6_lT7_lT5_lS4_lS5_lS3_lT8_i,"axG",@progbits,_ZL26rocblas_hemvn_kernel_lowerILb0ELi64ELi4ELi33ELi32ELi16ElPKfS1_PfEviT6_lT7_lT5_lS4_lS5_lS3_lT8_i,comdat
.Lfunc_end81:
	.size	_ZL26rocblas_hemvn_kernel_lowerILb0ELi64ELi4ELi33ELi32ELi16ElPKfS1_PfEviT6_lT7_lT5_lS4_lS5_lS3_lT8_i, .Lfunc_end81-_ZL26rocblas_hemvn_kernel_lowerILb0ELi64ELi4ELi33ELi32ELi16ElPKfS1_PfEviT6_lT7_lT5_lS4_lS5_lS3_lT8_i
                                        ; -- End function
	.section	.AMDGPU.csdata,"",@progbits
; Kernel info:
; codeLenInByte = 5708
; NumSgprs: 56
; NumVgprs: 66
; NumAgprs: 0
; TotalNumVgprs: 66
; ScratchSize: 0
; MemoryBound: 0
; FloatMode: 240
; IeeeMode: 1
; LDSByteSize: 4800 bytes/workgroup (compile time only)
; SGPRBlocks: 6
; VGPRBlocks: 8
; NumSGPRsForWavesPerEU: 56
; NumVGPRsForWavesPerEU: 66
; AccumOffset: 68
; Occupancy: 7
; WaveLimiterHint : 0
; COMPUTE_PGM_RSRC2:SCRATCH_EN: 0
; COMPUTE_PGM_RSRC2:USER_SGPR: 2
; COMPUTE_PGM_RSRC2:TRAP_HANDLER: 0
; COMPUTE_PGM_RSRC2:TGID_X_EN: 1
; COMPUTE_PGM_RSRC2:TGID_Y_EN: 0
; COMPUTE_PGM_RSRC2:TGID_Z_EN: 1
; COMPUTE_PGM_RSRC2:TIDIG_COMP_CNT: 1
; COMPUTE_PGM_RSRC3_GFX90A:ACCUM_OFFSET: 16
; COMPUTE_PGM_RSRC3_GFX90A:TG_SPLIT: 0
	.section	.text._ZL36rocblas_hemvn_kernel_lower_block_sumILi64ElPKfPffEviT1_lS3_lT2_lT0_lPT3_i,"axG",@progbits,_ZL36rocblas_hemvn_kernel_lower_block_sumILi64ElPKfPffEviT1_lS3_lT2_lT0_lPT3_i,comdat
	.globl	_ZL36rocblas_hemvn_kernel_lower_block_sumILi64ElPKfPffEviT1_lS3_lT2_lT0_lPT3_i ; -- Begin function _ZL36rocblas_hemvn_kernel_lower_block_sumILi64ElPKfPffEviT1_lS3_lT2_lT0_lPT3_i
	.p2align	8
	.type	_ZL36rocblas_hemvn_kernel_lower_block_sumILi64ElPKfPffEviT1_lS3_lT2_lT0_lPT3_i,@function
_ZL36rocblas_hemvn_kernel_lower_block_sumILi64ElPKfPffEviT1_lS3_lT2_lT0_lPT3_i: ; @_ZL36rocblas_hemvn_kernel_lower_block_sumILi64ElPKfPffEviT1_lS3_lT2_lT0_lPT3_i
; %bb.0:
	s_load_dwordx8 s[4:11], s[0:1], 0x8
	s_waitcnt lgkmcnt(0)
	s_mul_i32 s7, s3, s7
	s_mul_hi_u32 s12, s3, s6
	s_add_i32 s7, s12, s7
	s_mul_i32 s6, s3, s6
	s_lshl_b64 s[6:7], s[6:7], 2
	s_add_u32 s4, s4, s6
	s_addc_u32 s5, s5, s7
	s_load_dword s18, s[4:5], 0x0
	s_mul_i32 s4, s3, s11
	s_mul_hi_u32 s5, s3, s10
	s_add_i32 s5, s5, s4
	s_mul_i32 s4, s3, s10
	s_lshl_b64 s[4:5], s[4:5], 2
	s_add_u32 s4, s8, s4
	s_addc_u32 s5, s9, s5
	s_load_dword s19, s[4:5], 0x0
	s_waitcnt lgkmcnt(0)
	v_cmp_eq_f32_e64 s[4:5], s18, 0
	v_cmp_eq_f32_e64 s[6:7], s19, 1.0
	s_and_b64 s[4:5], s[4:5], s[6:7]
	s_and_b64 vcc, exec, s[4:5]
	s_cbranch_vccnz .LBB82_19
; %bb.1:
	s_load_dwordx2 s[8:9], s[0:1], 0x40
	s_load_dwordx4 s[4:7], s[0:1], 0x30
	s_load_dwordx2 s[10:11], s[0:1], 0x28
	s_load_dword s12, s[0:1], 0x0
	v_lshl_or_b32 v2, s2, 6, v0
	s_waitcnt lgkmcnt(0)
	s_mul_i32 s9, s3, s9
	s_mul_hi_u32 s13, s3, s8
	s_add_i32 s9, s13, s9
	s_mul_i32 s8, s3, s8
	s_lshl_b64 s[8:9], s[8:9], 2
	s_add_u32 s8, s10, s8
	s_addc_u32 s9, s11, s9
	s_lshl_b64 s[4:5], s[4:5], 2
	s_add_u32 s8, s8, s4
	s_addc_u32 s9, s9, s5
	v_cmp_neq_f32_e64 s[4:5], s18, 0
	s_and_b64 vcc, exec, s[4:5]
	v_cmp_gt_i32_e64 s[4:5], s12, v2
	s_cbranch_vccnz .LBB82_6
; %bb.2:
	s_mov_b64 s[14:15], 0
	s_mov_b64 s[10:11], 0
                                        ; implicit-def: $vgpr3
                                        ; implicit-def: $vgpr0_vgpr1
	s_and_saveexec_b64 s[16:17], s[4:5]
	s_cbranch_execz .LBB82_7
; %bb.3:
	v_ashrrev_i32_e32 v0, 31, v2
	v_cmp_eq_f32_e64 s[4:5], s19, 0
	v_mul_lo_u32 v4, v2, s7
	v_mul_lo_u32 v5, v0, s6
	v_mad_u64_u32 v[0:1], s[10:11], v2, s6, 0
	v_mov_b32_e32 v3, 0
	v_add3_u32 v1, v1, v4, v5
	s_and_b64 vcc, exec, s[4:5]
	s_cbranch_vccnz .LBB82_5
; %bb.4:
	v_lshl_add_u64 v[4:5], v[0:1], 2, s[8:9]
	global_load_dword v3, v[4:5], off
	s_waitcnt vmcnt(0)
	v_mul_f32_e32 v3, s19, v3
.LBB82_5:
	s_mov_b64 s[10:11], exec
	s_or_b64 exec, exec, s[16:17]
	s_and_b64 vcc, exec, s[14:15]
	s_cbranch_vccnz .LBB82_8
	s_branch .LBB82_17
.LBB82_6:
	s_mov_b64 s[10:11], 0
                                        ; implicit-def: $vgpr3
                                        ; implicit-def: $vgpr0_vgpr1
	s_cbranch_execnz .LBB82_8
	s_branch .LBB82_17
.LBB82_7:
	s_or_b64 exec, exec, s[16:17]
	s_and_b64 vcc, exec, s[14:15]
	s_cbranch_vccz .LBB82_17
.LBB82_8:
	v_cmp_gt_i32_e32 vcc, s12, v2
                                        ; implicit-def: $vgpr3
                                        ; implicit-def: $vgpr0_vgpr1
	s_and_saveexec_b64 s[4:5], vcc
	s_cbranch_execz .LBB82_16
; %bb.9:
	s_load_dword s14, s[0:1], 0x58
	v_mov_b32_e32 v4, 0
	s_waitcnt lgkmcnt(0)
	s_cmp_ge_i32 s2, s14
	s_cbranch_scc1 .LBB82_12
; %bb.10:
	s_ashr_i32 s13, s12, 31
	s_mul_i32 s15, s2, s12
	s_load_dwordx2 s[0:1], s[0:1], 0x48
	v_add_u32_e32 v0, s15, v2
	s_mul_hi_u32 s15, s12, s3
	s_mul_i32 s16, s13, s3
	s_add_i32 s15, s15, s16
	s_mul_i32 s3, s12, s3
	s_mul_i32 s15, s15, s14
	s_mul_hi_u32 s16, s3, s14
	s_add_i32 s17, s16, s15
	s_mul_i32 s16, s3, s14
	s_lshl_b64 s[16:17], s[16:17], 2
	s_waitcnt lgkmcnt(0)
	s_add_u32 s0, s0, s16
	v_ashrrev_i32_e32 v1, 31, v0
	s_addc_u32 s1, s1, s17
	v_lshl_add_u64 v[0:1], v[0:1], 2, s[0:1]
	s_lshl_b64 s[0:1], s[12:13], 2
	v_mov_b32_e32 v4, 0
.LBB82_11:                              ; =>This Inner Loop Header: Depth=1
	global_load_dword v3, v[0:1], off
	s_add_i32 s2, s2, 1
	v_lshl_add_u64 v[0:1], v[0:1], 0, s[0:1]
	s_cmp_ge_i32 s2, s14
	s_waitcnt vmcnt(0)
	v_add_f32_e32 v4, v4, v3
	s_cbranch_scc0 .LBB82_11
.LBB82_12:
	v_cmp_eq_f32_e64 s[0:1], s19, 0
	v_ashrrev_i32_e32 v0, 31, v2
	s_and_b64 vcc, exec, s[0:1]
	v_mul_lo_u32 v5, v2, s7
	v_mul_lo_u32 v6, v0, s6
	s_cbranch_vccz .LBB82_20
; %bb.13:
	v_mad_u64_u32 v[0:1], s[0:1], v2, s6, 0
	v_mul_f32_e32 v3, s18, v4
	v_add3_u32 v1, v1, v5, v6
	s_cbranch_execnz .LBB82_15
.LBB82_14:
	v_mad_u64_u32 v[0:1], s[0:1], v2, s6, 0
	v_add3_u32 v1, v1, v5, v6
	v_lshl_add_u64 v[2:3], v[0:1], 2, s[8:9]
	global_load_dword v2, v[2:3], off
	s_waitcnt vmcnt(0)
	v_mul_f32_e32 v3, s19, v2
	v_fmac_f32_e32 v3, s18, v4
.LBB82_15:
	s_or_b64 s[10:11], s[10:11], exec
.LBB82_16:
	s_or_b64 exec, exec, s[4:5]
.LBB82_17:
	s_and_saveexec_b64 s[0:1], s[10:11]
	s_cbranch_execz .LBB82_19
; %bb.18:
	v_lshl_add_u64 v[0:1], v[0:1], 2, s[8:9]
	global_store_dword v[0:1], v3, off
.LBB82_19:
	s_endpgm
.LBB82_20:
                                        ; implicit-def: $vgpr3
                                        ; implicit-def: $vgpr0_vgpr1
	s_branch .LBB82_14
	.section	.rodata,"a",@progbits
	.p2align	6, 0x0
	.amdhsa_kernel _ZL36rocblas_hemvn_kernel_lower_block_sumILi64ElPKfPffEviT1_lS3_lT2_lT0_lPT3_i
		.amdhsa_group_segment_fixed_size 0
		.amdhsa_private_segment_fixed_size 0
		.amdhsa_kernarg_size 344
		.amdhsa_user_sgpr_count 2
		.amdhsa_user_sgpr_dispatch_ptr 0
		.amdhsa_user_sgpr_queue_ptr 0
		.amdhsa_user_sgpr_kernarg_segment_ptr 1
		.amdhsa_user_sgpr_dispatch_id 0
		.amdhsa_user_sgpr_kernarg_preload_length 0
		.amdhsa_user_sgpr_kernarg_preload_offset 0
		.amdhsa_user_sgpr_private_segment_size 0
		.amdhsa_uses_dynamic_stack 0
		.amdhsa_enable_private_segment 0
		.amdhsa_system_sgpr_workgroup_id_x 1
		.amdhsa_system_sgpr_workgroup_id_y 0
		.amdhsa_system_sgpr_workgroup_id_z 1
		.amdhsa_system_sgpr_workgroup_info 0
		.amdhsa_system_vgpr_workitem_id 0
		.amdhsa_next_free_vgpr 7
		.amdhsa_next_free_sgpr 20
		.amdhsa_accum_offset 8
		.amdhsa_reserve_vcc 1
		.amdhsa_float_round_mode_32 0
		.amdhsa_float_round_mode_16_64 0
		.amdhsa_float_denorm_mode_32 3
		.amdhsa_float_denorm_mode_16_64 3
		.amdhsa_dx10_clamp 1
		.amdhsa_ieee_mode 1
		.amdhsa_fp16_overflow 0
		.amdhsa_tg_split 0
		.amdhsa_exception_fp_ieee_invalid_op 0
		.amdhsa_exception_fp_denorm_src 0
		.amdhsa_exception_fp_ieee_div_zero 0
		.amdhsa_exception_fp_ieee_overflow 0
		.amdhsa_exception_fp_ieee_underflow 0
		.amdhsa_exception_fp_ieee_inexact 0
		.amdhsa_exception_int_div_zero 0
	.end_amdhsa_kernel
	.section	.text._ZL36rocblas_hemvn_kernel_lower_block_sumILi64ElPKfPffEviT1_lS3_lT2_lT0_lPT3_i,"axG",@progbits,_ZL36rocblas_hemvn_kernel_lower_block_sumILi64ElPKfPffEviT1_lS3_lT2_lT0_lPT3_i,comdat
.Lfunc_end82:
	.size	_ZL36rocblas_hemvn_kernel_lower_block_sumILi64ElPKfPffEviT1_lS3_lT2_lT0_lPT3_i, .Lfunc_end82-_ZL36rocblas_hemvn_kernel_lower_block_sumILi64ElPKfPffEviT1_lS3_lT2_lT0_lPT3_i
                                        ; -- End function
	.section	.AMDGPU.csdata,"",@progbits
; Kernel info:
; codeLenInByte = 668
; NumSgprs: 26
; NumVgprs: 7
; NumAgprs: 0
; TotalNumVgprs: 7
; ScratchSize: 0
; MemoryBound: 0
; FloatMode: 240
; IeeeMode: 1
; LDSByteSize: 0 bytes/workgroup (compile time only)
; SGPRBlocks: 3
; VGPRBlocks: 0
; NumSGPRsForWavesPerEU: 26
; NumVGPRsForWavesPerEU: 7
; AccumOffset: 8
; Occupancy: 8
; WaveLimiterHint : 0
; COMPUTE_PGM_RSRC2:SCRATCH_EN: 0
; COMPUTE_PGM_RSRC2:USER_SGPR: 2
; COMPUTE_PGM_RSRC2:TRAP_HANDLER: 0
; COMPUTE_PGM_RSRC2:TGID_X_EN: 1
; COMPUTE_PGM_RSRC2:TGID_Y_EN: 0
; COMPUTE_PGM_RSRC2:TGID_Z_EN: 1
; COMPUTE_PGM_RSRC2:TIDIG_COMP_CNT: 0
; COMPUTE_PGM_RSRC3_GFX90A:ACCUM_OFFSET: 1
; COMPUTE_PGM_RSRC3_GFX90A:TG_SPLIT: 0
	.section	.text._ZL26rocblas_hemvn_kernel_lowerILb0ELi64ELi4ELi33ELi32ELi16EiPKfS1_PfEviT6_lT7_lT5_lS4_lS5_lS3_lT8_i,"axG",@progbits,_ZL26rocblas_hemvn_kernel_lowerILb0ELi64ELi4ELi33ELi32ELi16EiPKfS1_PfEviT6_lT7_lT5_lS4_lS5_lS3_lT8_i,comdat
	.globl	_ZL26rocblas_hemvn_kernel_lowerILb0ELi64ELi4ELi33ELi32ELi16EiPKfS1_PfEviT6_lT7_lT5_lS4_lS5_lS3_lT8_i ; -- Begin function _ZL26rocblas_hemvn_kernel_lowerILb0ELi64ELi4ELi33ELi32ELi16EiPKfS1_PfEviT6_lT7_lT5_lS4_lS5_lS3_lT8_i
	.p2align	8
	.type	_ZL26rocblas_hemvn_kernel_lowerILb0ELi64ELi4ELi33ELi32ELi16EiPKfS1_PfEviT6_lT7_lT5_lS4_lS5_lS3_lT8_i,@function
_ZL26rocblas_hemvn_kernel_lowerILb0ELi64ELi4ELi33ELi32ELi16EiPKfS1_PfEviT6_lT7_lT5_lS4_lS5_lS3_lT8_i: ; @_ZL26rocblas_hemvn_kernel_lowerILb0ELi64ELi4ELi33ELi32ELi16EiPKfS1_PfEviT6_lT7_lT5_lS4_lS5_lS3_lT8_i
; %bb.0:
	s_load_dwordx2 s[4:5], s[0:1], 0x84
	s_add_u32 s12, s0, 0x78
	s_addc_u32 s13, s1, 0
	s_waitcnt lgkmcnt(0)
	s_lshr_b32 s6, s4, 16
	s_and_b32 s4, s4, 0xffff
	s_and_b32 s5, s5, 0xffff
	s_mul_i32 s4, s6, s4
	s_mul_i32 s4, s4, s5
	s_cmpk_lg_i32 s4, 0x100
	s_cbranch_scc1 .LBB83_76
; %bb.1:
	s_load_dwordx8 s[4:11], s[0:1], 0x8
	s_load_dwordx8 s[16:23], s[0:1], 0x50
	s_waitcnt lgkmcnt(0)
	s_mul_i32 s7, s3, s7
	s_mul_hi_u32 s14, s3, s6
	s_mul_i32 s6, s3, s6
	s_add_i32 s7, s14, s7
	s_lshl_b64 s[6:7], s[6:7], 2
	s_add_u32 s4, s4, s6
	s_addc_u32 s5, s5, s7
	s_mul_i32 s15, s3, s21
	s_load_dword s6, s[4:5], 0x0
	s_mul_hi_u32 s4, s3, s20
	s_add_i32 s5, s4, s15
	s_mul_i32 s4, s3, s20
	s_lshl_b64 s[4:5], s[4:5], 2
	s_add_u32 s4, s18, s4
	s_addc_u32 s5, s19, s5
	s_load_dword s7, s[4:5], 0x0
	s_waitcnt lgkmcnt(0)
	v_cmp_eq_f32_e64 s[4:5], s6, 0
	v_cmp_eq_f32_e64 s[6:7], s7, 1.0
	s_and_b64 s[6:7], s[4:5], s[6:7]
	s_and_b64 vcc, exec, s[6:7]
	s_cbranch_vccnz .LBB83_76
; %bb.2:
	s_and_b64 vcc, exec, s[4:5]
	s_cbranch_vccnz .LBB83_76
; %bb.3:
	s_load_dword s39, s[12:13], 0x0
	s_load_dword s38, s[0:1], 0x0
	s_load_dwordx4 s[4:7], s[0:1], 0x30
	s_load_dwordx2 s[14:15], s[0:1], 0x40
	s_load_dword s33, s[0:1], 0x48
	s_mul_i32 s12, s3, s17
	s_mul_hi_u32 s13, s3, s16
	s_add_i32 s13, s13, s12
	s_mul_i32 s12, s3, s16
	s_lshl_b64 s[12:13], s[12:13], 2
	s_waitcnt lgkmcnt(0)
	s_add_u32 s12, s6, s12
	s_addc_u32 s13, s7, s13
	s_lshl_b64 s[6:7], s[14:15], 2
	s_add_u32 s6, s12, s6
	s_addc_u32 s7, s13, s7
	s_ashr_i32 s40, s38, 31
	s_lshr_b32 s13, s40, 26
	v_and_b32_e32 v17, 0x3ff, v0
	s_lshl_b32 s26, s2, 6
	s_add_i32 s13, s38, s13
	s_andn2_b32 s13, s13, 63
	v_add_u32_e32 v4, s26, v17
	v_bfe_u32 v5, v0, 10, 10
	s_add_i32 s12, s39, -1
	s_sub_i32 s13, s38, s13
	v_mul_lo_u32 v0, v4, s33
	s_cmp_eq_u32 s2, s12
	v_ashrrev_i32_e32 v1, 31, v0
	s_cselect_b32 s24, s13, 0
	v_lshl_add_u64 v[6:7], v[0:1], 2, s[6:7]
	v_cmp_ne_u32_e64 s[16:17], 0, v5
	v_cmp_eq_u32_e64 s[18:19], 0, v5
	s_and_saveexec_b64 s[6:7], s[18:19]
	s_cbranch_execz .LBB83_7
; %bb.4:
	s_cmp_eq_u32 s24, 0
	s_cselect_b64 s[12:13], -1, 0
	v_cmp_gt_i32_e32 vcc, s24, v17
	s_or_b64 s[14:15], s[12:13], vcc
	v_mov_b32_e32 v0, 0
	s_and_saveexec_b64 s[12:13], s[14:15]
	s_cbranch_execz .LBB83_6
; %bb.5:
	global_load_dword v0, v[6:7], off
.LBB83_6:
	s_or_b64 exec, exec, s[12:13]
	v_lshlrev_b32_e32 v1, 2, v17
	s_waitcnt vmcnt(0)
	ds_write_b32 v1, v0 offset:4544
.LBB83_7:
	s_or_b64 exec, exec, s[6:7]
	s_mul_i32 s5, s3, s5
	s_mul_hi_u32 s6, s3, s4
	s_add_i32 s5, s6, s5
	s_mul_i32 s4, s3, s4
	s_lshl_b64 s[4:5], s[4:5], 2
	s_add_u32 s6, s8, s4
	s_addc_u32 s7, s9, s5
	s_lshl_b64 s[4:5], s[10:11], 2
	s_load_dword s20, s[0:1], 0x28
	s_add_u32 s4, s6, s4
	s_addc_u32 s5, s7, s5
	s_ashr_i32 s27, s26, 31
	v_lshl_add_u32 v18, v5, 6, v17
	s_lshl_b64 s[0:1], s[26:27], 2
	v_and_b32_e32 v0, 31, v17
	v_lshrrev_b32_e32 v1, 5, v18
	s_add_u32 s4, s4, s0
	s_addc_u32 s5, s5, s1
	s_waitcnt lgkmcnt(0)
	v_mad_u64_u32 v[8:9], s[0:1], v1, s20, v[0:1]
	s_mul_i32 s0, s26, s20
	s_ashr_i32 s1, s0, 31
	s_lshl_b64 s[28:29], s[0:1], 2
	s_add_u32 s0, s28, s4
	s_addc_u32 s1, s29, s5
	s_cmp_lg_u32 s24, 0
	v_ashrrev_i32_e32 v9, 31, v8
	s_cselect_b64 s[30:31], -1, 0
	s_cmp_eq_u32 s24, 0
	v_lshl_add_u64 v[2:3], v[8:9], 2, s[0:1]
	s_cselect_b64 s[34:35], -1, 0
	s_and_b64 vcc, exec, s[30:31]
	s_cbranch_vccnz .LBB83_9
; %bb.8:
	s_lshl_b32 s0, s20, 3
	s_ashr_i32 s1, s0, 31
	s_ashr_i32 s21, s20, 31
	global_load_dword v12, v[2:3], off
	v_lshl_add_u64 v[10:11], s[0:1], 2, v[2:3]
	global_load_dword v13, v[10:11], off
	s_lshl_b64 s[0:1], s[20:21], 5
	v_lshl_add_u64 v[10:11], v[10:11], 0, s[0:1]
	global_load_dword v14, v[10:11], off
	v_lshl_add_u64 v[10:11], v[10:11], 0, s[0:1]
	global_load_dword v10, v[10:11], off
	v_mul_u32_u24_e32 v11, 33, v1
	v_add_lshl_u32 v11, v11, v0, 2
	s_waitcnt vmcnt(3)
	ds_write_b32 v11, v12
	s_waitcnt vmcnt(2)
	ds_write_b32 v11, v13 offset:1056
	s_waitcnt vmcnt(1)
	ds_write_b32 v11, v14 offset:2112
	;; [unrolled: 2-line block ×3, first 2 shown]
	s_cbranch_execz .LBB83_10
	s_branch .LBB83_19
.LBB83_9:
.LBB83_10:
	v_lshlrev_b32_e32 v10, 2, v0
	v_sub_co_u32_e32 v12, vcc, v2, v10
	s_ashr_i32 s25, s24, 31
	s_nop 0
	v_subbrev_co_u32_e32 v13, vcc, 0, v3, vcc
	v_lshl_add_u64 v[12:13], s[24:25], 2, v[12:13]
	v_lshl_add_u64 v[12:13], v[12:13], 0, -4
	v_cmp_gt_i32_e32 vcc, s24, v0
	v_cmp_gt_i32_e64 s[0:1], s24, v1
	v_mov_b32_e32 v14, 0
	v_cndmask_b32_e32 v13, v13, v3, vcc
	v_cndmask_b32_e32 v12, v12, v2, vcc
	v_mov_b32_e32 v15, 0
	s_and_saveexec_b64 s[4:5], s[0:1]
	s_cbranch_execz .LBB83_12
; %bb.11:
	global_load_dword v15, v[12:13], off
.LBB83_12:
	s_or_b64 exec, exec, s[4:5]
	v_mul_u32_u24_e32 v11, 33, v1
	v_add_lshl_u32 v11, v11, v0, 2
	s_waitcnt vmcnt(0)
	ds_write_b32 v11, v15
	v_add_u32_e32 v15, 8, v1
	v_cmp_gt_i32_e64 s[0:1], s24, v15
	s_and_saveexec_b64 s[4:5], s[0:1]
	s_cbranch_execz .LBB83_14
; %bb.13:
	s_lshl_b32 s0, s20, 3
	s_ashr_i32 s1, s0, 31
	v_lshl_add_u64 v[14:15], s[0:1], 2, v[12:13]
	global_load_dword v14, v[14:15], off
.LBB83_14:
	s_or_b64 exec, exec, s[4:5]
	s_waitcnt vmcnt(0)
	ds_write_b32 v11, v14 offset:1056
	v_add_u32_e32 v14, 16, v1
	v_cmp_gt_i32_e64 s[0:1], s24, v14
	v_mov_b32_e32 v14, 0
	v_mov_b32_e32 v15, 0
	s_and_saveexec_b64 s[4:5], s[0:1]
	s_cbranch_execz .LBB83_16
; %bb.15:
	s_lshl_b32 s0, s20, 4
	s_ashr_i32 s1, s0, 31
	v_lshl_add_u64 v[20:21], s[0:1], 2, v[12:13]
	global_load_dword v15, v[20:21], off
.LBB83_16:
	s_or_b64 exec, exec, s[4:5]
	s_waitcnt vmcnt(0)
	ds_write_b32 v11, v15 offset:2112
	v_add_u32_e32 v15, 24, v1
	v_cmp_gt_i32_e64 s[0:1], s24, v15
	s_and_saveexec_b64 s[4:5], s[0:1]
	s_cbranch_execz .LBB83_18
; %bb.17:
	s_mul_i32 s0, s20, 24
	s_ashr_i32 s1, s0, 31
	v_lshl_add_u64 v[14:15], s[0:1], 2, v[12:13]
	global_load_dword v14, v[14:15], off
.LBB83_18:
	s_or_b64 exec, exec, s[4:5]
	s_waitcnt vmcnt(0)
	ds_write_b32 v11, v14 offset:3168
	v_mov_b32_e32 v11, 0
	v_lshl_add_u64 v[10:11], v[12:13], 0, v[10:11]
	s_lshl_b64 s[0:1], s[24:25], 2
	v_mov_b32_e32 v12, s1
	v_subrev_co_u32_e64 v10, s[0:1], s0, v10
	s_nop 1
	v_subb_co_u32_e64 v11, s[0:1], v11, v12, s[0:1]
	v_lshl_add_u64 v[10:11], v[10:11], 0, 4
	v_cndmask_b32_e32 v3, v11, v3, vcc
	v_cndmask_b32_e32 v2, v10, v2, vcc
.LBB83_19:
	v_lshlrev_b32_e32 v14, 2, v1
	v_mul_u32_u24_e32 v19, 33, v0
	v_cmp_lt_u32_e64 s[6:7], v14, v0
	v_add_lshl_u32 v20, v14, v19, 2
	s_waitcnt lgkmcnt(0)
	s_barrier
	s_and_saveexec_b64 s[0:1], s[6:7]
	s_cbranch_execz .LBB83_21
; %bb.20:
	v_mul_u32_u24_e32 v10, 0x84, v1
	v_add_lshl_u32 v10, v10, v0, 2
	ds_read_b32 v10, v10
	s_waitcnt lgkmcnt(0)
	ds_write_b32 v20, v10
.LBB83_21:
	s_or_b64 exec, exec, s[0:1]
	v_or_b32_e32 v10, 1, v14
	v_cmp_lt_u32_e64 s[8:9], v10, v0
	s_and_saveexec_b64 s[0:1], s[8:9]
	s_cbranch_execz .LBB83_23
; %bb.22:
	v_mul_u32_u24_e32 v10, 33, v10
	v_add_lshl_u32 v10, v10, v0, 2
	ds_read_b32 v10, v10
	s_waitcnt lgkmcnt(0)
	ds_write_b32 v20, v10 offset:4
.LBB83_23:
	s_or_b64 exec, exec, s[0:1]
	v_or_b32_e32 v10, 2, v14
	v_cmp_lt_u32_e64 s[10:11], v10, v0
	s_and_saveexec_b64 s[0:1], s[10:11]
	s_cbranch_execz .LBB83_25
; %bb.24:
	v_mul_u32_u24_e32 v10, 33, v10
	v_add_lshl_u32 v10, v10, v0, 2
	ds_read_b32 v10, v10
	s_waitcnt lgkmcnt(0)
	ds_write_b32 v20, v10 offset:8
.LBB83_25:
	s_or_b64 exec, exec, s[0:1]
	v_or_b32_e32 v10, 3, v14
	v_cmp_lt_u32_e64 s[12:13], v10, v0
	v_mad_u32_u24 v10, v10, 33, v0
	v_lshlrev_b32_e32 v15, 2, v10
	s_and_saveexec_b64 s[0:1], s[12:13]
	s_cbranch_execz .LBB83_27
; %bb.26:
	ds_read_b32 v10, v15
	s_waitcnt lgkmcnt(0)
	ds_write_b32 v20, v10 offset:12
.LBB83_27:
	s_or_b64 exec, exec, s[0:1]
	v_mul_u32_u24_e32 v10, 0x84, v1
	v_add_u32_e32 v24, 0xfffffef8, v15
	s_waitcnt lgkmcnt(0)
	s_barrier
	v_add_lshl_u32 v23, v10, v0, 2
	v_lshlrev_b32_e32 v22, 2, v14
	ds_read2_b32 v[26:27], v24 offset1:33
	ds_read_b32 v28, v23
	ds_read_b128 v[10:13], v22 offset:4544
	ds_read_b32 v31, v15
	v_add_lshl_u32 v21, v1, v19, 2
	s_waitcnt lgkmcnt(3)
	v_mov_b32_e32 v29, v26
	v_mov_b32_e32 v30, v27
	s_waitcnt lgkmcnt(1)
	v_pk_mul_f32 v[10:11], v[28:29], v[10:11]
	v_cmp_gt_u32_e64 s[4:5], 32, v18
	v_add_f32_e32 v10, 0, v10
	v_add_f32_e32 v16, v10, v11
	s_waitcnt lgkmcnt(0)
	v_pk_mul_f32 v[10:11], v[30:31], v[12:13]
	s_nop 0
	v_add_f32_e32 v10, v16, v10
	v_add_f32_e32 v10, v10, v11
	v_mov_b32_e32 v16, 0
	s_barrier
	ds_write_b32 v21, v10
	s_waitcnt lgkmcnt(0)
	s_barrier
	s_and_saveexec_b64 s[0:1], s[4:5]
	s_cbranch_execz .LBB83_29
; %bb.28:
	v_lshlrev_b32_e32 v16, 2, v19
	ds_read2_b32 v[10:11], v16 offset1:1
	ds_read2_b32 v[12:13], v16 offset0:2 offset1:3
	ds_read2_b32 v[26:27], v16 offset0:4 offset1:5
	;; [unrolled: 1-line block ×3, first 2 shown]
	s_waitcnt lgkmcnt(3)
	v_add_f32_e32 v10, v10, v11
	s_waitcnt lgkmcnt(2)
	v_add_f32_e32 v10, v10, v12
	v_add_f32_e32 v10, v10, v13
	s_waitcnt lgkmcnt(1)
	v_add_f32_e32 v10, v10, v26
	;; [unrolled: 3-line block ×3, first 2 shown]
	v_add_f32_e32 v16, v10, v29
.LBB83_29:
	s_or_b64 exec, exec, s[0:1]
	s_lshl_b32 s36, s20, 5
	s_ashr_i32 s37, s36, 31
	v_lshl_add_u64 v[10:11], s[36:37], 2, v[2:3]
	s_mov_b64 s[0:1], 0x80
	v_cndmask_b32_e64 v2, 0, 1, s[34:35]
	v_cmp_ne_u32_e64 s[14:15], 1, v2
	s_andn2_b64 vcc, exec, s[34:35]
	v_lshl_add_u64 v[2:3], v[10:11], 0, s[0:1]
	s_barrier
	s_cbranch_vccnz .LBB83_31
; %bb.30:
	s_lshl_b32 s0, s20, 3
	s_ashr_i32 s1, s0, 31
	s_ashr_i32 s21, s20, 31
	v_lshl_add_u64 v[12:13], s[0:1], 2, v[10:11]
	s_lshl_b64 s[0:1], s[20:21], 5
	v_lshl_add_u64 v[26:27], v[12:13], 0, s[0:1]
	v_lshl_add_u64 v[28:29], v[26:27], 0, s[0:1]
	global_load_dword v25, v[10:11], off offset:128
	global_load_dword v30, v[12:13], off offset:128
	;; [unrolled: 1-line block ×4, first 2 shown]
	v_mul_u32_u24_e32 v10, 33, v1
	v_add_lshl_u32 v10, v10, v0, 2
	s_waitcnt vmcnt(3)
	ds_write_b32 v10, v25
	s_waitcnt vmcnt(2)
	ds_write_b32 v10, v30 offset:1056
	s_waitcnt vmcnt(1)
	ds_write_b32 v10, v31 offset:2112
	;; [unrolled: 2-line block ×3, first 2 shown]
	s_cbranch_execz .LBB83_32
	s_branch .LBB83_41
.LBB83_31:
.LBB83_32:
	v_lshlrev_b32_e32 v10, 2, v0
	v_sub_co_u32_e32 v12, vcc, v2, v10
	s_ashr_i32 s25, s24, 31
	s_nop 0
	v_subbrev_co_u32_e32 v13, vcc, 0, v3, vcc
	s_movk_i32 s0, 0xff7c
	v_or_b32_e32 v11, 32, v0
	v_lshl_add_u64 v[12:13], s[24:25], 2, v[12:13]
	s_mov_b32 s1, -1
	v_lshl_add_u64 v[12:13], v[12:13], 0, s[0:1]
	v_cmp_gt_i32_e32 vcc, s24, v11
	s_sub_i32 s21, s24, 32
	v_cmp_gt_i32_e64 s[0:1], s21, v1
	v_cndmask_b32_e32 v13, v13, v3, vcc
	v_cndmask_b32_e32 v12, v12, v2, vcc
	v_mov_b32_e32 v25, 0
	v_mov_b32_e32 v26, 0
	s_and_saveexec_b64 s[34:35], s[0:1]
	s_cbranch_execz .LBB83_34
; %bb.33:
	global_load_dword v26, v[12:13], off
.LBB83_34:
	s_or_b64 exec, exec, s[34:35]
	v_mul_u32_u24_e32 v11, 33, v1
	v_add_lshl_u32 v11, v11, v0, 2
	s_waitcnt vmcnt(0)
	ds_write_b32 v11, v26
	v_add_u32_e32 v26, 8, v1
	v_cmp_gt_i32_e64 s[0:1], s21, v26
	s_and_saveexec_b64 s[34:35], s[0:1]
	s_cbranch_execz .LBB83_36
; %bb.35:
	s_lshl_b32 s0, s20, 3
	s_ashr_i32 s1, s0, 31
	v_lshl_add_u64 v[26:27], s[0:1], 2, v[12:13]
	global_load_dword v25, v[26:27], off
.LBB83_36:
	s_or_b64 exec, exec, s[34:35]
	s_waitcnt vmcnt(0)
	ds_write_b32 v11, v25 offset:1056
	v_add_u32_e32 v25, 16, v1
	v_cmp_gt_i32_e64 s[0:1], s21, v25
	v_mov_b32_e32 v25, 0
	v_mov_b32_e32 v26, 0
	s_and_saveexec_b64 s[34:35], s[0:1]
	s_cbranch_execz .LBB83_38
; %bb.37:
	s_lshl_b32 s0, s20, 4
	s_ashr_i32 s1, s0, 31
	v_lshl_add_u64 v[26:27], s[0:1], 2, v[12:13]
	global_load_dword v26, v[26:27], off
.LBB83_38:
	s_or_b64 exec, exec, s[34:35]
	s_waitcnt vmcnt(0)
	ds_write_b32 v11, v26 offset:2112
	v_add_u32_e32 v26, 24, v1
	v_cmp_gt_i32_e64 s[0:1], s21, v26
	s_and_saveexec_b64 s[34:35], s[0:1]
	s_cbranch_execz .LBB83_40
; %bb.39:
	s_mul_i32 s0, s20, 24
	s_ashr_i32 s1, s0, 31
	v_lshl_add_u64 v[26:27], s[0:1], 2, v[12:13]
	global_load_dword v25, v[26:27], off
.LBB83_40:
	s_or_b64 exec, exec, s[34:35]
	s_waitcnt vmcnt(0)
	ds_write_b32 v11, v25 offset:3168
	v_mov_b32_e32 v11, 0
	v_lshl_add_u64 v[10:11], v[12:13], 0, v[10:11]
	s_lshl_b64 s[0:1], s[24:25], 2
	v_mov_b32_e32 v12, s1
	v_subrev_co_u32_e64 v10, s[0:1], s0, v10
	s_nop 1
	v_subb_co_u32_e64 v11, s[0:1], v11, v12, s[0:1]
	s_mov_b64 s[0:1], 0x84
	s_nop 0
	v_lshl_add_u64 v[10:11], v[10:11], 0, s[0:1]
	v_cndmask_b32_e32 v3, v11, v3, vcc
	v_cndmask_b32_e32 v2, v10, v2, vcc
.LBB83_41:
	v_add_u32_e32 v22, 0x11c0, v22
	s_waitcnt lgkmcnt(0)
	s_barrier
	s_and_saveexec_b64 s[0:1], s[6:7]
	s_cbranch_execnz .LBB83_50
; %bb.42:
	s_or_b64 exec, exec, s[0:1]
	s_and_saveexec_b64 s[0:1], s[8:9]
	s_cbranch_execnz .LBB83_51
.LBB83_43:
	s_or_b64 exec, exec, s[0:1]
	s_and_saveexec_b64 s[0:1], s[10:11]
	s_cbranch_execnz .LBB83_52
.LBB83_44:
	s_or_b64 exec, exec, s[0:1]
	s_and_saveexec_b64 s[0:1], s[12:13]
	s_cbranch_execz .LBB83_46
.LBB83_45:
	ds_read_b32 v10, v15
	s_waitcnt lgkmcnt(0)
	ds_write_b32 v20, v10 offset:12
.LBB83_46:
	s_or_b64 exec, exec, s[0:1]
	s_waitcnt lgkmcnt(0)
	s_barrier
	ds_read_b32 v23, v23
	ds_read_b128 v[10:13], v22 offset:128
	ds_read2_b32 v[24:25], v24 offset1:33
	ds_read_b32 v15, v15
	v_cmp_eq_u32_e64 s[6:7], 1, v1
	s_waitcnt lgkmcnt(0)
	v_fma_f32 v10, v23, v10, 0
	v_fmac_f32_e32 v10, v24, v11
	v_fmac_f32_e32 v10, v25, v12
	;; [unrolled: 1-line block ×3, first 2 shown]
	s_barrier
	ds_write_b32 v21, v10
	s_waitcnt lgkmcnt(0)
	s_barrier
	s_and_saveexec_b64 s[0:1], s[6:7]
	s_cbranch_execz .LBB83_48
; %bb.47:
	v_lshlrev_b32_e32 v15, 2, v19
	ds_read2_b32 v[10:11], v15 offset1:1
	ds_read2_b32 v[12:13], v15 offset0:2 offset1:3
	ds_read2_b32 v[24:25], v15 offset0:4 offset1:5
	;; [unrolled: 1-line block ×3, first 2 shown]
	s_waitcnt lgkmcnt(3)
	v_add_f32_e32 v10, v10, v11
	s_waitcnt lgkmcnt(2)
	v_add_f32_e32 v10, v10, v12
	v_add_f32_e32 v10, v10, v13
	s_waitcnt lgkmcnt(1)
	v_add_f32_e32 v10, v10, v24
	;; [unrolled: 3-line block ×3, first 2 shown]
	v_add_f32_e32 v16, v10, v27
.LBB83_48:
	s_or_b64 exec, exec, s[0:1]
	s_lshl_b64 s[0:1], s[36:37], 2
	v_mov_b32_e32 v11, s1
	v_subrev_co_u32_e64 v10, s[0:1], s0, v2
	s_and_b64 vcc, exec, s[14:15]
	s_nop 0
	v_subb_co_u32_e64 v11, s[0:1], v3, v11, s[0:1]
	s_barrier
	s_cbranch_vccnz .LBB83_53
; %bb.49:
	s_lshl_b32 s0, s20, 3
	s_ashr_i32 s1, s0, 31
	s_ashr_i32 s21, s20, 31
	v_lshl_add_u64 v[2:3], s[0:1], 2, v[10:11]
	s_lshl_b64 s[0:1], s[20:21], 5
	v_lshl_add_u64 v[12:13], v[2:3], 0, s[0:1]
	v_lshl_add_u64 v[24:25], v[12:13], 0, s[0:1]
	global_load_dword v29, v[10:11], off
	global_load_dword v30, v[2:3], off
	;; [unrolled: 1-line block ×4, first 2 shown]
	v_mad_u32_u24 v23, v1, 33, v0
	v_add_u32_e32 v15, 8, v1
	v_add_u32_e32 v24, 16, v1
	;; [unrolled: 1-line block ×3, first 2 shown]
	v_lshlrev_b32_e32 v2, 2, v23
	v_add_u32_e32 v28, 0x108, v23
	v_add_u32_e32 v26, 0x210, v23
	;; [unrolled: 1-line block ×3, first 2 shown]
	s_waitcnt vmcnt(3)
	ds_write_b32 v2, v29
	s_waitcnt vmcnt(2)
	ds_write_b32 v2, v30 offset:1056
	s_waitcnt vmcnt(1)
	ds_write_b32 v2, v31 offset:2112
	;; [unrolled: 2-line block ×3, first 2 shown]
	s_cbranch_execz .LBB83_54
	s_branch .LBB83_63
.LBB83_50:
	ds_read_b32 v10, v23
	s_waitcnt lgkmcnt(0)
	ds_write_b32 v20, v10
	s_or_b64 exec, exec, s[0:1]
	s_and_saveexec_b64 s[0:1], s[8:9]
	s_cbranch_execz .LBB83_43
.LBB83_51:
	ds_read_b32 v10, v24
	s_waitcnt lgkmcnt(0)
	ds_write_b32 v20, v10 offset:4
	s_or_b64 exec, exec, s[0:1]
	s_and_saveexec_b64 s[0:1], s[10:11]
	s_cbranch_execz .LBB83_44
.LBB83_52:
	ds_read_b32 v10, v24 offset:132
	s_waitcnt lgkmcnt(0)
	ds_write_b32 v20, v10 offset:8
	s_or_b64 exec, exec, s[0:1]
	s_and_saveexec_b64 s[0:1], s[12:13]
	s_cbranch_execnz .LBB83_45
	s_branch .LBB83_46
.LBB83_53:
                                        ; implicit-def: $vgpr23
                                        ; implicit-def: $vgpr15
                                        ; implicit-def: $vgpr28
                                        ; implicit-def: $vgpr24
                                        ; implicit-def: $vgpr26
                                        ; implicit-def: $vgpr25
                                        ; implicit-def: $vgpr27
.LBB83_54:
	v_lshlrev_b32_e32 v2, 2, v0
	v_sub_co_u32_e32 v12, vcc, v10, v2
	s_ashr_i32 s25, s24, 31
	s_nop 0
	v_subbrev_co_u32_e32 v13, vcc, 0, v11, vcc
	s_movk_i32 s0, 0xff7c
	v_or_b32_e32 v3, 32, v0
	v_lshl_add_u64 v[12:13], s[24:25], 2, v[12:13]
	s_mov_b32 s1, -1
	v_lshl_add_u64 v[12:13], v[12:13], 0, s[0:1]
	v_cmp_gt_i32_e32 vcc, s24, v3
	v_cmp_gt_i32_e64 s[0:1], s24, v1
	v_mov_b32_e32 v3, 0
	v_cndmask_b32_e32 v13, v13, v11, vcc
	v_cndmask_b32_e32 v12, v12, v10, vcc
	v_mov_b32_e32 v15, 0
	s_and_saveexec_b64 s[8:9], s[0:1]
	s_cbranch_execz .LBB83_56
; %bb.55:
	global_load_dword v15, v[12:13], off
.LBB83_56:
	s_or_b64 exec, exec, s[8:9]
	v_mad_u32_u24 v23, v1, 33, v0
	v_lshlrev_b32_e32 v0, 2, v23
	s_waitcnt vmcnt(0)
	ds_write_b32 v0, v15
	v_add_u32_e32 v15, 8, v1
	v_cmp_gt_i32_e64 s[0:1], s24, v15
	s_and_saveexec_b64 s[8:9], s[0:1]
	s_cbranch_execz .LBB83_58
; %bb.57:
	s_lshl_b32 s0, s20, 3
	s_ashr_i32 s1, s0, 31
	v_lshl_add_u64 v[24:25], s[0:1], 2, v[12:13]
	global_load_dword v3, v[24:25], off
.LBB83_58:
	s_or_b64 exec, exec, s[8:9]
	v_add_u32_e32 v24, 16, v1
	s_waitcnt vmcnt(0)
	ds_write_b32 v0, v3 offset:1056
	v_cmp_gt_i32_e64 s[0:1], s24, v24
	v_mov_b32_e32 v3, 0
	v_mov_b32_e32 v25, 0
	s_and_saveexec_b64 s[8:9], s[0:1]
	s_cbranch_execz .LBB83_60
; %bb.59:
	s_lshl_b32 s0, s20, 4
	s_ashr_i32 s1, s0, 31
	v_lshl_add_u64 v[26:27], s[0:1], 2, v[12:13]
	global_load_dword v25, v[26:27], off
.LBB83_60:
	s_or_b64 exec, exec, s[8:9]
	s_waitcnt vmcnt(0)
	ds_write_b32 v0, v25 offset:2112
	v_add_u32_e32 v25, 24, v1
	v_cmp_gt_i32_e64 s[0:1], s24, v25
	s_and_saveexec_b64 s[8:9], s[0:1]
	s_cbranch_execz .LBB83_62
; %bb.61:
	s_mul_i32 s0, s20, 24
	s_ashr_i32 s1, s0, 31
	v_lshl_add_u64 v[26:27], s[0:1], 2, v[12:13]
	global_load_dword v3, v[26:27], off
.LBB83_62:
	s_or_b64 exec, exec, s[8:9]
	s_waitcnt vmcnt(0)
	ds_write_b32 v0, v3 offset:3168
	v_mov_b32_e32 v3, 0
	v_lshl_add_u64 v[0:1], v[12:13], 0, v[2:3]
	s_lshl_b64 s[0:1], s[24:25], 2
	v_mov_b32_e32 v2, s1
	v_subrev_co_u32_e64 v0, s[0:1], s0, v0
	v_add_u32_e32 v28, 0x108, v23
	s_nop 0
	v_subb_co_u32_e64 v1, s[0:1], v1, v2, s[0:1]
	s_mov_b64 s[0:1], 0x84
	s_nop 0
	v_lshl_add_u64 v[0:1], v[0:1], 0, s[0:1]
	v_add_u32_e32 v26, 0x210, v23
	v_add_u32_e32 v27, 0x318, v23
	v_cndmask_b32_e32 v11, v1, v11, vcc
	v_cndmask_b32_e32 v10, v0, v10, vcc
.LBB83_63:
	s_waitcnt lgkmcnt(0)
	s_barrier
	v_lshlrev_b32_e32 v0, 2, v23
	ds_read_b32 v23, v14 offset:4544
	v_lshlrev_b32_e32 v1, 2, v28
	ds_read_b32 v28, v0
	ds_read_b32 v29, v1
	v_lshlrev_b32_e32 v0, 2, v15
	v_lshlrev_b32_e32 v1, 2, v26
	;; [unrolled: 1-line block ×5, first 2 shown]
	ds_read_b32 v24, v0 offset:4544
	ds_read_b32 v25, v1
	ds_read_b32 v26, v2 offset:4544
	ds_read_b32 v27, v3
	ds_read_b32 v30, v12 offset:4544
	ds_read2_b32 v[14:15], v20 offset1:1
	ds_read_b128 v[0:3], v22 offset:128
	ds_read2_b32 v[12:13], v20 offset0:2 offset1:3
	s_waitcnt lgkmcnt(9)
	v_fma_f32 v20, v28, v23, 0
	s_waitcnt lgkmcnt(7)
	v_fmac_f32_e32 v20, v29, v24
	s_waitcnt lgkmcnt(5)
	v_fmac_f32_e32 v20, v25, v26
	;; [unrolled: 2-line block ×3, first 2 shown]
	s_waitcnt lgkmcnt(0)
	s_barrier
	ds_write_b32 v21, v20
	s_waitcnt lgkmcnt(0)
	s_barrier
	s_and_saveexec_b64 s[0:1], s[6:7]
	s_cbranch_execz .LBB83_65
; %bb.64:
	v_lshlrev_b32_e32 v20, 2, v19
	ds_read2_b32 v[22:23], v20 offset1:1
	ds_read2_b32 v[24:25], v20 offset0:2 offset1:3
	ds_read2_b32 v[26:27], v20 offset0:4 offset1:5
	;; [unrolled: 1-line block ×3, first 2 shown]
	s_waitcnt lgkmcnt(3)
	v_add_f32_e32 v16, v16, v22
	v_add_f32_e32 v16, v16, v23
	s_waitcnt lgkmcnt(2)
	v_add_f32_e32 v16, v16, v24
	v_add_f32_e32 v16, v16, v25
	;; [unrolled: 3-line block ×4, first 2 shown]
.LBB83_65:
	s_or_b64 exec, exec, s[0:1]
	v_fma_f32 v0, v14, v0, 0
	v_fmac_f32_e32 v0, v15, v1
	v_fmac_f32_e32 v0, v12, v2
	;; [unrolled: 1-line block ×3, first 2 shown]
	s_barrier
	ds_write_b32 v21, v0
	s_waitcnt lgkmcnt(0)
	s_barrier
	s_and_saveexec_b64 s[0:1], s[4:5]
	s_cbranch_execz .LBB83_67
; %bb.66:
	v_lshlrev_b32_e32 v14, 2, v19
	ds_read2_b32 v[0:1], v14 offset1:1
	ds_read2_b32 v[2:3], v14 offset0:2 offset1:3
	ds_read2_b32 v[12:13], v14 offset0:4 offset1:5
	;; [unrolled: 1-line block ×3, first 2 shown]
	s_waitcnt lgkmcnt(3)
	v_add_f32_e32 v0, v16, v0
	v_add_f32_e32 v0, v0, v1
	s_waitcnt lgkmcnt(2)
	v_add_f32_e32 v0, v0, v2
	v_add_f32_e32 v0, v0, v3
	;; [unrolled: 3-line block ×4, first 2 shown]
.LBB83_67:
	s_or_b64 exec, exec, s[0:1]
	s_mul_hi_u32 s0, s38, s3
	s_mul_i32 s40, s40, s3
	s_add_i32 s0, s0, s40
	s_mul_i32 s3, s38, s3
	s_mul_i32 s0, s0, s39
	s_mul_hi_u32 s1, s3, s39
	s_add_i32 s1, s1, s0
	s_mul_i32 s0, s3, s39
	s_lshl_b64 s[0:1], s[0:1], 2
	s_add_u32 s3, s22, s0
	s_mul_i32 s0, s2, s38
	s_addc_u32 s4, s23, s1
	s_ashr_i32 s1, s0, 31
	s_lshl_b64 s[0:1], s[0:1], 2
	s_add_u32 s6, s3, s0
	v_cmp_le_i32_e32 vcc, s24, v17
	s_addc_u32 s7, s4, s1
	s_and_b64 vcc, s[30:31], vcc
	s_cmp_lt_i32 s2, 1
	v_lshlrev_b32_e32 v12, 2, v17
	s_barrier
	s_cbranch_scc1 .LBB83_74
; %bb.68:
	s_mul_i32 s0, s26, s33
	s_ashr_i32 s1, s0, 31
	s_lshl_b64 s[0:1], s[0:1], 2
	v_mov_b32_e32 v1, s1
	v_subrev_co_u32_e64 v0, s[0:1], s0, v6
	v_mov_b32_e32 v2, s29
	s_nop 0
	v_subb_co_u32_e64 v1, s[0:1], v7, v1, s[0:1]
	v_subrev_co_u32_e64 v6, s[0:1], s28, v10
	s_ashr_i32 s25, s24, 31
	s_nop 0
	v_subb_co_u32_e64 v7, s[0:1], v11, v2, s[0:1]
	v_lshlrev_b64 v[2:3], 2, v[8:9]
	v_sub_co_u32_e64 v2, s[0:1], v6, v2
	v_mul_lo_u32 v6, v5, s20
	s_nop 0
	v_subb_co_u32_e64 v3, s[0:1], v7, v3, s[0:1]
	v_lshl_add_u32 v6, v6, 2, v17
	v_ashrrev_i32_e32 v7, 31, v6
	s_movk_i32 s0, 0xff80
	v_lshl_add_u64 v[6:7], v[6:7], 2, v[2:3]
	s_mov_b32 s1, -1
	v_lshl_add_u64 v[8:9], v[6:7], 0, s[0:1]
	v_sub_co_u32_e64 v6, s[0:1], v6, v12
	v_lshrrev_b32_e32 v2, 2, v18
	s_nop 0
	v_subbrev_co_u32_e64 v7, s[0:1], 0, v7, s[0:1]
	s_movk_i32 s0, 0xff7c
	v_lshl_add_u64 v[6:7], s[24:25], 2, v[6:7]
	s_mov_b32 s1, -1
	v_and_b32_e32 v20, 48, v17
	v_and_b32_e32 v19, 15, v17
	v_lshl_add_u64 v[6:7], v[6:7], 0, s[0:1]
	v_and_b32_e32 v2, 0x7ffc, v2
	v_lshlrev_b32_e32 v10, 2, v20
	s_movk_i32 s0, 0x10c
	v_or_b32_e32 v11, 60, v12
	v_and_b32_e32 v13, 0x1fff0, v18
	s_ashr_i32 s21, s20, 31
	v_mov_b32_e32 v14, 0x10c0
	s_movk_i32 s1, 0x430
	v_mov_b32_e32 v3, 0
	v_cndmask_b32_e32 v7, v9, v7, vcc
	v_cndmask_b32_e32 v6, v8, v6, vcc
	s_lshl_b32 s3, s33, 6
	v_add_u32_e32 v8, 0x10c0, v12
	v_add_u32_e32 v9, 0x11c0, v12
	v_cmp_gt_u32_e64 s[4:5], 64, v18
	v_mad_u32_u24 v10, v19, s0, v10
	v_mad_u32_u24 v11, v19, s0, v11
	;; [unrolled: 1-line block ×3, first 2 shown]
	v_lshl_add_u32 v14, v5, 4, v14
	v_mad_u32_u24 v15, v5, s1, v12
	v_mad_u32_u24 v17, v19, s0, v2
	s_lshl_b64 s[0:1], s[20:21], 2
	s_lshl_b64 s[8:9], s[20:21], 8
	;; [unrolled: 1-line block ×3, first 2 shown]
	s_mul_hi_i32 s13, s20, 12
	s_mul_i32 s12, s20, 12
	s_mul_hi_i32 s15, s20, 0x48
	s_mul_i32 s14, s20, 0x48
	;; [unrolled: 2-line block ×10, first 2 shown]
	s_lshl_b64 s[40:41], s[20:21], 7
	s_mul_hi_i32 s43, s20, 0x44
	s_mul_i32 s42, s20, 0x44
	s_lshl_b64 s[20:21], s[20:21], 6
	v_or_b32_e32 v2, v20, v19
	s_mov_b32 s44, 0
	s_branch .LBB83_70
.LBB83_69:                              ;   in Loop: Header=BB83_70 Depth=1
	s_or_b64 exec, exec, s[46:47]
	v_fmac_f32_e32 v16, v18, v22
	v_fmac_f32_e32 v16, v20, v23
	;; [unrolled: 1-line block ×15, first 2 shown]
	s_add_i32 s2, s2, -1
	s_add_i32 s44, s44, s3
	v_fmac_f32_e32 v16, v42, v49
	v_lshl_add_u64 v[6:7], v[6:7], 0, s[8:9]
	s_cmp_eq_u32 s2, 0
	v_add_u32_e32 v2, 64, v2
	s_barrier
	s_cbranch_scc1 .LBB83_74
.LBB83_70:                              ; =>This Inner Loop Header: Depth=1
	s_and_saveexec_b64 s[46:47], s[18:19]
	s_cbranch_execz .LBB83_72
; %bb.71:                               ;   in Loop: Header=BB83_70 Depth=1
	s_ashr_i32 s45, s44, 31
	v_lshl_add_u64 v[18:19], s[44:45], 2, v[0:1]
	global_load_dword v18, v[18:19], off
	s_waitcnt vmcnt(0)
	ds_write_b32 v8, v18
.LBB83_72:                              ;   in Loop: Header=BB83_70 Depth=1
	s_or_b64 exec, exec, s[46:47]
	s_waitcnt lgkmcnt(0)
	s_barrier
	global_load_dword v18, v[6:7], off
	v_lshl_add_u64 v[22:23], v[6:7], 0, s[0:1]
	v_lshl_add_u64 v[24:25], v[6:7], 0, s[10:11]
	global_load_dword v20, v[22:23], off
	global_load_dword v19, v[24:25], off
	v_lshl_add_u64 v[22:23], v[6:7], 0, s[12:13]
	global_load_dword v21, v[22:23], off
	ds_read_b32 v23, v9
	ds_read_b32 v22, v14
	v_lshl_add_u64 v[30:31], v[6:7], 0, s[20:21]
	v_lshl_add_u64 v[32:33], v[6:7], 0, s[42:43]
	;; [unrolled: 1-line block ×12, first 2 shown]
	s_waitcnt vmcnt(3) lgkmcnt(1)
	v_mul_f32_e32 v24, v18, v23
	ds_write_b32 v15, v24
	s_waitcnt vmcnt(2)
	v_mul_f32_e32 v24, v20, v23
	s_waitcnt vmcnt(1)
	v_mul_f32_e32 v25, v19, v23
	;; [unrolled: 2-line block ×3, first 2 shown]
	ds_read_b32 v23, v14 offset:4
	ds_write_b32 v15, v24 offset:268
	ds_read_b32 v24, v14 offset:8
	ds_write_b32 v15, v25 offset:536
	ds_read_b32 v25, v14 offset:12
	ds_write_b32 v15, v26 offset:804
	s_waitcnt lgkmcnt(0)
	s_barrier
	ds_read2_b32 v[46:47], v13 offset1:1
	ds_read2_b32 v[48:49], v13 offset0:2 offset1:3
	s_waitcnt lgkmcnt(0)
	s_barrier
	global_load_dword v29, v[30:31], off
	global_load_dword v28, v[32:33], off
	;; [unrolled: 1-line block ×4, first 2 shown]
	ds_read_b32 v31, v9
	ds_read_b32 v30, v14 offset:64
	v_add_f32_e32 v46, 0, v46
	v_add_f32_e32 v46, v46, v47
	;; [unrolled: 1-line block ×3, first 2 shown]
	s_waitcnt vmcnt(3) lgkmcnt(1)
	v_mul_f32_e32 v32, v29, v31
	s_waitcnt vmcnt(2)
	v_mul_f32_e32 v33, v28, v31
	ds_write_b32 v15, v32
	s_waitcnt vmcnt(1)
	v_mul_f32_e32 v34, v27, v31
	s_waitcnt vmcnt(0)
	v_mul_f32_e32 v35, v26, v31
	ds_read_b32 v31, v14 offset:68
	ds_write_b32 v15, v33 offset:268
	ds_read_b32 v32, v14 offset:72
	ds_write_b32 v15, v34 offset:536
	;; [unrolled: 2-line block ×3, first 2 shown]
	s_waitcnt lgkmcnt(0)
	s_barrier
	ds_read2_b32 v[50:51], v13 offset1:1
	ds_read2_b32 v[52:53], v13 offset0:2 offset1:3
	s_waitcnt lgkmcnt(0)
	s_barrier
	global_load_dword v37, v[38:39], off
	global_load_dword v36, v[40:41], off
	;; [unrolled: 1-line block ×4, first 2 shown]
	ds_read_b32 v39, v9
	ds_read_b32 v38, v14 offset:128
	s_waitcnt vmcnt(3) lgkmcnt(1)
	v_mul_f32_e32 v40, v37, v39
	s_waitcnt vmcnt(2)
	v_mul_f32_e32 v41, v36, v39
	ds_write_b32 v15, v40
	s_waitcnt vmcnt(1)
	v_mul_f32_e32 v42, v35, v39
	s_waitcnt vmcnt(0)
	v_mul_f32_e32 v43, v34, v39
	ds_read_b32 v39, v14 offset:132
	ds_write_b32 v15, v41 offset:268
	ds_read_b32 v40, v14 offset:136
	ds_write_b32 v15, v42 offset:536
	;; [unrolled: 2-line block ×3, first 2 shown]
	s_waitcnt lgkmcnt(0)
	s_barrier
	ds_read2_b32 v[62:63], v13 offset1:1
	ds_read2_b32 v[64:65], v13 offset0:2 offset1:3
	s_waitcnt lgkmcnt(0)
	s_barrier
	global_load_dword v45, v[54:55], off
	global_load_dword v44, v[56:57], off
	;; [unrolled: 1-line block ×4, first 2 shown]
	v_add_f32_e32 v54, v46, v49
	v_add_f32_e32 v46, 0, v50
	;; [unrolled: 1-line block ×5, first 2 shown]
	ds_read_b32 v47, v9
	ds_read_b32 v46, v14 offset:192
	v_add_f32_e32 v48, 0, v62
	v_add_f32_e32 v48, v48, v63
	v_add_f32_e32 v48, v48, v64
	v_add_f32_e32 v56, v48, v65
	s_waitcnt vmcnt(3) lgkmcnt(1)
	v_mul_f32_e32 v48, v45, v47
	s_waitcnt vmcnt(2)
	v_mul_f32_e32 v49, v44, v47
	ds_write_b32 v15, v48
	s_waitcnt vmcnt(1)
	v_mul_f32_e32 v50, v43, v47
	s_waitcnt vmcnt(0)
	v_mul_f32_e32 v51, v42, v47
	ds_read_b32 v47, v14 offset:196
	ds_write_b32 v15, v49 offset:268
	ds_read_b32 v48, v14 offset:200
	ds_write_b32 v15, v50 offset:536
	;; [unrolled: 2-line block ×3, first 2 shown]
	s_waitcnt lgkmcnt(0)
	s_barrier
	ds_read2_b32 v[50:51], v13 offset1:1
	ds_read2_b32 v[52:53], v13 offset0:2 offset1:3
	s_waitcnt lgkmcnt(0)
	s_barrier
	v_add_f32_e32 v50, 0, v50
	v_add_f32_e32 v50, v50, v51
	;; [unrolled: 1-line block ×4, first 2 shown]
	ds_write2_b32 v17, v54, v55 offset1:16
	ds_write2_b32 v17, v56, v50 offset0:32 offset1:48
	s_waitcnt lgkmcnt(0)
	s_barrier
	s_and_saveexec_b64 s[46:47], s[4:5]
	s_cbranch_execz .LBB83_69
; %bb.73:                               ;   in Loop: Header=BB83_70 Depth=1
	ds_read2_b32 v[50:51], v10 offset1:1
	ds_read2_b32 v[52:53], v10 offset0:2 offset1:3
	ds_read2_b32 v[54:55], v10 offset0:4 offset1:5
	;; [unrolled: 1-line block ×3, first 2 shown]
	s_waitcnt lgkmcnt(3)
	v_add_f32_e32 v50, v50, v51
	s_waitcnt lgkmcnt(2)
	v_add_f32_e32 v50, v50, v52
	v_add_f32_e32 v50, v50, v53
	s_waitcnt lgkmcnt(1)
	v_add_f32_e32 v50, v50, v54
	;; [unrolled: 3-line block ×3, first 2 shown]
	ds_read2_b32 v[50:51], v10 offset0:8 offset1:9
	v_add_f32_e32 v56, v52, v57
	ds_read2_b32 v[52:53], v10 offset0:10 offset1:11
	ds_read2_b32 v[54:55], v10 offset0:12 offset1:13
	ds_read_b32 v57, v10 offset:56
	s_waitcnt lgkmcnt(3)
	v_add_f32_e32 v50, v56, v50
	v_add_f32_e32 v50, v50, v51
	s_waitcnt lgkmcnt(2)
	v_add_f32_e32 v50, v50, v52
	ds_read_b32 v51, v11
	v_add_f32_e32 v50, v50, v53
	s_waitcnt lgkmcnt(2)
	v_add_f32_e32 v50, v50, v54
	v_add_f32_e32 v50, v50, v55
	s_waitcnt lgkmcnt(1)
	v_add_f32_e32 v50, v50, v57
	s_waitcnt lgkmcnt(0)
	v_add_f32_e32 v52, v50, v51
	v_lshl_add_u64 v[50:51], v[2:3], 2, s[6:7]
	global_store_dword v[50:51], v52, off
	s_branch .LBB83_69
.LBB83_74:
	s_movk_i32 s0, 0x10c
	v_mad_u32_u24 v0, v5, s0, v12
	s_or_b64 s[0:1], s[16:17], vcc
	s_xor_b64 s[0:1], s[0:1], -1
	ds_write_b32 v0, v16
	s_waitcnt lgkmcnt(0)
	s_barrier
	s_and_saveexec_b64 s[2:3], s[0:1]
	s_cbranch_execz .LBB83_76
; %bb.75:
	ds_read2_b32 v[0:1], v12 offset1:67
	ds_read2_b32 v[2:3], v12 offset0:134 offset1:201
	v_ashrrev_i32_e32 v5, 31, v4
	s_waitcnt lgkmcnt(1)
	v_add_f32_e32 v0, v0, v1
	s_waitcnt lgkmcnt(0)
	v_add_f32_e32 v0, v0, v2
	v_add_f32_e32 v2, v0, v3
	v_lshl_add_u64 v[0:1], v[4:5], 2, s[6:7]
	global_store_dword v[0:1], v2, off
.LBB83_76:
	s_endpgm
	.section	.rodata,"a",@progbits
	.p2align	6, 0x0
	.amdhsa_kernel _ZL26rocblas_hemvn_kernel_lowerILb0ELi64ELi4ELi33ELi32ELi16EiPKfS1_PfEviT6_lT7_lT5_lS4_lS5_lS3_lT8_i
		.amdhsa_group_segment_fixed_size 4800
		.amdhsa_private_segment_fixed_size 0
		.amdhsa_kernarg_size 376
		.amdhsa_user_sgpr_count 2
		.amdhsa_user_sgpr_dispatch_ptr 0
		.amdhsa_user_sgpr_queue_ptr 0
		.amdhsa_user_sgpr_kernarg_segment_ptr 1
		.amdhsa_user_sgpr_dispatch_id 0
		.amdhsa_user_sgpr_kernarg_preload_length 0
		.amdhsa_user_sgpr_kernarg_preload_offset 0
		.amdhsa_user_sgpr_private_segment_size 0
		.amdhsa_uses_dynamic_stack 0
		.amdhsa_enable_private_segment 0
		.amdhsa_system_sgpr_workgroup_id_x 1
		.amdhsa_system_sgpr_workgroup_id_y 0
		.amdhsa_system_sgpr_workgroup_id_z 1
		.amdhsa_system_sgpr_workgroup_info 0
		.amdhsa_system_vgpr_workitem_id 1
		.amdhsa_next_free_vgpr 66
		.amdhsa_next_free_sgpr 48
		.amdhsa_accum_offset 68
		.amdhsa_reserve_vcc 1
		.amdhsa_float_round_mode_32 0
		.amdhsa_float_round_mode_16_64 0
		.amdhsa_float_denorm_mode_32 3
		.amdhsa_float_denorm_mode_16_64 3
		.amdhsa_dx10_clamp 1
		.amdhsa_ieee_mode 1
		.amdhsa_fp16_overflow 0
		.amdhsa_tg_split 0
		.amdhsa_exception_fp_ieee_invalid_op 0
		.amdhsa_exception_fp_denorm_src 0
		.amdhsa_exception_fp_ieee_div_zero 0
		.amdhsa_exception_fp_ieee_overflow 0
		.amdhsa_exception_fp_ieee_underflow 0
		.amdhsa_exception_fp_ieee_inexact 0
		.amdhsa_exception_int_div_zero 0
	.end_amdhsa_kernel
	.section	.text._ZL26rocblas_hemvn_kernel_lowerILb0ELi64ELi4ELi33ELi32ELi16EiPKfS1_PfEviT6_lT7_lT5_lS4_lS5_lS3_lT8_i,"axG",@progbits,_ZL26rocblas_hemvn_kernel_lowerILb0ELi64ELi4ELi33ELi32ELi16EiPKfS1_PfEviT6_lT7_lT5_lS4_lS5_lS3_lT8_i,comdat
.Lfunc_end83:
	.size	_ZL26rocblas_hemvn_kernel_lowerILb0ELi64ELi4ELi33ELi32ELi16EiPKfS1_PfEviT6_lT7_lT5_lS4_lS5_lS3_lT8_i, .Lfunc_end83-_ZL26rocblas_hemvn_kernel_lowerILb0ELi64ELi4ELi33ELi32ELi16EiPKfS1_PfEviT6_lT7_lT5_lS4_lS5_lS3_lT8_i
                                        ; -- End function
	.section	.AMDGPU.csdata,"",@progbits
; Kernel info:
; codeLenInByte = 5504
; NumSgprs: 54
; NumVgprs: 66
; NumAgprs: 0
; TotalNumVgprs: 66
; ScratchSize: 0
; MemoryBound: 0
; FloatMode: 240
; IeeeMode: 1
; LDSByteSize: 4800 bytes/workgroup (compile time only)
; SGPRBlocks: 6
; VGPRBlocks: 8
; NumSGPRsForWavesPerEU: 54
; NumVGPRsForWavesPerEU: 66
; AccumOffset: 68
; Occupancy: 7
; WaveLimiterHint : 1
; COMPUTE_PGM_RSRC2:SCRATCH_EN: 0
; COMPUTE_PGM_RSRC2:USER_SGPR: 2
; COMPUTE_PGM_RSRC2:TRAP_HANDLER: 0
; COMPUTE_PGM_RSRC2:TGID_X_EN: 1
; COMPUTE_PGM_RSRC2:TGID_Y_EN: 0
; COMPUTE_PGM_RSRC2:TGID_Z_EN: 1
; COMPUTE_PGM_RSRC2:TIDIG_COMP_CNT: 1
; COMPUTE_PGM_RSRC3_GFX90A:ACCUM_OFFSET: 16
; COMPUTE_PGM_RSRC3_GFX90A:TG_SPLIT: 0
	.section	.text._ZL36rocblas_hemvn_kernel_lower_block_sumILi64EiPKfPffEviT1_lS3_lT2_lT0_lPT3_i,"axG",@progbits,_ZL36rocblas_hemvn_kernel_lower_block_sumILi64EiPKfPffEviT1_lS3_lT2_lT0_lPT3_i,comdat
	.globl	_ZL36rocblas_hemvn_kernel_lower_block_sumILi64EiPKfPffEviT1_lS3_lT2_lT0_lPT3_i ; -- Begin function _ZL36rocblas_hemvn_kernel_lower_block_sumILi64EiPKfPffEviT1_lS3_lT2_lT0_lPT3_i
	.p2align	8
	.type	_ZL36rocblas_hemvn_kernel_lower_block_sumILi64EiPKfPffEviT1_lS3_lT2_lT0_lPT3_i,@function
_ZL36rocblas_hemvn_kernel_lower_block_sumILi64EiPKfPffEviT1_lS3_lT2_lT0_lPT3_i: ; @_ZL36rocblas_hemvn_kernel_lower_block_sumILi64EiPKfPffEviT1_lS3_lT2_lT0_lPT3_i
; %bb.0:
	s_load_dwordx8 s[4:11], s[0:1], 0x8
	s_waitcnt lgkmcnt(0)
	s_mul_i32 s7, s3, s7
	s_mul_hi_u32 s12, s3, s6
	s_add_i32 s7, s12, s7
	s_mul_i32 s6, s3, s6
	s_lshl_b64 s[6:7], s[6:7], 2
	s_add_u32 s4, s4, s6
	s_addc_u32 s5, s5, s7
	s_load_dword s16, s[4:5], 0x0
	s_mul_i32 s4, s3, s11
	s_mul_hi_u32 s5, s3, s10
	s_add_i32 s5, s5, s4
	s_mul_i32 s4, s3, s10
	s_lshl_b64 s[4:5], s[4:5], 2
	s_add_u32 s4, s8, s4
	s_addc_u32 s5, s9, s5
	s_load_dword s17, s[4:5], 0x0
	s_waitcnt lgkmcnt(0)
	v_cmp_eq_f32_e64 s[4:5], s16, 0
	v_cmp_eq_f32_e64 s[6:7], s17, 1.0
	s_and_b64 s[4:5], s[4:5], s[6:7]
	s_and_b64 vcc, exec, s[4:5]
	s_cbranch_vccnz .LBB84_19
; %bb.1:
	s_load_dwordx2 s[8:9], s[0:1], 0x40
	s_load_dword s18, s[0:1], 0x38
	s_load_dwordx4 s[4:7], s[0:1], 0x28
	s_load_dword s10, s[0:1], 0x0
	v_lshl_or_b32 v2, s2, 6, v0
	s_waitcnt lgkmcnt(0)
	s_mul_i32 s9, s3, s9
	s_mul_hi_u32 s11, s3, s8
	s_add_i32 s9, s11, s9
	s_mul_i32 s8, s3, s8
	s_lshl_b64 s[8:9], s[8:9], 2
	s_add_u32 s8, s4, s8
	s_addc_u32 s9, s5, s9
	s_lshl_b64 s[4:5], s[6:7], 2
	s_add_u32 s6, s8, s4
	s_addc_u32 s7, s9, s5
	v_cmp_neq_f32_e64 s[4:5], s16, 0
	s_and_b64 vcc, exec, s[4:5]
	v_cmp_gt_i32_e64 s[4:5], s10, v2
	s_cbranch_vccnz .LBB84_6
; %bb.2:
	s_mov_b64 s[12:13], 0
	s_mov_b64 s[8:9], 0
                                        ; implicit-def: $vgpr3
                                        ; implicit-def: $vgpr0_vgpr1
	s_and_saveexec_b64 s[14:15], s[4:5]
	s_cbranch_execz .LBB84_7
; %bb.3:
	v_cmp_eq_f32_e64 s[4:5], s17, 0
	v_mul_lo_u32 v0, v2, s18
	v_mov_b32_e32 v3, 0
	v_ashrrev_i32_e32 v1, 31, v0
	s_and_b64 vcc, exec, s[4:5]
	s_cbranch_vccnz .LBB84_5
; %bb.4:
	v_lshl_add_u64 v[4:5], v[0:1], 2, s[6:7]
	global_load_dword v3, v[4:5], off
	s_waitcnt vmcnt(0)
	v_mul_f32_e32 v3, s17, v3
.LBB84_5:
	s_mov_b64 s[8:9], exec
	s_or_b64 exec, exec, s[14:15]
	s_and_b64 vcc, exec, s[12:13]
	s_cbranch_vccnz .LBB84_8
	s_branch .LBB84_17
.LBB84_6:
	s_mov_b64 s[8:9], 0
                                        ; implicit-def: $vgpr3
                                        ; implicit-def: $vgpr0_vgpr1
	s_cbranch_execnz .LBB84_8
	s_branch .LBB84_17
.LBB84_7:
	s_or_b64 exec, exec, s[14:15]
	s_and_b64 vcc, exec, s[12:13]
	s_cbranch_vccz .LBB84_17
.LBB84_8:
	v_cmp_gt_i32_e32 vcc, s10, v2
                                        ; implicit-def: $vgpr3
                                        ; implicit-def: $vgpr0_vgpr1
	s_and_saveexec_b64 s[4:5], vcc
	s_cbranch_execz .LBB84_16
; %bb.9:
	s_load_dword s12, s[0:1], 0x58
	v_mov_b32_e32 v4, 0
	s_waitcnt lgkmcnt(0)
	s_cmp_ge_i32 s2, s12
	s_cbranch_scc1 .LBB84_12
; %bb.10:
	s_ashr_i32 s11, s10, 31
	s_mul_i32 s13, s2, s10
	s_load_dwordx2 s[0:1], s[0:1], 0x48
	v_add_u32_e32 v0, s13, v2
	s_mul_hi_u32 s13, s10, s3
	s_mul_i32 s14, s11, s3
	s_add_i32 s13, s13, s14
	s_mul_i32 s3, s10, s3
	s_mul_i32 s13, s13, s12
	s_mul_hi_u32 s14, s3, s12
	s_add_i32 s15, s14, s13
	s_mul_i32 s14, s3, s12
	s_lshl_b64 s[14:15], s[14:15], 2
	s_waitcnt lgkmcnt(0)
	s_add_u32 s0, s0, s14
	v_ashrrev_i32_e32 v1, 31, v0
	s_addc_u32 s1, s1, s15
	v_lshl_add_u64 v[0:1], v[0:1], 2, s[0:1]
	s_lshl_b64 s[0:1], s[10:11], 2
	v_mov_b32_e32 v4, 0
.LBB84_11:                              ; =>This Inner Loop Header: Depth=1
	global_load_dword v3, v[0:1], off
	s_add_i32 s2, s2, 1
	v_lshl_add_u64 v[0:1], v[0:1], 0, s[0:1]
	s_cmp_ge_i32 s2, s12
	s_waitcnt vmcnt(0)
	v_add_f32_e32 v4, v4, v3
	s_cbranch_scc0 .LBB84_11
.LBB84_12:
	v_cmp_eq_f32_e64 s[0:1], s17, 0
	v_mul_lo_u32 v0, v2, s18
	s_and_b64 vcc, exec, s[0:1]
	v_ashrrev_i32_e32 v1, 31, v0
	s_cbranch_vccz .LBB84_20
; %bb.13:
	v_mul_f32_e32 v3, s16, v4
	s_cbranch_execnz .LBB84_15
.LBB84_14:
	v_lshl_add_u64 v[2:3], v[0:1], 2, s[6:7]
	global_load_dword v2, v[2:3], off
	s_waitcnt vmcnt(0)
	v_mul_f32_e32 v3, s17, v2
	v_fmac_f32_e32 v3, s16, v4
.LBB84_15:
	s_or_b64 s[8:9], s[8:9], exec
.LBB84_16:
	s_or_b64 exec, exec, s[4:5]
.LBB84_17:
	s_and_saveexec_b64 s[0:1], s[8:9]
	s_cbranch_execz .LBB84_19
; %bb.18:
	v_lshl_add_u64 v[0:1], v[0:1], 2, s[6:7]
	global_store_dword v[0:1], v3, off
.LBB84_19:
	s_endpgm
.LBB84_20:
                                        ; implicit-def: $vgpr3
	s_branch .LBB84_14
	.section	.rodata,"a",@progbits
	.p2align	6, 0x0
	.amdhsa_kernel _ZL36rocblas_hemvn_kernel_lower_block_sumILi64EiPKfPffEviT1_lS3_lT2_lT0_lPT3_i
		.amdhsa_group_segment_fixed_size 0
		.amdhsa_private_segment_fixed_size 0
		.amdhsa_kernarg_size 344
		.amdhsa_user_sgpr_count 2
		.amdhsa_user_sgpr_dispatch_ptr 0
		.amdhsa_user_sgpr_queue_ptr 0
		.amdhsa_user_sgpr_kernarg_segment_ptr 1
		.amdhsa_user_sgpr_dispatch_id 0
		.amdhsa_user_sgpr_kernarg_preload_length 0
		.amdhsa_user_sgpr_kernarg_preload_offset 0
		.amdhsa_user_sgpr_private_segment_size 0
		.amdhsa_uses_dynamic_stack 0
		.amdhsa_enable_private_segment 0
		.amdhsa_system_sgpr_workgroup_id_x 1
		.amdhsa_system_sgpr_workgroup_id_y 0
		.amdhsa_system_sgpr_workgroup_id_z 1
		.amdhsa_system_sgpr_workgroup_info 0
		.amdhsa_system_vgpr_workitem_id 0
		.amdhsa_next_free_vgpr 6
		.amdhsa_next_free_sgpr 19
		.amdhsa_accum_offset 8
		.amdhsa_reserve_vcc 1
		.amdhsa_float_round_mode_32 0
		.amdhsa_float_round_mode_16_64 0
		.amdhsa_float_denorm_mode_32 3
		.amdhsa_float_denorm_mode_16_64 3
		.amdhsa_dx10_clamp 1
		.amdhsa_ieee_mode 1
		.amdhsa_fp16_overflow 0
		.amdhsa_tg_split 0
		.amdhsa_exception_fp_ieee_invalid_op 0
		.amdhsa_exception_fp_denorm_src 0
		.amdhsa_exception_fp_ieee_div_zero 0
		.amdhsa_exception_fp_ieee_overflow 0
		.amdhsa_exception_fp_ieee_underflow 0
		.amdhsa_exception_fp_ieee_inexact 0
		.amdhsa_exception_int_div_zero 0
	.end_amdhsa_kernel
	.section	.text._ZL36rocblas_hemvn_kernel_lower_block_sumILi64EiPKfPffEviT1_lS3_lT2_lT0_lPT3_i,"axG",@progbits,_ZL36rocblas_hemvn_kernel_lower_block_sumILi64EiPKfPffEviT1_lS3_lT2_lT0_lPT3_i,comdat
.Lfunc_end84:
	.size	_ZL36rocblas_hemvn_kernel_lower_block_sumILi64EiPKfPffEviT1_lS3_lT2_lT0_lPT3_i, .Lfunc_end84-_ZL36rocblas_hemvn_kernel_lower_block_sumILi64EiPKfPffEviT1_lS3_lT2_lT0_lPT3_i
                                        ; -- End function
	.section	.AMDGPU.csdata,"",@progbits
; Kernel info:
; codeLenInByte = 604
; NumSgprs: 25
; NumVgprs: 6
; NumAgprs: 0
; TotalNumVgprs: 6
; ScratchSize: 0
; MemoryBound: 0
; FloatMode: 240
; IeeeMode: 1
; LDSByteSize: 0 bytes/workgroup (compile time only)
; SGPRBlocks: 3
; VGPRBlocks: 0
; NumSGPRsForWavesPerEU: 25
; NumVGPRsForWavesPerEU: 6
; AccumOffset: 8
; Occupancy: 8
; WaveLimiterHint : 0
; COMPUTE_PGM_RSRC2:SCRATCH_EN: 0
; COMPUTE_PGM_RSRC2:USER_SGPR: 2
; COMPUTE_PGM_RSRC2:TRAP_HANDLER: 0
; COMPUTE_PGM_RSRC2:TGID_X_EN: 1
; COMPUTE_PGM_RSRC2:TGID_Y_EN: 0
; COMPUTE_PGM_RSRC2:TGID_Z_EN: 1
; COMPUTE_PGM_RSRC2:TIDIG_COMP_CNT: 0
; COMPUTE_PGM_RSRC3_GFX90A:ACCUM_OFFSET: 1
; COMPUTE_PGM_RSRC3_GFX90A:TG_SPLIT: 0
	.section	.text._ZL26rocblas_hemvn_kernel_lowerILb0ELi64ELi4ELi33ELi32ELi16ElfPKfPfEviT6_lT7_lT5_lS4_lS5_lS3_lT8_i,"axG",@progbits,_ZL26rocblas_hemvn_kernel_lowerILb0ELi64ELi4ELi33ELi32ELi16ElfPKfPfEviT6_lT7_lT5_lS4_lS5_lS3_lT8_i,comdat
	.globl	_ZL26rocblas_hemvn_kernel_lowerILb0ELi64ELi4ELi33ELi32ELi16ElfPKfPfEviT6_lT7_lT5_lS4_lS5_lS3_lT8_i ; -- Begin function _ZL26rocblas_hemvn_kernel_lowerILb0ELi64ELi4ELi33ELi32ELi16ElfPKfPfEviT6_lT7_lT5_lS4_lS5_lS3_lT8_i
	.p2align	8
	.type	_ZL26rocblas_hemvn_kernel_lowerILb0ELi64ELi4ELi33ELi32ELi16ElfPKfPfEviT6_lT7_lT5_lS4_lS5_lS3_lT8_i,@function
_ZL26rocblas_hemvn_kernel_lowerILb0ELi64ELi4ELi33ELi32ELi16ElfPKfPfEviT6_lT7_lT5_lS4_lS5_lS3_lT8_i: ; @_ZL26rocblas_hemvn_kernel_lowerILb0ELi64ELi4ELi33ELi32ELi16ElfPKfPfEviT6_lT7_lT5_lS4_lS5_lS3_lT8_i
; %bb.0:
	s_load_dwordx2 s[6:7], s[0:1], 0x7c
	s_add_u32 s4, s0, 0x70
	s_addc_u32 s5, s1, 0
	s_waitcnt lgkmcnt(0)
	s_lshr_b32 s8, s6, 16
	s_and_b32 s6, s6, 0xffff
	s_and_b32 s7, s7, 0xffff
	s_mul_i32 s6, s8, s6
	s_mul_i32 s6, s6, s7
	s_cmpk_lg_i32 s6, 0x100
	s_cbranch_scc1 .LBB85_76
; %bb.1:
	s_load_dwordx2 s[26:27], s[0:1], 0x0
	s_load_dword s8, s[0:1], 0x50
	s_waitcnt lgkmcnt(0)
	v_cmp_eq_f32_e64 s[6:7], s27, 0
	v_cmp_eq_f32_e64 s[8:9], s8, 1.0
	s_and_b64 s[8:9], s[6:7], s[8:9]
	s_and_b64 vcc, exec, s[8:9]
	s_cbranch_vccnz .LBB85_76
; %bb.2:
	s_and_b64 vcc, exec, s[6:7]
	s_cbranch_vccnz .LBB85_76
; %bb.3:
	s_load_dwordx16 s[36:51], s[0:1], 0x10
	s_load_dword s27, s[4:5], 0x0
	v_and_b32_e32 v18, 0x3ff, v0
	v_bfe_u32 v16, v0, 10, 10
	v_cmp_eq_u32_e64 s[18:19], 0, v16
	s_waitcnt lgkmcnt(0)
	s_mul_i32 s5, s3, s51
	s_mul_hi_u32 s6, s3, s50
	s_mul_i32 s4, s3, s50
	s_add_i32 s5, s6, s5
	s_lshl_b64 s[4:5], s[4:5], 2
	s_add_u32 s6, s44, s4
	s_addc_u32 s7, s45, s5
	s_lshl_b64 s[4:5], s[46:47], 2
	s_add_u32 s4, s6, s4
	s_addc_u32 s5, s7, s5
	s_ashr_i32 s33, s26, 31
	s_lshr_b32 s7, s33, 26
	s_add_i32 s7, s26, s7
	s_lshl_b32 s28, s2, 6
	s_andn2_b32 s7, s7, 63
	s_add_i32 s6, s27, -1
	s_sub_i32 s7, s26, s7
	v_add_u32_e32 v4, s28, v18
	s_cmp_eq_u32 s2, s6
	v_ashrrev_i32_e32 v5, 31, v4
	s_cselect_b32 s24, s7, 0
	v_mul_lo_u32 v2, v5, s48
	v_mul_lo_u32 v3, v4, s49
	v_mad_u64_u32 v[0:1], s[6:7], v4, s48, 0
	v_add3_u32 v1, v1, v3, v2
	v_lshl_add_u64 v[6:7], v[0:1], 2, s[4:5]
	v_cmp_ne_u32_e64 s[4:5], 0, v16
	s_and_saveexec_b64 s[6:7], s[18:19]
	s_cbranch_execz .LBB85_7
; %bb.4:
	s_cmp_eq_u32 s24, 0
	s_cselect_b64 s[8:9], -1, 0
	v_cmp_gt_i32_e32 vcc, s24, v18
	s_or_b64 s[10:11], s[8:9], vcc
	v_mov_b32_e32 v0, 0
	s_and_saveexec_b64 s[8:9], s[10:11]
	s_cbranch_execz .LBB85_6
; %bb.5:
	global_load_dword v0, v[6:7], off
.LBB85_6:
	s_or_b64 exec, exec, s[8:9]
	v_lshlrev_b32_e32 v1, 2, v18
	s_waitcnt vmcnt(0)
	ds_write_b32 v1, v0 offset:4544
.LBB85_7:
	s_or_b64 exec, exec, s[6:7]
	s_mul_i32 s6, s3, s43
	s_mul_hi_u32 s7, s3, s42
	s_add_i32 s7, s7, s6
	s_mul_i32 s6, s3, s42
	s_lshl_b64 s[6:7], s[6:7], 2
	s_add_u32 s8, s36, s6
	s_addc_u32 s9, s37, s7
	s_lshl_b64 s[6:7], s[38:39], 2
	s_add_u32 s8, s8, s6
	s_addc_u32 s9, s9, s7
	s_ashr_i32 s29, s28, 31
	v_lshl_add_u32 v19, v16, 6, v18
	s_lshl_b64 s[6:7], s[28:29], 2
	v_and_b32_e32 v0, 31, v18
	v_lshrrev_b32_e32 v14, 5, v19
	s_add_u32 s8, s8, s6
	v_mov_b32_e32 v1, 0
	s_addc_u32 s9, s9, s7
	v_mad_u64_u32 v[8:9], s[6:7], v14, s40, v[0:1]
	v_mov_b32_e32 v2, v9
	v_mad_u64_u32 v[2:3], s[6:7], v14, s41, v[2:3]
	s_mul_i32 s6, s28, s41
	s_mul_hi_u32 s7, s28, s40
	s_add_i32 s6, s7, s6
	s_mul_i32 s7, s29, s40
	s_add_i32 s7, s6, s7
	s_mul_i32 s6, s28, s40
	s_lshl_b64 s[30:31], s[6:7], 2
	s_add_u32 s6, s30, s8
	s_addc_u32 s7, s31, s9
	s_cmp_lg_u32 s24, 0
	v_mov_b32_e32 v9, v2
	s_cselect_b64 s[34:35], -1, 0
	s_cmp_eq_u32 s24, 0
	v_lshl_add_u64 v[2:3], v[8:9], 2, s[6:7]
	s_cselect_b64 s[20:21], -1, 0
	s_and_b64 vcc, exec, s[34:35]
	s_cbranch_vccnz .LBB85_9
; %bb.8:
	s_lshl_b64 s[6:7], s[40:41], 5
	v_lshl_add_u64 v[10:11], v[2:3], 0, s[6:7]
	global_load_dword v1, v[10:11], off
	global_load_dword v13, v[2:3], off
	v_lshl_add_u64 v[10:11], v[10:11], 0, s[6:7]
	global_load_dword v12, v[10:11], off
	v_mov_b32_e32 v10, 0x60
	v_mad_u64_u32 v[10:11], s[6:7], s40, v10, v[2:3]
	s_mul_i32 s6, s41, 0x60
	s_nop 0
	v_add_u32_e32 v11, s6, v11
	global_load_dword v10, v[10:11], off
	v_mul_u32_u24_e32 v11, 33, v14
	v_add_lshl_u32 v11, v11, v0, 2
	s_waitcnt vmcnt(2)
	ds_write_b32 v11, v13
	ds_write_b32 v11, v1 offset:1056
	s_waitcnt vmcnt(1)
	ds_write_b32 v11, v12 offset:2112
	s_waitcnt vmcnt(0)
	ds_write_b32 v11, v10 offset:3168
	s_cbranch_execz .LBB85_10
	s_branch .LBB85_19
.LBB85_9:
.LBB85_10:
	v_lshlrev_b32_e32 v10, 2, v0
	v_sub_co_u32_e32 v12, vcc, v2, v10
	s_ashr_i32 s25, s24, 31
	s_nop 0
	v_subbrev_co_u32_e32 v13, vcc, 0, v3, vcc
	v_lshl_add_u64 v[12:13], s[24:25], 2, v[12:13]
	v_lshl_add_u64 v[12:13], v[12:13], 0, -4
	v_cmp_gt_i32_e32 vcc, s24, v0
	v_mov_b32_e32 v11, 0
	v_cmp_gt_i32_e64 s[6:7], s24, v14
	v_cndmask_b32_e32 v13, v13, v3, vcc
	v_cndmask_b32_e32 v12, v12, v2, vcc
	v_mov_b32_e32 v15, 0
	s_and_saveexec_b64 s[8:9], s[6:7]
	s_cbranch_execz .LBB85_12
; %bb.11:
	global_load_dword v15, v[12:13], off
.LBB85_12:
	s_or_b64 exec, exec, s[8:9]
	v_mul_u32_u24_e32 v1, 33, v14
	v_add_lshl_u32 v1, v1, v0, 2
	s_waitcnt vmcnt(0)
	ds_write_b32 v1, v15
	v_add_u32_e32 v15, 8, v14
	v_cmp_gt_i32_e64 s[6:7], s24, v15
	s_and_saveexec_b64 s[8:9], s[6:7]
	s_cbranch_execz .LBB85_14
; %bb.13:
	s_lshl_b64 s[6:7], s[40:41], 5
	v_lshl_add_u64 v[20:21], v[12:13], 0, s[6:7]
	global_load_dword v11, v[20:21], off
.LBB85_14:
	s_or_b64 exec, exec, s[8:9]
	s_waitcnt vmcnt(0)
	ds_write_b32 v1, v11 offset:1056
	v_add_u32_e32 v11, 16, v14
	v_cmp_gt_i32_e64 s[6:7], s24, v11
	v_mov_b32_e32 v11, 0
	v_mov_b32_e32 v15, 0
	s_and_saveexec_b64 s[8:9], s[6:7]
	s_cbranch_execz .LBB85_16
; %bb.15:
	s_lshl_b64 s[6:7], s[40:41], 6
	v_lshl_add_u64 v[20:21], v[12:13], 0, s[6:7]
	global_load_dword v15, v[20:21], off
.LBB85_16:
	s_or_b64 exec, exec, s[8:9]
	s_waitcnt vmcnt(0)
	ds_write_b32 v1, v15 offset:2112
	v_add_u32_e32 v15, 24, v14
	v_cmp_gt_i32_e64 s[6:7], s24, v15
	s_and_saveexec_b64 s[8:9], s[6:7]
	s_cbranch_execz .LBB85_18
; %bb.17:
	v_mov_b32_e32 v11, 0x60
	v_mad_u64_u32 v[20:21], s[6:7], s40, v11, v[12:13]
	s_mul_i32 s6, s41, 0x60
	s_nop 0
	v_add_u32_e32 v21, s6, v21
	global_load_dword v11, v[20:21], off
.LBB85_18:
	s_or_b64 exec, exec, s[8:9]
	s_waitcnt vmcnt(0)
	ds_write_b32 v1, v11 offset:3168
	v_mov_b32_e32 v11, 0
	v_lshl_add_u64 v[10:11], v[12:13], 0, v[10:11]
	s_lshl_b64 s[6:7], s[24:25], 2
	v_mov_b32_e32 v1, s7
	v_subrev_co_u32_e64 v10, s[6:7], s6, v10
	s_nop 1
	v_subb_co_u32_e64 v11, s[6:7], v11, v1, s[6:7]
	v_lshl_add_u64 v[10:11], v[10:11], 0, 4
	v_cndmask_b32_e32 v3, v11, v3, vcc
	v_cndmask_b32_e32 v2, v10, v2, vcc
.LBB85_19:
	v_lshlrev_b32_e32 v1, 2, v14
	v_mul_u32_u24_e32 v20, 33, v0
	v_cmp_lt_u32_e64 s[8:9], v1, v0
	v_add_lshl_u32 v21, v1, v20, 2
	s_waitcnt lgkmcnt(0)
	s_barrier
	s_and_saveexec_b64 s[6:7], s[8:9]
	s_cbranch_execz .LBB85_21
; %bb.20:
	v_mul_u32_u24_e32 v10, 0x84, v14
	v_add_lshl_u32 v10, v10, v0, 2
	ds_read_b32 v10, v10
	s_waitcnt lgkmcnt(0)
	ds_write_b32 v21, v10
.LBB85_21:
	s_or_b64 exec, exec, s[6:7]
	v_or_b32_e32 v10, 1, v1
	v_cmp_lt_u32_e64 s[10:11], v10, v0
	s_and_saveexec_b64 s[6:7], s[10:11]
	s_cbranch_execz .LBB85_23
; %bb.22:
	v_mul_u32_u24_e32 v10, 33, v10
	v_add_lshl_u32 v10, v10, v0, 2
	ds_read_b32 v10, v10
	s_waitcnt lgkmcnt(0)
	ds_write_b32 v21, v10 offset:4
.LBB85_23:
	s_or_b64 exec, exec, s[6:7]
	v_or_b32_e32 v10, 2, v1
	v_cmp_lt_u32_e64 s[12:13], v10, v0
	s_and_saveexec_b64 s[6:7], s[12:13]
	s_cbranch_execz .LBB85_25
; %bb.24:
	v_mul_u32_u24_e32 v10, 33, v10
	v_add_lshl_u32 v10, v10, v0, 2
	ds_read_b32 v10, v10
	s_waitcnt lgkmcnt(0)
	ds_write_b32 v21, v10 offset:8
.LBB85_25:
	s_or_b64 exec, exec, s[6:7]
	v_or_b32_e32 v10, 3, v1
	v_cmp_lt_u32_e64 s[14:15], v10, v0
	v_mad_u32_u24 v10, v10, 33, v0
	v_lshlrev_b32_e32 v15, 2, v10
	s_and_saveexec_b64 s[6:7], s[14:15]
	s_cbranch_execz .LBB85_27
; %bb.26:
	ds_read_b32 v10, v15
	s_waitcnt lgkmcnt(0)
	ds_write_b32 v21, v10 offset:12
.LBB85_27:
	s_or_b64 exec, exec, s[6:7]
	v_mul_u32_u24_e32 v10, 0x84, v14
	v_add_u32_e32 v25, 0xfffffef8, v15
	s_waitcnt lgkmcnt(0)
	s_barrier
	v_add_lshl_u32 v24, v10, v0, 2
	v_lshlrev_b32_e32 v23, 2, v1
	ds_read2_b32 v[26:27], v25 offset1:33
	ds_read_b32 v28, v24
	ds_read_b128 v[10:13], v23 offset:4544
	ds_read_b32 v31, v15
	v_add_lshl_u32 v22, v14, v20, 2
	s_waitcnt lgkmcnt(3)
	v_mov_b32_e32 v29, v26
	v_mov_b32_e32 v30, v27
	s_waitcnt lgkmcnt(1)
	v_pk_mul_f32 v[10:11], v[28:29], v[10:11]
	v_cmp_gt_u32_e64 s[6:7], 32, v19
	v_add_f32_e32 v10, 0, v10
	v_add_f32_e32 v17, v10, v11
	s_waitcnt lgkmcnt(0)
	v_pk_mul_f32 v[10:11], v[30:31], v[12:13]
	s_nop 0
	v_add_f32_e32 v10, v17, v10
	v_add_f32_e32 v10, v10, v11
	v_mov_b32_e32 v17, 0
	s_barrier
	ds_write_b32 v22, v10
	s_waitcnt lgkmcnt(0)
	s_barrier
	s_and_saveexec_b64 s[16:17], s[6:7]
	s_cbranch_execz .LBB85_29
; %bb.28:
	v_lshlrev_b32_e32 v17, 2, v20
	ds_read2_b32 v[10:11], v17 offset1:1
	ds_read2_b32 v[12:13], v17 offset0:2 offset1:3
	ds_read2_b32 v[26:27], v17 offset0:4 offset1:5
	;; [unrolled: 1-line block ×3, first 2 shown]
	s_waitcnt lgkmcnt(3)
	v_add_f32_e32 v10, v10, v11
	s_waitcnt lgkmcnt(2)
	v_add_f32_e32 v10, v10, v12
	v_add_f32_e32 v10, v10, v13
	s_waitcnt lgkmcnt(1)
	v_add_f32_e32 v10, v10, v26
	;; [unrolled: 3-line block ×3, first 2 shown]
	v_add_f32_e32 v17, v10, v29
.LBB85_29:
	s_or_b64 exec, exec, s[16:17]
	s_lshl_b64 s[22:23], s[40:41], 7
	v_lshl_add_u64 v[10:11], v[2:3], 0, s[22:23]
	s_mov_b64 s[38:39], 0x80
	v_cndmask_b32_e64 v2, 0, 1, s[20:21]
	s_lshl_b64 s[36:37], s[40:41], 5
	v_cmp_ne_u32_e64 s[16:17], 1, v2
	s_andn2_b64 vcc, exec, s[20:21]
	v_lshl_add_u64 v[2:3], v[10:11], 0, s[38:39]
	s_barrier
	s_cbranch_vccnz .LBB85_31
; %bb.30:
	v_mov_b32_e32 v28, 0x60
	v_mad_u64_u32 v[28:29], s[20:21], s40, v28, v[10:11]
	v_lshl_add_u64 v[12:13], v[10:11], 0, s[36:37]
	s_mul_i32 s20, s41, 0x60
	v_lshl_add_u64 v[26:27], v[12:13], 0, s[36:37]
	v_add_u32_e32 v29, s20, v29
	global_load_dword v30, v[10:11], off offset:128
	global_load_dword v31, v[12:13], off offset:128
	;; [unrolled: 1-line block ×4, first 2 shown]
	v_mul_u32_u24_e32 v10, 33, v14
	v_add_lshl_u32 v10, v10, v0, 2
	s_waitcnt vmcnt(3)
	ds_write_b32 v10, v30
	s_waitcnt vmcnt(2)
	ds_write_b32 v10, v31 offset:1056
	s_waitcnt vmcnt(1)
	ds_write_b32 v10, v32 offset:2112
	s_waitcnt vmcnt(0)
	ds_write_b32 v10, v33 offset:3168
	s_cbranch_execz .LBB85_32
	s_branch .LBB85_41
.LBB85_31:
.LBB85_32:
	v_lshlrev_b32_e32 v10, 2, v0
	v_sub_co_u32_e32 v12, vcc, v2, v10
	s_ashr_i32 s25, s24, 31
	s_nop 0
	v_subbrev_co_u32_e32 v13, vcc, 0, v3, vcc
	s_movk_i32 s20, 0xff7c
	v_or_b32_e32 v11, 32, v0
	v_lshl_add_u64 v[12:13], s[24:25], 2, v[12:13]
	s_mov_b32 s21, -1
	v_lshl_add_u64 v[12:13], v[12:13], 0, s[20:21]
	v_cmp_gt_i32_e32 vcc, s24, v11
	s_sub_i32 s42, s24, 32
	v_mov_b32_e32 v26, 0
	v_cndmask_b32_e32 v13, v13, v3, vcc
	v_cndmask_b32_e32 v12, v12, v2, vcc
	v_cmp_gt_i32_e64 s[20:21], s42, v14
	v_mov_b32_e32 v27, 0
	s_and_saveexec_b64 s[38:39], s[20:21]
	s_cbranch_execz .LBB85_34
; %bb.33:
	global_load_dword v27, v[12:13], off
.LBB85_34:
	s_or_b64 exec, exec, s[38:39]
	v_mul_u32_u24_e32 v11, 33, v14
	v_add_lshl_u32 v11, v11, v0, 2
	s_waitcnt vmcnt(0)
	ds_write_b32 v11, v27
	v_add_u32_e32 v27, 8, v14
	v_cmp_gt_i32_e64 s[20:21], s42, v27
	s_and_saveexec_b64 s[38:39], s[20:21]
	s_cbranch_execz .LBB85_36
; %bb.35:
	v_lshl_add_u64 v[26:27], v[12:13], 0, s[36:37]
	global_load_dword v26, v[26:27], off
.LBB85_36:
	s_or_b64 exec, exec, s[38:39]
	s_waitcnt vmcnt(0)
	ds_write_b32 v11, v26 offset:1056
	v_add_u32_e32 v26, 16, v14
	v_cmp_gt_i32_e64 s[20:21], s42, v26
	v_mov_b32_e32 v26, 0
	v_mov_b32_e32 v27, 0
	s_and_saveexec_b64 s[38:39], s[20:21]
	s_cbranch_execz .LBB85_38
; %bb.37:
	s_lshl_b64 s[20:21], s[40:41], 6
	v_lshl_add_u64 v[28:29], v[12:13], 0, s[20:21]
	global_load_dword v27, v[28:29], off
.LBB85_38:
	s_or_b64 exec, exec, s[38:39]
	s_waitcnt vmcnt(0)
	ds_write_b32 v11, v27 offset:2112
	v_add_u32_e32 v27, 24, v14
	v_cmp_gt_i32_e64 s[20:21], s42, v27
	s_and_saveexec_b64 s[38:39], s[20:21]
	s_cbranch_execz .LBB85_40
; %bb.39:
	v_mov_b32_e32 v26, 0x60
	v_mad_u64_u32 v[26:27], s[20:21], s40, v26, v[12:13]
	s_mul_i32 s20, s41, 0x60
	s_nop 0
	v_add_u32_e32 v27, s20, v27
	global_load_dword v26, v[26:27], off
.LBB85_40:
	s_or_b64 exec, exec, s[38:39]
	s_waitcnt vmcnt(0)
	ds_write_b32 v11, v26 offset:3168
	v_mov_b32_e32 v11, 0
	v_lshl_add_u64 v[10:11], v[12:13], 0, v[10:11]
	s_lshl_b64 s[20:21], s[24:25], 2
	v_mov_b32_e32 v12, s21
	v_subrev_co_u32_e64 v10, s[20:21], s20, v10
	s_nop 1
	v_subb_co_u32_e64 v11, s[20:21], v11, v12, s[20:21]
	s_mov_b64 s[20:21], 0x84
	s_nop 0
	v_lshl_add_u64 v[10:11], v[10:11], 0, s[20:21]
	v_cndmask_b32_e32 v3, v11, v3, vcc
	v_cndmask_b32_e32 v2, v10, v2, vcc
.LBB85_41:
	v_add_u32_e32 v23, 0x11c0, v23
	s_waitcnt lgkmcnt(0)
	s_barrier
	s_and_saveexec_b64 s[20:21], s[8:9]
	s_cbranch_execnz .LBB85_50
; %bb.42:
	s_or_b64 exec, exec, s[20:21]
	s_and_saveexec_b64 s[8:9], s[10:11]
	s_cbranch_execnz .LBB85_51
.LBB85_43:
	s_or_b64 exec, exec, s[8:9]
	s_and_saveexec_b64 s[8:9], s[12:13]
	s_cbranch_execnz .LBB85_52
.LBB85_44:
	s_or_b64 exec, exec, s[8:9]
	s_and_saveexec_b64 s[8:9], s[14:15]
	s_cbranch_execz .LBB85_46
.LBB85_45:
	ds_read_b32 v10, v15
	s_waitcnt lgkmcnt(0)
	ds_write_b32 v21, v10 offset:12
.LBB85_46:
	s_or_b64 exec, exec, s[8:9]
	s_waitcnt lgkmcnt(0)
	s_barrier
	ds_read_b32 v26, v24
	ds_read_b128 v[10:13], v23 offset:128
	ds_read2_b32 v[24:25], v25 offset1:33
	ds_read_b32 v15, v15
	v_cmp_eq_u32_e64 s[8:9], 1, v14
	s_waitcnt lgkmcnt(0)
	v_fma_f32 v10, v26, v10, 0
	v_fmac_f32_e32 v10, v24, v11
	v_fmac_f32_e32 v10, v25, v12
	;; [unrolled: 1-line block ×3, first 2 shown]
	s_barrier
	ds_write_b32 v22, v10
	s_waitcnt lgkmcnt(0)
	s_barrier
	s_and_saveexec_b64 s[10:11], s[8:9]
	s_cbranch_execz .LBB85_48
; %bb.47:
	v_lshlrev_b32_e32 v15, 2, v20
	ds_read2_b32 v[10:11], v15 offset1:1
	ds_read2_b32 v[12:13], v15 offset0:2 offset1:3
	ds_read2_b32 v[24:25], v15 offset0:4 offset1:5
	;; [unrolled: 1-line block ×3, first 2 shown]
	s_waitcnt lgkmcnt(3)
	v_add_f32_e32 v10, v10, v11
	s_waitcnt lgkmcnt(2)
	v_add_f32_e32 v10, v10, v12
	v_add_f32_e32 v10, v10, v13
	s_waitcnt lgkmcnt(1)
	v_add_f32_e32 v10, v10, v24
	;; [unrolled: 3-line block ×3, first 2 shown]
	v_add_f32_e32 v17, v10, v27
.LBB85_48:
	s_or_b64 exec, exec, s[10:11]
	s_lshl_b64 s[10:11], s[36:37], 2
	v_mov_b32_e32 v11, s11
	v_subrev_co_u32_e64 v10, s[10:11], s10, v2
	s_and_b64 vcc, exec, s[16:17]
	s_nop 0
	v_subb_co_u32_e64 v11, s[10:11], v3, v11, s[10:11]
	s_barrier
	s_cbranch_vccnz .LBB85_53
; %bb.49:
	v_mov_b32_e32 v15, 0x60
	v_mad_u64_u32 v[24:25], s[10:11], s40, v15, v[10:11]
	v_lshl_add_u64 v[2:3], v[10:11], 0, s[36:37]
	s_mul_i32 s10, s41, 0x60
	v_lshl_add_u64 v[12:13], v[2:3], 0, s[36:37]
	v_add_u32_e32 v25, s10, v25
	global_load_dword v30, v[10:11], off
	global_load_dword v31, v[2:3], off
	;; [unrolled: 1-line block ×4, first 2 shown]
	v_mad_u32_u24 v24, v14, 33, v0
	v_add_u32_e32 v15, 8, v14
	v_add_u32_e32 v25, 16, v14
	;; [unrolled: 1-line block ×3, first 2 shown]
	v_lshlrev_b32_e32 v2, 2, v24
	v_add_u32_e32 v29, 0x108, v24
	v_add_u32_e32 v27, 0x210, v24
	;; [unrolled: 1-line block ×3, first 2 shown]
	s_waitcnt vmcnt(3)
	ds_write_b32 v2, v30
	s_waitcnt vmcnt(2)
	ds_write_b32 v2, v31 offset:1056
	s_waitcnt vmcnt(1)
	ds_write_b32 v2, v32 offset:2112
	;; [unrolled: 2-line block ×3, first 2 shown]
	s_cbranch_execz .LBB85_54
	s_branch .LBB85_63
.LBB85_50:
	ds_read_b32 v10, v24
	s_waitcnt lgkmcnt(0)
	ds_write_b32 v21, v10
	s_or_b64 exec, exec, s[20:21]
	s_and_saveexec_b64 s[8:9], s[10:11]
	s_cbranch_execz .LBB85_43
.LBB85_51:
	ds_read_b32 v10, v25
	s_waitcnt lgkmcnt(0)
	ds_write_b32 v21, v10 offset:4
	s_or_b64 exec, exec, s[8:9]
	s_and_saveexec_b64 s[8:9], s[12:13]
	s_cbranch_execz .LBB85_44
.LBB85_52:
	ds_read_b32 v10, v25 offset:132
	s_waitcnt lgkmcnt(0)
	ds_write_b32 v21, v10 offset:8
	s_or_b64 exec, exec, s[8:9]
	s_and_saveexec_b64 s[8:9], s[14:15]
	s_cbranch_execnz .LBB85_45
	s_branch .LBB85_46
.LBB85_53:
                                        ; implicit-def: $vgpr24
                                        ; implicit-def: $vgpr15
                                        ; implicit-def: $vgpr29
                                        ; implicit-def: $vgpr25
                                        ; implicit-def: $vgpr27
                                        ; implicit-def: $vgpr26
                                        ; implicit-def: $vgpr28
.LBB85_54:
	v_lshlrev_b32_e32 v2, 2, v0
	v_sub_co_u32_e32 v12, vcc, v10, v2
	s_ashr_i32 s25, s24, 31
	s_nop 0
	v_subbrev_co_u32_e32 v13, vcc, 0, v11, vcc
	s_movk_i32 s10, 0xff7c
	v_or_b32_e32 v15, 32, v0
	v_lshl_add_u64 v[12:13], s[24:25], 2, v[12:13]
	s_mov_b32 s11, -1
	v_lshl_add_u64 v[12:13], v[12:13], 0, s[10:11]
	v_cmp_gt_i32_e32 vcc, s24, v15
	v_mov_b32_e32 v3, 0
	v_cmp_gt_i32_e64 s[10:11], s24, v14
	v_cndmask_b32_e32 v13, v13, v11, vcc
	v_cndmask_b32_e32 v12, v12, v10, vcc
	v_mov_b32_e32 v15, 0
	s_and_saveexec_b64 s[12:13], s[10:11]
	s_cbranch_execz .LBB85_56
; %bb.55:
	global_load_dword v15, v[12:13], off
.LBB85_56:
	s_or_b64 exec, exec, s[12:13]
	v_mad_u32_u24 v24, v14, 33, v0
	v_lshlrev_b32_e32 v0, 2, v24
	s_waitcnt vmcnt(0)
	ds_write_b32 v0, v15
	v_add_u32_e32 v15, 8, v14
	v_cmp_gt_i32_e64 s[10:11], s24, v15
	s_and_saveexec_b64 s[12:13], s[10:11]
	s_cbranch_execz .LBB85_58
; %bb.57:
	v_lshl_add_u64 v[26:27], v[12:13], 0, s[36:37]
	global_load_dword v3, v[26:27], off
.LBB85_58:
	s_or_b64 exec, exec, s[12:13]
	v_add_u32_e32 v25, 16, v14
	s_waitcnt vmcnt(0)
	ds_write_b32 v0, v3 offset:1056
	v_cmp_gt_i32_e64 s[10:11], s24, v25
	v_mov_b32_e32 v3, 0
	v_mov_b32_e32 v26, 0
	s_and_saveexec_b64 s[12:13], s[10:11]
	s_cbranch_execz .LBB85_60
; %bb.59:
	s_lshl_b64 s[10:11], s[40:41], 6
	v_lshl_add_u64 v[26:27], v[12:13], 0, s[10:11]
	global_load_dword v26, v[26:27], off
.LBB85_60:
	s_or_b64 exec, exec, s[12:13]
	s_waitcnt vmcnt(0)
	ds_write_b32 v0, v26 offset:2112
	v_add_u32_e32 v26, 24, v14
	v_cmp_gt_i32_e64 s[10:11], s24, v26
	s_and_saveexec_b64 s[12:13], s[10:11]
	s_cbranch_execz .LBB85_62
; %bb.61:
	v_mov_b32_e32 v3, 0x60
	v_mad_u64_u32 v[28:29], s[10:11], s40, v3, v[12:13]
	s_mul_i32 s10, s41, 0x60
	s_nop 0
	v_add_u32_e32 v29, s10, v29
	global_load_dword v3, v[28:29], off
.LBB85_62:
	s_or_b64 exec, exec, s[12:13]
	s_waitcnt vmcnt(0)
	ds_write_b32 v0, v3 offset:3168
	v_mov_b32_e32 v3, 0
	v_lshl_add_u64 v[2:3], v[12:13], 0, v[2:3]
	s_lshl_b64 s[10:11], s[24:25], 2
	v_mov_b32_e32 v0, s11
	v_subrev_co_u32_e64 v2, s[10:11], s10, v2
	v_add_u32_e32 v29, 0x108, v24
	s_nop 0
	v_subb_co_u32_e64 v3, s[10:11], v3, v0, s[10:11]
	s_mov_b64 s[10:11], 0x84
	s_nop 0
	v_lshl_add_u64 v[2:3], v[2:3], 0, s[10:11]
	v_add_u32_e32 v27, 0x210, v24
	v_add_u32_e32 v28, 0x318, v24
	v_cndmask_b32_e32 v11, v3, v11, vcc
	v_cndmask_b32_e32 v10, v2, v10, vcc
.LBB85_63:
	s_waitcnt lgkmcnt(0)
	s_barrier
	v_lshlrev_b32_e32 v0, 2, v24
	ds_read_b32 v24, v1 offset:4544
	v_lshlrev_b32_e32 v1, 2, v29
	ds_read_b32 v29, v0
	ds_read_b32 v30, v1
	v_lshlrev_b32_e32 v0, 2, v15
	v_lshlrev_b32_e32 v1, 2, v27
	;; [unrolled: 1-line block ×5, first 2 shown]
	ds_read_b32 v25, v0 offset:4544
	ds_read_b32 v26, v1
	ds_read_b32 v27, v2 offset:4544
	ds_read_b32 v28, v3
	ds_read_b32 v31, v12 offset:4544
	ds_read2_b32 v[14:15], v21 offset1:1
	ds_read_b128 v[0:3], v23 offset:128
	ds_read2_b32 v[12:13], v21 offset0:2 offset1:3
	s_waitcnt lgkmcnt(9)
	v_fma_f32 v21, v29, v24, 0
	s_waitcnt lgkmcnt(7)
	v_fmac_f32_e32 v21, v30, v25
	s_waitcnt lgkmcnt(5)
	v_fmac_f32_e32 v21, v26, v27
	;; [unrolled: 2-line block ×3, first 2 shown]
	s_waitcnt lgkmcnt(0)
	s_barrier
	ds_write_b32 v22, v21
	s_waitcnt lgkmcnt(0)
	s_barrier
	s_and_saveexec_b64 s[10:11], s[8:9]
	s_cbranch_execz .LBB85_65
; %bb.64:
	v_lshlrev_b32_e32 v21, 2, v20
	ds_read2_b32 v[24:25], v21 offset1:1
	ds_read2_b32 v[26:27], v21 offset0:2 offset1:3
	ds_read2_b32 v[28:29], v21 offset0:4 offset1:5
	;; [unrolled: 1-line block ×3, first 2 shown]
	s_waitcnt lgkmcnt(3)
	v_add_f32_e32 v17, v17, v24
	v_add_f32_e32 v17, v17, v25
	s_waitcnt lgkmcnt(2)
	v_add_f32_e32 v17, v17, v26
	v_add_f32_e32 v17, v17, v27
	;; [unrolled: 3-line block ×4, first 2 shown]
.LBB85_65:
	s_or_b64 exec, exec, s[10:11]
	v_fma_f32 v0, v14, v0, 0
	v_fmac_f32_e32 v0, v15, v1
	v_fmac_f32_e32 v0, v12, v2
	;; [unrolled: 1-line block ×3, first 2 shown]
	s_barrier
	ds_write_b32 v22, v0
	s_waitcnt lgkmcnt(0)
	s_barrier
	s_and_saveexec_b64 s[8:9], s[6:7]
	s_cbranch_execz .LBB85_67
; %bb.66:
	v_lshlrev_b32_e32 v14, 2, v20
	ds_read2_b32 v[0:1], v14 offset1:1
	ds_read2_b32 v[2:3], v14 offset0:2 offset1:3
	ds_read2_b32 v[12:13], v14 offset0:4 offset1:5
	;; [unrolled: 1-line block ×3, first 2 shown]
	s_waitcnt lgkmcnt(3)
	v_add_f32_e32 v0, v17, v0
	v_add_f32_e32 v0, v0, v1
	s_waitcnt lgkmcnt(2)
	v_add_f32_e32 v0, v0, v2
	v_add_f32_e32 v0, v0, v3
	;; [unrolled: 3-line block ×4, first 2 shown]
.LBB85_67:
	s_or_b64 exec, exec, s[8:9]
	s_load_dwordx2 s[0:1], s[0:1], 0x60
	s_mul_hi_u32 s6, s26, s3
	s_mul_i32 s33, s33, s3
	s_add_i32 s6, s6, s33
	s_mul_i32 s3, s26, s3
	s_mul_i32 s6, s6, s27
	s_mul_hi_u32 s7, s3, s27
	s_add_i32 s7, s7, s6
	s_mul_i32 s6, s3, s27
	s_lshl_b64 s[6:7], s[6:7], 2
	s_waitcnt lgkmcnt(0)
	s_add_u32 s3, s0, s6
	s_mul_i32 s0, s2, s26
	s_addc_u32 s7, s1, s7
	s_ashr_i32 s1, s0, 31
	s_lshl_b64 s[0:1], s[0:1], 2
	s_add_u32 s6, s3, s0
	v_cmp_le_i32_e32 vcc, s24, v18
	s_addc_u32 s7, s7, s1
	s_and_b64 vcc, s[34:35], vcc
	s_cmp_lt_i32 s2, 1
	v_lshlrev_b32_e32 v0, 2, v18
	s_barrier
	s_cbranch_scc1 .LBB85_74
; %bb.68:
	s_mul_i32 s0, s28, s49
	s_mul_hi_u32 s1, s28, s48
	s_add_i32 s0, s1, s0
	s_mul_i32 s1, s29, s48
	s_add_i32 s1, s0, s1
	s_mul_i32 s0, s28, s48
	s_lshl_b64 s[0:1], s[0:1], 2
	v_mov_b32_e32 v1, s1
	v_subrev_co_u32_e64 v2, s[0:1], s0, v6
	v_mov_b32_e32 v6, s31
	s_nop 0
	v_subb_co_u32_e64 v3, s[0:1], v7, v1, s[0:1]
	v_subrev_co_u32_e64 v10, s[0:1], s30, v10
	v_lshlrev_b32_e32 v1, 2, v16
	s_nop 0
	v_subb_co_u32_e64 v11, s[0:1], v11, v6, s[0:1]
	v_lshlrev_b64 v[6:7], 2, v[8:9]
	v_sub_co_u32_e64 v6, s[0:1], v10, v6
	s_ashr_i32 s25, s24, 31
	s_nop 0
	v_subb_co_u32_e64 v7, s[0:1], v11, v7, s[0:1]
	v_mad_u64_u32 v[8:9], s[0:1], v1, s40, 0
	v_mov_b32_e32 v10, v9
	v_mad_u64_u32 v[10:11], s[0:1], v1, s41, v[10:11]
	v_mov_b32_e32 v9, v10
	v_lshl_add_u64 v[8:9], v[8:9], 2, v[6:7]
	s_movk_i32 s0, 0xff7c
	v_lshl_add_u64 v[6:7], s[24:25], 2, v[8:9]
	s_mov_b32 s1, -1
	v_lshl_add_u64 v[10:11], v[6:7], 0, s[0:1]
	v_mov_b32_e32 v7, 0
	v_mov_b32_e32 v1, v7
	s_movk_i32 s0, 0xff80
	v_lshl_add_u64 v[8:9], v[8:9], 0, v[0:1]
	s_mov_b32 s1, -1
	v_lshl_add_u64 v[8:9], v[8:9], 0, s[0:1]
	v_lshrrev_b32_e32 v6, 2, v19
	v_and_b32_e32 v21, 48, v18
	v_and_b32_e32 v20, 15, v18
	v_cndmask_b32_e32 v9, v9, v11, vcc
	v_and_b32_e32 v6, 0x7ffc, v6
	v_lshlrev_b32_e32 v11, 2, v21
	s_movk_i32 s3, 0x10c
	v_or_b32_e32 v12, 60, v0
	v_and_b32_e32 v13, 0x1fff0, v19
	v_mad_u32_u24 v11, v20, s3, v11
	v_mad_u32_u24 v12, v20, s3, v12
	;; [unrolled: 1-line block ×4, first 2 shown]
	s_mul_i32 s3, s41, 12
	s_mul_hi_u32 s14, s40, 12
	s_add_i32 s15, s14, s3
	s_mul_i32 s3, s41, 0x48
	s_mul_hi_u32 s16, s40, 0x48
	s_add_i32 s17, s16, s3
	;; [unrolled: 3-line block ×9, first 2 shown]
	s_mul_i32 s3, s41, 0x84
	s_mul_hi_u32 s33, s40, 0x84
	v_mov_b32_e32 v14, 0x10c0
	s_movk_i32 s8, 0x430
	s_add_i32 s39, s33, s3
	s_mul_i32 s3, s41, 0x44
	s_mul_hi_u32 s33, s40, 0x44
	v_cndmask_b32_e32 v8, v8, v10, vcc
	v_add_u32_e32 v1, 0x10c0, v0
	v_add_u32_e32 v10, 0x11c0, v0
	v_cmp_gt_u32_e64 s[0:1], 64, v19
	v_lshl_add_u32 v14, v16, 4, v14
	v_mad_u32_u24 v15, v16, s8, v0
	s_lshl_b64 s[8:9], s[40:41], 2
	s_lshl_b64 s[10:11], s[40:41], 8
	;; [unrolled: 1-line block ×3, first 2 shown]
	s_mul_i32 s14, s40, 12
	s_mul_i32 s16, s40, 0x48
	s_mul_i32 s20, s40, 0x4c
	s_mul_i32 s24, s40, 0x88
	s_mul_i32 s26, s40, 0x8c
	s_mul_i32 s28, s40, 0xc8
	s_mul_i32 s30, s40, 0xcc
	s_mul_i32 s34, s40, 0xc4
	s_mul_i32 s36, s40, 0xc0
	s_mul_i32 s38, s40, 0x84
	s_add_i32 s43, s33, s3
	s_mul_i32 s42, s40, 0x44
	s_lshl_b64 s[40:41], s[40:41], 6
	v_or_b32_e32 v19, v21, v20
	s_mov_b32 s3, 0
	s_branch .LBB85_70
.LBB85_69:                              ;   in Loop: Header=BB85_70 Depth=1
	s_or_b64 exec, exec, s[44:45]
	v_fmac_f32_e32 v17, v20, v24
	v_fmac_f32_e32 v17, v22, v25
	;; [unrolled: 1-line block ×15, first 2 shown]
	s_add_i32 s3, s3, 64
	s_add_i32 s2, s2, -1
	v_fmac_f32_e32 v17, v44, v51
	s_cmp_eq_u32 s2, 0
	v_lshl_add_u64 v[8:9], v[8:9], 0, s[10:11]
	s_barrier
	s_cbranch_scc1 .LBB85_74
.LBB85_70:                              ; =>This Inner Loop Header: Depth=1
	s_and_saveexec_b64 s[44:45], s[18:19]
	s_cbranch_execz .LBB85_72
; %bb.71:                               ;   in Loop: Header=BB85_70 Depth=1
	s_mul_i32 s33, s3, s49
	s_mul_hi_u32 s46, s3, s48
	s_add_i32 s47, s46, s33
	s_mul_i32 s46, s3, s48
	v_lshl_add_u64 v[20:21], s[46:47], 2, v[2:3]
	global_load_dword v6, v[20:21], off
	s_waitcnt vmcnt(0)
	ds_write_b32 v1, v6
.LBB85_72:                              ;   in Loop: Header=BB85_70 Depth=1
	s_or_b64 exec, exec, s[44:45]
	s_waitcnt lgkmcnt(0)
	s_barrier
	global_load_dword v20, v[8:9], off
	v_lshl_add_u64 v[24:25], v[8:9], 0, s[8:9]
	v_lshl_add_u64 v[26:27], v[8:9], 0, s[12:13]
	global_load_dword v22, v[24:25], off
	global_load_dword v21, v[26:27], off
	v_lshl_add_u64 v[24:25], v[8:9], 0, s[14:15]
	global_load_dword v23, v[24:25], off
	ds_read_b32 v6, v10
	ds_read_b32 v24, v14
	v_lshl_add_u64 v[32:33], v[8:9], 0, s[40:41]
	v_lshl_add_u64 v[34:35], v[8:9], 0, s[42:43]
	;; [unrolled: 1-line block ×12, first 2 shown]
	s_waitcnt vmcnt(3) lgkmcnt(1)
	v_mul_f32_e32 v25, v20, v6
	ds_write_b32 v15, v25
	s_waitcnt vmcnt(2)
	v_mul_f32_e32 v26, v22, v6
	s_waitcnt vmcnt(1)
	v_mul_f32_e32 v27, v21, v6
	ds_read_b32 v25, v14 offset:4
	ds_write_b32 v15, v26 offset:268
	s_waitcnt vmcnt(0)
	v_mul_f32_e32 v6, v23, v6
	ds_read_b32 v26, v14 offset:8
	ds_write_b32 v15, v27 offset:536
	ds_read_b32 v27, v14 offset:12
	ds_write_b32 v15, v6 offset:804
	s_waitcnt lgkmcnt(0)
	s_barrier
	ds_read2_b32 v[48:49], v13 offset1:1
	ds_read2_b32 v[50:51], v13 offset0:2 offset1:3
	s_waitcnt lgkmcnt(0)
	s_barrier
	global_load_dword v31, v[32:33], off
	global_load_dword v30, v[34:35], off
	global_load_dword v29, v[36:37], off
	global_load_dword v28, v[38:39], off
	ds_read_b32 v6, v10
	ds_read_b32 v32, v14 offset:64
	s_waitcnt vmcnt(3) lgkmcnt(1)
	v_mul_f32_e32 v33, v31, v6
	s_waitcnt vmcnt(2)
	v_mul_f32_e32 v34, v30, v6
	ds_write_b32 v15, v33
	s_waitcnt vmcnt(1)
	v_mul_f32_e32 v35, v29, v6
	ds_read_b32 v33, v14 offset:68
	ds_write_b32 v15, v34 offset:268
	s_waitcnt vmcnt(0)
	v_mul_f32_e32 v6, v28, v6
	ds_read_b32 v34, v14 offset:72
	ds_write_b32 v15, v35 offset:536
	ds_read_b32 v35, v14 offset:76
	ds_write_b32 v15, v6 offset:804
	s_waitcnt lgkmcnt(0)
	s_barrier
	ds_read2_b32 v[52:53], v13 offset1:1
	ds_read2_b32 v[54:55], v13 offset0:2 offset1:3
	s_waitcnt lgkmcnt(0)
	s_barrier
	global_load_dword v39, v[40:41], off
	global_load_dword v38, v[42:43], off
	;; [unrolled: 1-line block ×4, first 2 shown]
	ds_read_b32 v6, v10
	ds_read_b32 v40, v14 offset:128
	s_waitcnt vmcnt(3) lgkmcnt(1)
	v_mul_f32_e32 v41, v39, v6
	s_waitcnt vmcnt(2)
	v_mul_f32_e32 v42, v38, v6
	ds_write_b32 v15, v41
	s_waitcnt vmcnt(1)
	v_mul_f32_e32 v43, v37, v6
	ds_read_b32 v41, v14 offset:132
	ds_write_b32 v15, v42 offset:268
	s_waitcnt vmcnt(0)
	v_mul_f32_e32 v6, v36, v6
	ds_read_b32 v42, v14 offset:136
	ds_write_b32 v15, v43 offset:536
	ds_read_b32 v43, v14 offset:140
	ds_write_b32 v15, v6 offset:804
	s_waitcnt lgkmcnt(0)
	s_barrier
	ds_read2_b32 v[64:65], v13 offset1:1
	ds_read2_b32 v[66:67], v13 offset0:2 offset1:3
	s_waitcnt lgkmcnt(0)
	s_barrier
	global_load_dword v47, v[56:57], off
	global_load_dword v46, v[58:59], off
	global_load_dword v45, v[60:61], off
	global_load_dword v44, v[62:63], off
	v_add_f32_e32 v6, 0, v48
	v_add_f32_e32 v48, 0, v52
	;; [unrolled: 1-line block ×6, first 2 shown]
	ds_read_b32 v49, v10
	ds_read_b32 v48, v14 offset:192
	v_add_f32_e32 v6, v6, v50
	v_add_f32_e32 v50, 0, v64
	;; [unrolled: 1-line block ×6, first 2 shown]
	s_waitcnt vmcnt(3) lgkmcnt(1)
	v_mul_f32_e32 v50, v47, v49
	s_waitcnt vmcnt(2)
	v_mul_f32_e32 v51, v46, v49
	ds_write_b32 v15, v50
	s_waitcnt vmcnt(1)
	v_mul_f32_e32 v52, v45, v49
	s_waitcnt vmcnt(0)
	v_mul_f32_e32 v53, v44, v49
	ds_read_b32 v49, v14 offset:196
	ds_write_b32 v15, v51 offset:268
	ds_read_b32 v50, v14 offset:200
	ds_write_b32 v15, v52 offset:536
	;; [unrolled: 2-line block ×3, first 2 shown]
	s_waitcnt lgkmcnt(0)
	s_barrier
	ds_read2_b32 v[52:53], v13 offset1:1
	ds_read2_b32 v[54:55], v13 offset0:2 offset1:3
	s_waitcnt lgkmcnt(0)
	s_barrier
	ds_write2_b32 v18, v6, v56 offset1:16
	v_add_f32_e32 v6, 0, v52
	v_add_f32_e32 v6, v6, v53
	;; [unrolled: 1-line block ×4, first 2 shown]
	ds_write2_b32 v18, v57, v6 offset0:32 offset1:48
	s_waitcnt lgkmcnt(0)
	s_barrier
	s_and_saveexec_b64 s[44:45], s[0:1]
	s_cbranch_execz .LBB85_69
; %bb.73:                               ;   in Loop: Header=BB85_70 Depth=1
	ds_read2_b32 v[52:53], v11 offset1:1
	ds_read2_b32 v[54:55], v11 offset0:2 offset1:3
	ds_read2_b32 v[56:57], v11 offset0:4 offset1:5
	;; [unrolled: 1-line block ×3, first 2 shown]
	s_waitcnt lgkmcnt(3)
	v_add_f32_e32 v6, v52, v53
	s_waitcnt lgkmcnt(2)
	v_add_f32_e32 v6, v6, v54
	v_add_f32_e32 v6, v6, v55
	ds_read2_b32 v[52:53], v11 offset0:8 offset1:9
	s_waitcnt lgkmcnt(2)
	v_add_f32_e32 v6, v6, v56
	v_add_f32_e32 v6, v6, v57
	s_waitcnt lgkmcnt(1)
	v_add_f32_e32 v6, v6, v58
	v_add_f32_e32 v6, v6, v59
	ds_read2_b32 v[54:55], v11 offset0:10 offset1:11
	ds_read2_b32 v[56:57], v11 offset0:12 offset1:13
	ds_read_b32 v58, v11 offset:56
	s_waitcnt lgkmcnt(3)
	v_add_f32_e32 v6, v6, v52
	v_add_f32_e32 v6, v6, v53
	s_waitcnt lgkmcnt(2)
	v_add_f32_e32 v6, v6, v54
	ds_read_b32 v52, v12
	v_add_f32_e32 v6, v6, v55
	s_waitcnt lgkmcnt(2)
	v_add_f32_e32 v6, v6, v56
	v_add_f32_e32 v6, v6, v57
	s_waitcnt lgkmcnt(1)
	v_add_f32_e32 v6, v6, v58
	s_waitcnt lgkmcnt(0)
	v_add_f32_e32 v54, v6, v52
	v_add_u32_e32 v6, s3, v19
	v_lshl_add_u64 v[52:53], v[6:7], 2, s[6:7]
	global_store_dword v[52:53], v54, off
	s_branch .LBB85_69
.LBB85_74:
	s_movk_i32 s0, 0x10c
	v_mad_u32_u24 v1, v16, s0, v0
	s_or_b64 s[0:1], s[4:5], vcc
	s_xor_b64 s[0:1], s[0:1], -1
	ds_write_b32 v1, v17
	s_waitcnt lgkmcnt(0)
	s_barrier
	s_and_saveexec_b64 s[2:3], s[0:1]
	s_cbranch_execz .LBB85_76
; %bb.75:
	ds_read2_b32 v[2:3], v0 offset1:67
	ds_read2_b32 v[0:1], v0 offset0:134 offset1:201
	s_waitcnt lgkmcnt(1)
	v_add_f32_e32 v2, v2, v3
	s_waitcnt lgkmcnt(0)
	v_add_f32_e32 v0, v2, v0
	v_add_f32_e32 v2, v0, v1
	v_lshl_add_u64 v[0:1], v[4:5], 2, s[6:7]
	global_store_dword v[0:1], v2, off
.LBB85_76:
	s_endpgm
	.section	.rodata,"a",@progbits
	.p2align	6, 0x0
	.amdhsa_kernel _ZL26rocblas_hemvn_kernel_lowerILb0ELi64ELi4ELi33ELi32ELi16ElfPKfPfEviT6_lT7_lT5_lS4_lS5_lS3_lT8_i
		.amdhsa_group_segment_fixed_size 4800
		.amdhsa_private_segment_fixed_size 0
		.amdhsa_kernarg_size 368
		.amdhsa_user_sgpr_count 2
		.amdhsa_user_sgpr_dispatch_ptr 0
		.amdhsa_user_sgpr_queue_ptr 0
		.amdhsa_user_sgpr_kernarg_segment_ptr 1
		.amdhsa_user_sgpr_dispatch_id 0
		.amdhsa_user_sgpr_kernarg_preload_length 0
		.amdhsa_user_sgpr_kernarg_preload_offset 0
		.amdhsa_user_sgpr_private_segment_size 0
		.amdhsa_uses_dynamic_stack 0
		.amdhsa_enable_private_segment 0
		.amdhsa_system_sgpr_workgroup_id_x 1
		.amdhsa_system_sgpr_workgroup_id_y 0
		.amdhsa_system_sgpr_workgroup_id_z 1
		.amdhsa_system_sgpr_workgroup_info 0
		.amdhsa_system_vgpr_workitem_id 1
		.amdhsa_next_free_vgpr 68
		.amdhsa_next_free_sgpr 52
		.amdhsa_accum_offset 68
		.amdhsa_reserve_vcc 1
		.amdhsa_float_round_mode_32 0
		.amdhsa_float_round_mode_16_64 0
		.amdhsa_float_denorm_mode_32 3
		.amdhsa_float_denorm_mode_16_64 3
		.amdhsa_dx10_clamp 1
		.amdhsa_ieee_mode 1
		.amdhsa_fp16_overflow 0
		.amdhsa_tg_split 0
		.amdhsa_exception_fp_ieee_invalid_op 0
		.amdhsa_exception_fp_denorm_src 0
		.amdhsa_exception_fp_ieee_div_zero 0
		.amdhsa_exception_fp_ieee_overflow 0
		.amdhsa_exception_fp_ieee_underflow 0
		.amdhsa_exception_fp_ieee_inexact 0
		.amdhsa_exception_int_div_zero 0
	.end_amdhsa_kernel
	.section	.text._ZL26rocblas_hemvn_kernel_lowerILb0ELi64ELi4ELi33ELi32ELi16ElfPKfPfEviT6_lT7_lT5_lS4_lS5_lS3_lT8_i,"axG",@progbits,_ZL26rocblas_hemvn_kernel_lowerILb0ELi64ELi4ELi33ELi32ELi16ElfPKfPfEviT6_lT7_lT5_lS4_lS5_lS3_lT8_i,comdat
.Lfunc_end85:
	.size	_ZL26rocblas_hemvn_kernel_lowerILb0ELi64ELi4ELi33ELi32ELi16ElfPKfPfEviT6_lT7_lT5_lS4_lS5_lS3_lT8_i, .Lfunc_end85-_ZL26rocblas_hemvn_kernel_lowerILb0ELi64ELi4ELi33ELi32ELi16ElfPKfPfEviT6_lT7_lT5_lS4_lS5_lS3_lT8_i
                                        ; -- End function
	.section	.AMDGPU.csdata,"",@progbits
; Kernel info:
; codeLenInByte = 5632
; NumSgprs: 58
; NumVgprs: 68
; NumAgprs: 0
; TotalNumVgprs: 68
; ScratchSize: 0
; MemoryBound: 0
; FloatMode: 240
; IeeeMode: 1
; LDSByteSize: 4800 bytes/workgroup (compile time only)
; SGPRBlocks: 7
; VGPRBlocks: 8
; NumSGPRsForWavesPerEU: 58
; NumVGPRsForWavesPerEU: 68
; AccumOffset: 68
; Occupancy: 7
; WaveLimiterHint : 1
; COMPUTE_PGM_RSRC2:SCRATCH_EN: 0
; COMPUTE_PGM_RSRC2:USER_SGPR: 2
; COMPUTE_PGM_RSRC2:TRAP_HANDLER: 0
; COMPUTE_PGM_RSRC2:TGID_X_EN: 1
; COMPUTE_PGM_RSRC2:TGID_Y_EN: 0
; COMPUTE_PGM_RSRC2:TGID_Z_EN: 1
; COMPUTE_PGM_RSRC2:TIDIG_COMP_CNT: 1
; COMPUTE_PGM_RSRC3_GFX90A:ACCUM_OFFSET: 16
; COMPUTE_PGM_RSRC3_GFX90A:TG_SPLIT: 0
	.section	.text._ZL36rocblas_hemvn_kernel_lower_block_sumILi64ElfPffEviT1_lS1_lT2_lT0_lPT3_i,"axG",@progbits,_ZL36rocblas_hemvn_kernel_lower_block_sumILi64ElfPffEviT1_lS1_lT2_lT0_lPT3_i,comdat
	.globl	_ZL36rocblas_hemvn_kernel_lower_block_sumILi64ElfPffEviT1_lS1_lT2_lT0_lPT3_i ; -- Begin function _ZL36rocblas_hemvn_kernel_lower_block_sumILi64ElfPffEviT1_lS1_lT2_lT0_lPT3_i
	.p2align	8
	.type	_ZL36rocblas_hemvn_kernel_lower_block_sumILi64ElfPffEviT1_lS1_lT2_lT0_lPT3_i,@function
_ZL36rocblas_hemvn_kernel_lower_block_sumILi64ElfPffEviT1_lS1_lT2_lT0_lPT3_i: ; @_ZL36rocblas_hemvn_kernel_lower_block_sumILi64ElfPffEviT1_lS1_lT2_lT0_lPT3_i
; %bb.0:
	s_load_dwordx2 s[10:11], s[0:1], 0x0
	s_load_dword s18, s[0:1], 0x10
	s_waitcnt lgkmcnt(0)
	v_cmp_eq_f32_e64 s[4:5], s11, 0
	v_cmp_eq_f32_e64 s[6:7], s18, 1.0
	s_and_b64 s[4:5], s[4:5], s[6:7]
	s_and_b64 vcc, exec, s[4:5]
	s_cbranch_vccnz .LBB86_19
; %bb.1:
	s_load_dwordx2 s[8:9], s[0:1], 0x38
	s_load_dwordx2 s[12:13], s[0:1], 0x20
	s_load_dwordx4 s[4:7], s[0:1], 0x28
	v_lshl_or_b32 v2, s2, 6, v0
	s_waitcnt lgkmcnt(0)
	s_mul_i32 s9, s3, s9
	s_mul_hi_u32 s14, s3, s8
	s_mul_i32 s8, s3, s8
	s_add_i32 s9, s14, s9
	s_lshl_b64 s[8:9], s[8:9], 2
	s_add_u32 s8, s12, s8
	s_addc_u32 s9, s13, s9
	s_lshl_b64 s[4:5], s[4:5], 2
	s_add_u32 s8, s8, s4
	s_addc_u32 s9, s9, s5
	v_cmp_neq_f32_e64 s[4:5], s11, 0
	s_and_b64 vcc, exec, s[4:5]
	v_cmp_gt_i32_e64 s[4:5], s10, v2
	s_cbranch_vccnz .LBB86_6
; %bb.2:
	s_mov_b64 s[14:15], 0
	s_mov_b64 s[12:13], 0
                                        ; implicit-def: $vgpr3
                                        ; implicit-def: $vgpr0_vgpr1
	s_and_saveexec_b64 s[16:17], s[4:5]
	s_cbranch_execz .LBB86_7
; %bb.3:
	v_ashrrev_i32_e32 v0, 31, v2
	v_cmp_eq_f32_e64 s[4:5], s18, 0
	v_mul_lo_u32 v4, v2, s7
	v_mul_lo_u32 v5, v0, s6
	v_mad_u64_u32 v[0:1], s[12:13], v2, s6, 0
	v_mov_b32_e32 v3, 0
	v_add3_u32 v1, v1, v4, v5
	s_and_b64 vcc, exec, s[4:5]
	s_cbranch_vccnz .LBB86_5
; %bb.4:
	v_lshl_add_u64 v[4:5], v[0:1], 2, s[8:9]
	global_load_dword v3, v[4:5], off
	s_waitcnt vmcnt(0)
	v_mul_f32_e32 v3, s18, v3
.LBB86_5:
	s_mov_b64 s[12:13], exec
	s_or_b64 exec, exec, s[16:17]
	s_and_b64 vcc, exec, s[14:15]
	s_cbranch_vccnz .LBB86_8
	s_branch .LBB86_17
.LBB86_6:
	s_mov_b64 s[12:13], 0
                                        ; implicit-def: $vgpr3
                                        ; implicit-def: $vgpr0_vgpr1
	s_cbranch_execnz .LBB86_8
	s_branch .LBB86_17
.LBB86_7:
	s_or_b64 exec, exec, s[16:17]
	s_and_b64 vcc, exec, s[14:15]
	s_cbranch_vccz .LBB86_17
.LBB86_8:
	v_cmp_gt_i32_e32 vcc, s10, v2
                                        ; implicit-def: $vgpr3
                                        ; implicit-def: $vgpr0_vgpr1
	s_and_saveexec_b64 s[4:5], vcc
	s_cbranch_execz .LBB86_16
; %bb.9:
	s_load_dword s14, s[0:1], 0x50
	v_mov_b32_e32 v4, 0
	s_waitcnt lgkmcnt(0)
	s_cmp_ge_i32 s2, s14
	s_cbranch_scc1 .LBB86_12
; %bb.10:
	s_ashr_i32 s17, s10, 31
	s_mul_i32 s15, s2, s10
	s_load_dwordx2 s[0:1], s[0:1], 0x40
	v_add_u32_e32 v0, s15, v2
	s_mul_hi_u32 s15, s10, s3
	s_mul_i32 s19, s17, s3
	s_add_i32 s15, s15, s19
	s_mul_i32 s3, s10, s3
	s_mov_b32 s16, s10
	s_mul_i32 s15, s15, s14
	s_mul_hi_u32 s10, s3, s14
	s_add_i32 s21, s10, s15
	s_mul_i32 s20, s3, s14
	s_lshl_b64 s[20:21], s[20:21], 2
	s_waitcnt lgkmcnt(0)
	s_add_u32 s0, s0, s20
	v_ashrrev_i32_e32 v1, 31, v0
	s_addc_u32 s1, s1, s21
	v_lshl_add_u64 v[0:1], v[0:1], 2, s[0:1]
	s_lshl_b64 s[0:1], s[16:17], 2
	v_mov_b32_e32 v4, 0
.LBB86_11:                              ; =>This Inner Loop Header: Depth=1
	global_load_dword v3, v[0:1], off
	s_add_i32 s2, s2, 1
	v_lshl_add_u64 v[0:1], v[0:1], 0, s[0:1]
	s_cmp_ge_i32 s2, s14
	s_waitcnt vmcnt(0)
	v_add_f32_e32 v4, v4, v3
	s_cbranch_scc0 .LBB86_11
.LBB86_12:
	v_cmp_eq_f32_e64 s[0:1], s18, 0
	v_ashrrev_i32_e32 v0, 31, v2
	s_and_b64 vcc, exec, s[0:1]
	v_mul_lo_u32 v5, v2, s7
	v_mul_lo_u32 v6, v0, s6
	s_cbranch_vccz .LBB86_20
; %bb.13:
	v_mad_u64_u32 v[0:1], s[0:1], v2, s6, 0
	v_mul_f32_e32 v3, s11, v4
	v_add3_u32 v1, v1, v5, v6
	s_cbranch_execnz .LBB86_15
.LBB86_14:
	v_mad_u64_u32 v[0:1], s[0:1], v2, s6, 0
	v_add3_u32 v1, v1, v5, v6
	v_lshl_add_u64 v[2:3], v[0:1], 2, s[8:9]
	global_load_dword v2, v[2:3], off
	s_waitcnt vmcnt(0)
	v_mul_f32_e32 v3, s18, v2
	v_fmac_f32_e32 v3, s11, v4
.LBB86_15:
	s_or_b64 s[12:13], s[12:13], exec
.LBB86_16:
	s_or_b64 exec, exec, s[4:5]
.LBB86_17:
	s_and_saveexec_b64 s[0:1], s[12:13]
	s_cbranch_execz .LBB86_19
; %bb.18:
	v_lshl_add_u64 v[0:1], v[0:1], 2, s[8:9]
	global_store_dword v[0:1], v3, off
.LBB86_19:
	s_endpgm
.LBB86_20:
                                        ; implicit-def: $vgpr3
                                        ; implicit-def: $vgpr0_vgpr1
	s_branch .LBB86_14
	.section	.rodata,"a",@progbits
	.p2align	6, 0x0
	.amdhsa_kernel _ZL36rocblas_hemvn_kernel_lower_block_sumILi64ElfPffEviT1_lS1_lT2_lT0_lPT3_i
		.amdhsa_group_segment_fixed_size 0
		.amdhsa_private_segment_fixed_size 0
		.amdhsa_kernarg_size 336
		.amdhsa_user_sgpr_count 2
		.amdhsa_user_sgpr_dispatch_ptr 0
		.amdhsa_user_sgpr_queue_ptr 0
		.amdhsa_user_sgpr_kernarg_segment_ptr 1
		.amdhsa_user_sgpr_dispatch_id 0
		.amdhsa_user_sgpr_kernarg_preload_length 0
		.amdhsa_user_sgpr_kernarg_preload_offset 0
		.amdhsa_user_sgpr_private_segment_size 0
		.amdhsa_uses_dynamic_stack 0
		.amdhsa_enable_private_segment 0
		.amdhsa_system_sgpr_workgroup_id_x 1
		.amdhsa_system_sgpr_workgroup_id_y 0
		.amdhsa_system_sgpr_workgroup_id_z 1
		.amdhsa_system_sgpr_workgroup_info 0
		.amdhsa_system_vgpr_workitem_id 0
		.amdhsa_next_free_vgpr 7
		.amdhsa_next_free_sgpr 22
		.amdhsa_accum_offset 8
		.amdhsa_reserve_vcc 1
		.amdhsa_float_round_mode_32 0
		.amdhsa_float_round_mode_16_64 0
		.amdhsa_float_denorm_mode_32 3
		.amdhsa_float_denorm_mode_16_64 3
		.amdhsa_dx10_clamp 1
		.amdhsa_ieee_mode 1
		.amdhsa_fp16_overflow 0
		.amdhsa_tg_split 0
		.amdhsa_exception_fp_ieee_invalid_op 0
		.amdhsa_exception_fp_denorm_src 0
		.amdhsa_exception_fp_ieee_div_zero 0
		.amdhsa_exception_fp_ieee_overflow 0
		.amdhsa_exception_fp_ieee_underflow 0
		.amdhsa_exception_fp_ieee_inexact 0
		.amdhsa_exception_int_div_zero 0
	.end_amdhsa_kernel
	.section	.text._ZL36rocblas_hemvn_kernel_lower_block_sumILi64ElfPffEviT1_lS1_lT2_lT0_lPT3_i,"axG",@progbits,_ZL36rocblas_hemvn_kernel_lower_block_sumILi64ElfPffEviT1_lS1_lT2_lT0_lPT3_i,comdat
.Lfunc_end86:
	.size	_ZL36rocblas_hemvn_kernel_lower_block_sumILi64ElfPffEviT1_lS1_lT2_lT0_lPT3_i, .Lfunc_end86-_ZL36rocblas_hemvn_kernel_lower_block_sumILi64ElfPffEviT1_lS1_lT2_lT0_lPT3_i
                                        ; -- End function
	.section	.AMDGPU.csdata,"",@progbits
; Kernel info:
; codeLenInByte = 596
; NumSgprs: 28
; NumVgprs: 7
; NumAgprs: 0
; TotalNumVgprs: 7
; ScratchSize: 0
; MemoryBound: 0
; FloatMode: 240
; IeeeMode: 1
; LDSByteSize: 0 bytes/workgroup (compile time only)
; SGPRBlocks: 3
; VGPRBlocks: 0
; NumSGPRsForWavesPerEU: 28
; NumVGPRsForWavesPerEU: 7
; AccumOffset: 8
; Occupancy: 8
; WaveLimiterHint : 0
; COMPUTE_PGM_RSRC2:SCRATCH_EN: 0
; COMPUTE_PGM_RSRC2:USER_SGPR: 2
; COMPUTE_PGM_RSRC2:TRAP_HANDLER: 0
; COMPUTE_PGM_RSRC2:TGID_X_EN: 1
; COMPUTE_PGM_RSRC2:TGID_Y_EN: 0
; COMPUTE_PGM_RSRC2:TGID_Z_EN: 1
; COMPUTE_PGM_RSRC2:TIDIG_COMP_CNT: 0
; COMPUTE_PGM_RSRC3_GFX90A:ACCUM_OFFSET: 1
; COMPUTE_PGM_RSRC3_GFX90A:TG_SPLIT: 0
	.section	.text._ZL26rocblas_hemvn_kernel_lowerILb0ELi64ELi4ELi33ELi32ELi16EifPKfPfEviT6_lT7_lT5_lS4_lS5_lS3_lT8_i,"axG",@progbits,_ZL26rocblas_hemvn_kernel_lowerILb0ELi64ELi4ELi33ELi32ELi16EifPKfPfEviT6_lT7_lT5_lS4_lS5_lS3_lT8_i,comdat
	.globl	_ZL26rocblas_hemvn_kernel_lowerILb0ELi64ELi4ELi33ELi32ELi16EifPKfPfEviT6_lT7_lT5_lS4_lS5_lS3_lT8_i ; -- Begin function _ZL26rocblas_hemvn_kernel_lowerILb0ELi64ELi4ELi33ELi32ELi16EifPKfPfEviT6_lT7_lT5_lS4_lS5_lS3_lT8_i
	.p2align	8
	.type	_ZL26rocblas_hemvn_kernel_lowerILb0ELi64ELi4ELi33ELi32ELi16EifPKfPfEviT6_lT7_lT5_lS4_lS5_lS3_lT8_i,@function
_ZL26rocblas_hemvn_kernel_lowerILb0ELi64ELi4ELi33ELi32ELi16EifPKfPfEviT6_lT7_lT5_lS4_lS5_lS3_lT8_i: ; @_ZL26rocblas_hemvn_kernel_lowerILb0ELi64ELi4ELi33ELi32ELi16EifPKfPfEviT6_lT7_lT5_lS4_lS5_lS3_lT8_i
; %bb.0:
	s_load_dwordx2 s[6:7], s[0:1], 0x7c
	s_add_u32 s4, s0, 0x70
	s_addc_u32 s5, s1, 0
	s_waitcnt lgkmcnt(0)
	s_lshr_b32 s8, s6, 16
	s_and_b32 s6, s6, 0xffff
	s_and_b32 s7, s7, 0xffff
	s_mul_i32 s6, s8, s6
	s_mul_i32 s6, s6, s7
	s_cmpk_lg_i32 s6, 0x100
	s_cbranch_scc1 .LBB87_76
; %bb.1:
	s_load_dwordx2 s[26:27], s[0:1], 0x0
	s_load_dword s8, s[0:1], 0x50
	s_waitcnt lgkmcnt(0)
	v_cmp_eq_f32_e64 s[6:7], s27, 0
	v_cmp_eq_f32_e64 s[8:9], s8, 1.0
	s_and_b64 s[8:9], s[6:7], s[8:9]
	s_and_b64 vcc, exec, s[8:9]
	s_cbranch_vccnz .LBB87_76
; %bb.2:
	s_and_b64 vcc, exec, s[6:7]
	s_cbranch_vccnz .LBB87_76
; %bb.3:
	s_load_dwordx2 s[6:7], s[0:1], 0x48
	s_load_dword s27, s[0:1], 0x40
	s_load_dword s33, s[4:5], 0x0
	s_load_dwordx4 s[8:11], s[0:1], 0x28
	s_load_dwordx2 s[12:13], s[0:1], 0x38
	s_waitcnt lgkmcnt(0)
	s_mul_i32 s4, s3, s7
	s_mul_hi_u32 s5, s3, s6
	s_add_i32 s5, s5, s4
	s_mul_i32 s4, s3, s6
	s_lshl_b64 s[4:5], s[4:5], 2
	s_add_u32 s6, s10, s4
	s_addc_u32 s7, s11, s5
	s_lshl_b64 s[4:5], s[12:13], 2
	s_add_u32 s4, s6, s4
	s_addc_u32 s5, s7, s5
	s_ashr_i32 s40, s26, 31
	s_lshr_b32 s7, s40, 26
	v_and_b32_e32 v17, 0x3ff, v0
	s_lshl_b32 s28, s2, 6
	s_add_i32 s7, s26, s7
	s_andn2_b32 s7, s7, 63
	v_add_u32_e32 v4, s28, v17
	v_bfe_u32 v5, v0, 10, 10
	s_add_i32 s6, s33, -1
	s_sub_i32 s7, s26, s7
	v_mul_lo_u32 v0, v4, s27
	s_cmp_eq_u32 s2, s6
	v_ashrrev_i32_e32 v1, 31, v0
	s_cselect_b32 s24, s7, 0
	v_lshl_add_u64 v[6:7], v[0:1], 2, s[4:5]
	v_cmp_ne_u32_e64 s[4:5], 0, v5
	v_cmp_eq_u32_e64 s[18:19], 0, v5
	s_and_saveexec_b64 s[6:7], s[18:19]
	s_cbranch_execz .LBB87_7
; %bb.4:
	s_cmp_eq_u32 s24, 0
	s_cselect_b64 s[10:11], -1, 0
	v_cmp_gt_i32_e32 vcc, s24, v17
	s_or_b64 s[12:13], s[10:11], vcc
	v_mov_b32_e32 v0, 0
	s_and_saveexec_b64 s[10:11], s[12:13]
	s_cbranch_execz .LBB87_6
; %bb.5:
	global_load_dword v0, v[6:7], off
.LBB87_6:
	s_or_b64 exec, exec, s[10:11]
	v_lshlrev_b32_e32 v1, 2, v17
	s_waitcnt vmcnt(0)
	ds_write_b32 v1, v0 offset:4544
.LBB87_7:
	s_or_b64 exec, exec, s[6:7]
	s_load_dwordx4 s[12:15], s[0:1], 0x10
	s_load_dword s22, s[0:1], 0x20
	s_mul_i32 s6, s3, s9
	s_mul_hi_u32 s7, s3, s8
	s_add_i32 s7, s7, s6
	s_mul_i32 s6, s3, s8
	s_lshl_b64 s[6:7], s[6:7], 2
	s_waitcnt lgkmcnt(0)
	s_add_u32 s8, s12, s6
	s_addc_u32 s9, s13, s7
	s_lshl_b64 s[6:7], s[14:15], 2
	s_add_u32 s8, s8, s6
	s_addc_u32 s9, s9, s7
	s_ashr_i32 s29, s28, 31
	v_lshl_add_u32 v18, v5, 6, v17
	s_lshl_b64 s[6:7], s[28:29], 2
	v_and_b32_e32 v0, 31, v17
	v_lshrrev_b32_e32 v1, 5, v18
	s_add_u32 s8, s8, s6
	s_addc_u32 s9, s9, s7
	v_mad_u64_u32 v[8:9], s[6:7], v1, s22, v[0:1]
	s_mul_i32 s6, s28, s22
	s_ashr_i32 s7, s6, 31
	s_lshl_b64 s[30:31], s[6:7], 2
	s_add_u32 s6, s30, s8
	s_addc_u32 s7, s31, s9
	s_cmp_lg_u32 s24, 0
	v_ashrrev_i32_e32 v9, 31, v8
	s_cselect_b64 s[34:35], -1, 0
	s_cmp_eq_u32 s24, 0
	v_lshl_add_u64 v[2:3], v[8:9], 2, s[6:7]
	s_cselect_b64 s[20:21], -1, 0
	s_and_b64 vcc, exec, s[34:35]
	s_cbranch_vccnz .LBB87_9
; %bb.8:
	s_lshl_b32 s6, s22, 3
	s_ashr_i32 s7, s6, 31
	s_ashr_i32 s23, s22, 31
	global_load_dword v12, v[2:3], off
	v_lshl_add_u64 v[10:11], s[6:7], 2, v[2:3]
	global_load_dword v13, v[10:11], off
	s_lshl_b64 s[6:7], s[22:23], 5
	v_lshl_add_u64 v[10:11], v[10:11], 0, s[6:7]
	global_load_dword v14, v[10:11], off
	v_lshl_add_u64 v[10:11], v[10:11], 0, s[6:7]
	global_load_dword v10, v[10:11], off
	v_mul_u32_u24_e32 v11, 33, v1
	v_add_lshl_u32 v11, v11, v0, 2
	s_waitcnt vmcnt(3)
	ds_write_b32 v11, v12
	s_waitcnt vmcnt(2)
	ds_write_b32 v11, v13 offset:1056
	s_waitcnt vmcnt(1)
	ds_write_b32 v11, v14 offset:2112
	;; [unrolled: 2-line block ×3, first 2 shown]
	s_cbranch_execz .LBB87_10
	s_branch .LBB87_19
.LBB87_9:
.LBB87_10:
	v_lshlrev_b32_e32 v10, 2, v0
	v_sub_co_u32_e32 v12, vcc, v2, v10
	s_ashr_i32 s25, s24, 31
	s_nop 0
	v_subbrev_co_u32_e32 v13, vcc, 0, v3, vcc
	v_lshl_add_u64 v[12:13], s[24:25], 2, v[12:13]
	v_lshl_add_u64 v[12:13], v[12:13], 0, -4
	v_cmp_gt_i32_e32 vcc, s24, v0
	v_cmp_gt_i32_e64 s[6:7], s24, v1
	v_mov_b32_e32 v14, 0
	v_cndmask_b32_e32 v13, v13, v3, vcc
	v_cndmask_b32_e32 v12, v12, v2, vcc
	v_mov_b32_e32 v15, 0
	s_and_saveexec_b64 s[8:9], s[6:7]
	s_cbranch_execz .LBB87_12
; %bb.11:
	global_load_dword v15, v[12:13], off
.LBB87_12:
	s_or_b64 exec, exec, s[8:9]
	v_mul_u32_u24_e32 v11, 33, v1
	v_add_lshl_u32 v11, v11, v0, 2
	s_waitcnt vmcnt(0)
	ds_write_b32 v11, v15
	v_add_u32_e32 v15, 8, v1
	v_cmp_gt_i32_e64 s[6:7], s24, v15
	s_and_saveexec_b64 s[8:9], s[6:7]
	s_cbranch_execz .LBB87_14
; %bb.13:
	s_lshl_b32 s6, s22, 3
	s_ashr_i32 s7, s6, 31
	v_lshl_add_u64 v[14:15], s[6:7], 2, v[12:13]
	global_load_dword v14, v[14:15], off
.LBB87_14:
	s_or_b64 exec, exec, s[8:9]
	s_waitcnt vmcnt(0)
	ds_write_b32 v11, v14 offset:1056
	v_add_u32_e32 v14, 16, v1
	v_cmp_gt_i32_e64 s[6:7], s24, v14
	v_mov_b32_e32 v14, 0
	v_mov_b32_e32 v15, 0
	s_and_saveexec_b64 s[8:9], s[6:7]
	s_cbranch_execz .LBB87_16
; %bb.15:
	s_lshl_b32 s6, s22, 4
	s_ashr_i32 s7, s6, 31
	v_lshl_add_u64 v[20:21], s[6:7], 2, v[12:13]
	global_load_dword v15, v[20:21], off
.LBB87_16:
	s_or_b64 exec, exec, s[8:9]
	s_waitcnt vmcnt(0)
	ds_write_b32 v11, v15 offset:2112
	v_add_u32_e32 v15, 24, v1
	v_cmp_gt_i32_e64 s[6:7], s24, v15
	s_and_saveexec_b64 s[8:9], s[6:7]
	s_cbranch_execz .LBB87_18
; %bb.17:
	s_mul_i32 s6, s22, 24
	s_ashr_i32 s7, s6, 31
	v_lshl_add_u64 v[14:15], s[6:7], 2, v[12:13]
	global_load_dword v14, v[14:15], off
.LBB87_18:
	s_or_b64 exec, exec, s[8:9]
	s_waitcnt vmcnt(0)
	ds_write_b32 v11, v14 offset:3168
	v_mov_b32_e32 v11, 0
	v_lshl_add_u64 v[10:11], v[12:13], 0, v[10:11]
	s_lshl_b64 s[6:7], s[24:25], 2
	v_mov_b32_e32 v12, s7
	v_subrev_co_u32_e64 v10, s[6:7], s6, v10
	s_nop 1
	v_subb_co_u32_e64 v11, s[6:7], v11, v12, s[6:7]
	v_lshl_add_u64 v[10:11], v[10:11], 0, 4
	v_cndmask_b32_e32 v3, v11, v3, vcc
	v_cndmask_b32_e32 v2, v10, v2, vcc
.LBB87_19:
	v_lshlrev_b32_e32 v14, 2, v1
	v_mul_u32_u24_e32 v19, 33, v0
	v_cmp_lt_u32_e64 s[8:9], v14, v0
	v_add_lshl_u32 v20, v14, v19, 2
	s_waitcnt lgkmcnt(0)
	s_barrier
	s_and_saveexec_b64 s[6:7], s[8:9]
	s_cbranch_execz .LBB87_21
; %bb.20:
	v_mul_u32_u24_e32 v10, 0x84, v1
	v_add_lshl_u32 v10, v10, v0, 2
	ds_read_b32 v10, v10
	s_waitcnt lgkmcnt(0)
	ds_write_b32 v20, v10
.LBB87_21:
	s_or_b64 exec, exec, s[6:7]
	v_or_b32_e32 v10, 1, v14
	v_cmp_lt_u32_e64 s[10:11], v10, v0
	s_and_saveexec_b64 s[6:7], s[10:11]
	s_cbranch_execz .LBB87_23
; %bb.22:
	v_mul_u32_u24_e32 v10, 33, v10
	v_add_lshl_u32 v10, v10, v0, 2
	ds_read_b32 v10, v10
	s_waitcnt lgkmcnt(0)
	ds_write_b32 v20, v10 offset:4
.LBB87_23:
	s_or_b64 exec, exec, s[6:7]
	v_or_b32_e32 v10, 2, v14
	v_cmp_lt_u32_e64 s[12:13], v10, v0
	s_and_saveexec_b64 s[6:7], s[12:13]
	s_cbranch_execz .LBB87_25
; %bb.24:
	v_mul_u32_u24_e32 v10, 33, v10
	v_add_lshl_u32 v10, v10, v0, 2
	ds_read_b32 v10, v10
	s_waitcnt lgkmcnt(0)
	ds_write_b32 v20, v10 offset:8
.LBB87_25:
	s_or_b64 exec, exec, s[6:7]
	v_or_b32_e32 v10, 3, v14
	v_cmp_lt_u32_e64 s[14:15], v10, v0
	v_mad_u32_u24 v10, v10, 33, v0
	v_lshlrev_b32_e32 v15, 2, v10
	s_and_saveexec_b64 s[6:7], s[14:15]
	s_cbranch_execz .LBB87_27
; %bb.26:
	ds_read_b32 v10, v15
	s_waitcnt lgkmcnt(0)
	ds_write_b32 v20, v10 offset:12
.LBB87_27:
	s_or_b64 exec, exec, s[6:7]
	v_mul_u32_u24_e32 v10, 0x84, v1
	v_add_u32_e32 v24, 0xfffffef8, v15
	s_waitcnt lgkmcnt(0)
	s_barrier
	v_add_lshl_u32 v23, v10, v0, 2
	v_lshlrev_b32_e32 v22, 2, v14
	ds_read2_b32 v[26:27], v24 offset1:33
	ds_read_b32 v28, v23
	ds_read_b128 v[10:13], v22 offset:4544
	ds_read_b32 v31, v15
	v_add_lshl_u32 v21, v1, v19, 2
	s_waitcnt lgkmcnt(3)
	v_mov_b32_e32 v29, v26
	v_mov_b32_e32 v30, v27
	s_waitcnt lgkmcnt(1)
	v_pk_mul_f32 v[10:11], v[28:29], v[10:11]
	v_cmp_gt_u32_e64 s[6:7], 32, v18
	v_add_f32_e32 v10, 0, v10
	v_add_f32_e32 v16, v10, v11
	s_waitcnt lgkmcnt(0)
	v_pk_mul_f32 v[10:11], v[30:31], v[12:13]
	s_nop 0
	v_add_f32_e32 v10, v16, v10
	v_add_f32_e32 v10, v10, v11
	v_mov_b32_e32 v16, 0
	s_barrier
	ds_write_b32 v21, v10
	s_waitcnt lgkmcnt(0)
	s_barrier
	s_and_saveexec_b64 s[16:17], s[6:7]
	s_cbranch_execz .LBB87_29
; %bb.28:
	v_lshlrev_b32_e32 v16, 2, v19
	ds_read2_b32 v[10:11], v16 offset1:1
	ds_read2_b32 v[12:13], v16 offset0:2 offset1:3
	ds_read2_b32 v[26:27], v16 offset0:4 offset1:5
	;; [unrolled: 1-line block ×3, first 2 shown]
	s_waitcnt lgkmcnt(3)
	v_add_f32_e32 v10, v10, v11
	s_waitcnt lgkmcnt(2)
	v_add_f32_e32 v10, v10, v12
	v_add_f32_e32 v10, v10, v13
	s_waitcnt lgkmcnt(1)
	v_add_f32_e32 v10, v10, v26
	;; [unrolled: 3-line block ×3, first 2 shown]
	v_add_f32_e32 v16, v10, v29
.LBB87_29:
	s_or_b64 exec, exec, s[16:17]
	s_lshl_b32 s36, s22, 5
	s_ashr_i32 s37, s36, 31
	v_lshl_add_u64 v[10:11], s[36:37], 2, v[2:3]
	s_mov_b64 s[38:39], 0x80
	v_cndmask_b32_e64 v2, 0, 1, s[20:21]
	v_cmp_ne_u32_e64 s[16:17], 1, v2
	s_andn2_b64 vcc, exec, s[20:21]
	v_lshl_add_u64 v[2:3], v[10:11], 0, s[38:39]
	s_barrier
	s_cbranch_vccnz .LBB87_31
; %bb.30:
	s_lshl_b32 s20, s22, 3
	s_ashr_i32 s21, s20, 31
	s_ashr_i32 s23, s22, 31
	v_lshl_add_u64 v[12:13], s[20:21], 2, v[10:11]
	s_lshl_b64 s[20:21], s[22:23], 5
	v_lshl_add_u64 v[26:27], v[12:13], 0, s[20:21]
	v_lshl_add_u64 v[28:29], v[26:27], 0, s[20:21]
	global_load_dword v25, v[10:11], off offset:128
	global_load_dword v30, v[12:13], off offset:128
	;; [unrolled: 1-line block ×4, first 2 shown]
	v_mul_u32_u24_e32 v10, 33, v1
	v_add_lshl_u32 v10, v10, v0, 2
	s_waitcnt vmcnt(3)
	ds_write_b32 v10, v25
	s_waitcnt vmcnt(2)
	ds_write_b32 v10, v30 offset:1056
	s_waitcnt vmcnt(1)
	ds_write_b32 v10, v31 offset:2112
	s_waitcnt vmcnt(0)
	ds_write_b32 v10, v32 offset:3168
	s_cbranch_execz .LBB87_32
	s_branch .LBB87_41
.LBB87_31:
.LBB87_32:
	v_lshlrev_b32_e32 v10, 2, v0
	v_sub_co_u32_e32 v12, vcc, v2, v10
	s_ashr_i32 s25, s24, 31
	s_nop 0
	v_subbrev_co_u32_e32 v13, vcc, 0, v3, vcc
	s_movk_i32 s20, 0xff7c
	v_or_b32_e32 v11, 32, v0
	v_lshl_add_u64 v[12:13], s[24:25], 2, v[12:13]
	s_mov_b32 s21, -1
	v_lshl_add_u64 v[12:13], v[12:13], 0, s[20:21]
	v_cmp_gt_i32_e32 vcc, s24, v11
	s_sub_i32 s23, s24, 32
	v_cmp_gt_i32_e64 s[20:21], s23, v1
	v_cndmask_b32_e32 v13, v13, v3, vcc
	v_cndmask_b32_e32 v12, v12, v2, vcc
	v_mov_b32_e32 v25, 0
	v_mov_b32_e32 v26, 0
	s_and_saveexec_b64 s[38:39], s[20:21]
	s_cbranch_execz .LBB87_34
; %bb.33:
	global_load_dword v26, v[12:13], off
.LBB87_34:
	s_or_b64 exec, exec, s[38:39]
	v_mul_u32_u24_e32 v11, 33, v1
	v_add_lshl_u32 v11, v11, v0, 2
	s_waitcnt vmcnt(0)
	ds_write_b32 v11, v26
	v_add_u32_e32 v26, 8, v1
	v_cmp_gt_i32_e64 s[20:21], s23, v26
	s_and_saveexec_b64 s[38:39], s[20:21]
	s_cbranch_execz .LBB87_36
; %bb.35:
	s_lshl_b32 s20, s22, 3
	s_ashr_i32 s21, s20, 31
	v_lshl_add_u64 v[26:27], s[20:21], 2, v[12:13]
	global_load_dword v25, v[26:27], off
.LBB87_36:
	s_or_b64 exec, exec, s[38:39]
	s_waitcnt vmcnt(0)
	ds_write_b32 v11, v25 offset:1056
	v_add_u32_e32 v25, 16, v1
	v_cmp_gt_i32_e64 s[20:21], s23, v25
	v_mov_b32_e32 v25, 0
	v_mov_b32_e32 v26, 0
	s_and_saveexec_b64 s[38:39], s[20:21]
	s_cbranch_execz .LBB87_38
; %bb.37:
	s_lshl_b32 s20, s22, 4
	s_ashr_i32 s21, s20, 31
	v_lshl_add_u64 v[26:27], s[20:21], 2, v[12:13]
	global_load_dword v26, v[26:27], off
.LBB87_38:
	s_or_b64 exec, exec, s[38:39]
	s_waitcnt vmcnt(0)
	ds_write_b32 v11, v26 offset:2112
	v_add_u32_e32 v26, 24, v1
	v_cmp_gt_i32_e64 s[20:21], s23, v26
	s_and_saveexec_b64 s[38:39], s[20:21]
	s_cbranch_execz .LBB87_40
; %bb.39:
	s_mul_i32 s20, s22, 24
	s_ashr_i32 s21, s20, 31
	v_lshl_add_u64 v[26:27], s[20:21], 2, v[12:13]
	global_load_dword v25, v[26:27], off
.LBB87_40:
	s_or_b64 exec, exec, s[38:39]
	s_waitcnt vmcnt(0)
	ds_write_b32 v11, v25 offset:3168
	v_mov_b32_e32 v11, 0
	v_lshl_add_u64 v[10:11], v[12:13], 0, v[10:11]
	s_lshl_b64 s[20:21], s[24:25], 2
	v_mov_b32_e32 v12, s21
	v_subrev_co_u32_e64 v10, s[20:21], s20, v10
	s_nop 1
	v_subb_co_u32_e64 v11, s[20:21], v11, v12, s[20:21]
	s_mov_b64 s[20:21], 0x84
	s_nop 0
	v_lshl_add_u64 v[10:11], v[10:11], 0, s[20:21]
	v_cndmask_b32_e32 v3, v11, v3, vcc
	v_cndmask_b32_e32 v2, v10, v2, vcc
.LBB87_41:
	v_add_u32_e32 v22, 0x11c0, v22
	s_waitcnt lgkmcnt(0)
	s_barrier
	s_and_saveexec_b64 s[20:21], s[8:9]
	s_cbranch_execnz .LBB87_50
; %bb.42:
	s_or_b64 exec, exec, s[20:21]
	s_and_saveexec_b64 s[8:9], s[10:11]
	s_cbranch_execnz .LBB87_51
.LBB87_43:
	s_or_b64 exec, exec, s[8:9]
	s_and_saveexec_b64 s[8:9], s[12:13]
	s_cbranch_execnz .LBB87_52
.LBB87_44:
	s_or_b64 exec, exec, s[8:9]
	s_and_saveexec_b64 s[8:9], s[14:15]
	s_cbranch_execz .LBB87_46
.LBB87_45:
	ds_read_b32 v10, v15
	s_waitcnt lgkmcnt(0)
	ds_write_b32 v20, v10 offset:12
.LBB87_46:
	s_or_b64 exec, exec, s[8:9]
	s_waitcnt lgkmcnt(0)
	s_barrier
	ds_read_b32 v23, v23
	ds_read_b128 v[10:13], v22 offset:128
	ds_read2_b32 v[24:25], v24 offset1:33
	ds_read_b32 v15, v15
	v_cmp_eq_u32_e64 s[8:9], 1, v1
	s_waitcnt lgkmcnt(0)
	v_fma_f32 v10, v23, v10, 0
	v_fmac_f32_e32 v10, v24, v11
	v_fmac_f32_e32 v10, v25, v12
	;; [unrolled: 1-line block ×3, first 2 shown]
	s_barrier
	ds_write_b32 v21, v10
	s_waitcnt lgkmcnt(0)
	s_barrier
	s_and_saveexec_b64 s[10:11], s[8:9]
	s_cbranch_execz .LBB87_48
; %bb.47:
	v_lshlrev_b32_e32 v15, 2, v19
	ds_read2_b32 v[10:11], v15 offset1:1
	ds_read2_b32 v[12:13], v15 offset0:2 offset1:3
	ds_read2_b32 v[24:25], v15 offset0:4 offset1:5
	ds_read2_b32 v[26:27], v15 offset0:6 offset1:7
	s_waitcnt lgkmcnt(3)
	v_add_f32_e32 v10, v10, v11
	s_waitcnt lgkmcnt(2)
	v_add_f32_e32 v10, v10, v12
	v_add_f32_e32 v10, v10, v13
	s_waitcnt lgkmcnt(1)
	v_add_f32_e32 v10, v10, v24
	;; [unrolled: 3-line block ×3, first 2 shown]
	v_add_f32_e32 v16, v10, v27
.LBB87_48:
	s_or_b64 exec, exec, s[10:11]
	s_lshl_b64 s[10:11], s[36:37], 2
	v_mov_b32_e32 v11, s11
	v_subrev_co_u32_e64 v10, s[10:11], s10, v2
	s_and_b64 vcc, exec, s[16:17]
	s_nop 0
	v_subb_co_u32_e64 v11, s[10:11], v3, v11, s[10:11]
	s_barrier
	s_cbranch_vccnz .LBB87_53
; %bb.49:
	s_lshl_b32 s10, s22, 3
	s_ashr_i32 s11, s10, 31
	s_ashr_i32 s23, s22, 31
	v_lshl_add_u64 v[2:3], s[10:11], 2, v[10:11]
	s_lshl_b64 s[10:11], s[22:23], 5
	v_lshl_add_u64 v[12:13], v[2:3], 0, s[10:11]
	v_lshl_add_u64 v[24:25], v[12:13], 0, s[10:11]
	global_load_dword v29, v[10:11], off
	global_load_dword v30, v[2:3], off
	;; [unrolled: 1-line block ×4, first 2 shown]
	v_mad_u32_u24 v23, v1, 33, v0
	v_add_u32_e32 v15, 8, v1
	v_add_u32_e32 v24, 16, v1
	;; [unrolled: 1-line block ×3, first 2 shown]
	v_lshlrev_b32_e32 v2, 2, v23
	v_add_u32_e32 v28, 0x108, v23
	v_add_u32_e32 v26, 0x210, v23
	;; [unrolled: 1-line block ×3, first 2 shown]
	s_waitcnt vmcnt(3)
	ds_write_b32 v2, v29
	s_waitcnt vmcnt(2)
	ds_write_b32 v2, v30 offset:1056
	s_waitcnt vmcnt(1)
	ds_write_b32 v2, v31 offset:2112
	;; [unrolled: 2-line block ×3, first 2 shown]
	s_cbranch_execz .LBB87_54
	s_branch .LBB87_63
.LBB87_50:
	ds_read_b32 v10, v23
	s_waitcnt lgkmcnt(0)
	ds_write_b32 v20, v10
	s_or_b64 exec, exec, s[20:21]
	s_and_saveexec_b64 s[8:9], s[10:11]
	s_cbranch_execz .LBB87_43
.LBB87_51:
	ds_read_b32 v10, v24
	s_waitcnt lgkmcnt(0)
	ds_write_b32 v20, v10 offset:4
	s_or_b64 exec, exec, s[8:9]
	s_and_saveexec_b64 s[8:9], s[12:13]
	s_cbranch_execz .LBB87_44
.LBB87_52:
	ds_read_b32 v10, v24 offset:132
	s_waitcnt lgkmcnt(0)
	ds_write_b32 v20, v10 offset:8
	s_or_b64 exec, exec, s[8:9]
	s_and_saveexec_b64 s[8:9], s[14:15]
	s_cbranch_execnz .LBB87_45
	s_branch .LBB87_46
.LBB87_53:
                                        ; implicit-def: $vgpr23
                                        ; implicit-def: $vgpr15
                                        ; implicit-def: $vgpr28
                                        ; implicit-def: $vgpr24
                                        ; implicit-def: $vgpr26
                                        ; implicit-def: $vgpr25
                                        ; implicit-def: $vgpr27
.LBB87_54:
	v_lshlrev_b32_e32 v2, 2, v0
	v_sub_co_u32_e32 v12, vcc, v10, v2
	s_ashr_i32 s25, s24, 31
	s_nop 0
	v_subbrev_co_u32_e32 v13, vcc, 0, v11, vcc
	s_movk_i32 s10, 0xff7c
	v_or_b32_e32 v3, 32, v0
	v_lshl_add_u64 v[12:13], s[24:25], 2, v[12:13]
	s_mov_b32 s11, -1
	v_lshl_add_u64 v[12:13], v[12:13], 0, s[10:11]
	v_cmp_gt_i32_e32 vcc, s24, v3
	v_cmp_gt_i32_e64 s[10:11], s24, v1
	v_mov_b32_e32 v3, 0
	v_cndmask_b32_e32 v13, v13, v11, vcc
	v_cndmask_b32_e32 v12, v12, v10, vcc
	v_mov_b32_e32 v15, 0
	s_and_saveexec_b64 s[12:13], s[10:11]
	s_cbranch_execz .LBB87_56
; %bb.55:
	global_load_dword v15, v[12:13], off
.LBB87_56:
	s_or_b64 exec, exec, s[12:13]
	v_mad_u32_u24 v23, v1, 33, v0
	v_lshlrev_b32_e32 v0, 2, v23
	s_waitcnt vmcnt(0)
	ds_write_b32 v0, v15
	v_add_u32_e32 v15, 8, v1
	v_cmp_gt_i32_e64 s[10:11], s24, v15
	s_and_saveexec_b64 s[12:13], s[10:11]
	s_cbranch_execz .LBB87_58
; %bb.57:
	s_lshl_b32 s10, s22, 3
	s_ashr_i32 s11, s10, 31
	v_lshl_add_u64 v[24:25], s[10:11], 2, v[12:13]
	global_load_dword v3, v[24:25], off
.LBB87_58:
	s_or_b64 exec, exec, s[12:13]
	v_add_u32_e32 v24, 16, v1
	s_waitcnt vmcnt(0)
	ds_write_b32 v0, v3 offset:1056
	v_cmp_gt_i32_e64 s[10:11], s24, v24
	v_mov_b32_e32 v3, 0
	v_mov_b32_e32 v25, 0
	s_and_saveexec_b64 s[12:13], s[10:11]
	s_cbranch_execz .LBB87_60
; %bb.59:
	s_lshl_b32 s10, s22, 4
	s_ashr_i32 s11, s10, 31
	v_lshl_add_u64 v[26:27], s[10:11], 2, v[12:13]
	global_load_dword v25, v[26:27], off
.LBB87_60:
	s_or_b64 exec, exec, s[12:13]
	s_waitcnt vmcnt(0)
	ds_write_b32 v0, v25 offset:2112
	v_add_u32_e32 v25, 24, v1
	v_cmp_gt_i32_e64 s[10:11], s24, v25
	s_and_saveexec_b64 s[12:13], s[10:11]
	s_cbranch_execz .LBB87_62
; %bb.61:
	s_mul_i32 s10, s22, 24
	s_ashr_i32 s11, s10, 31
	v_lshl_add_u64 v[26:27], s[10:11], 2, v[12:13]
	global_load_dword v3, v[26:27], off
.LBB87_62:
	s_or_b64 exec, exec, s[12:13]
	s_waitcnt vmcnt(0)
	ds_write_b32 v0, v3 offset:3168
	v_mov_b32_e32 v3, 0
	v_lshl_add_u64 v[0:1], v[12:13], 0, v[2:3]
	s_lshl_b64 s[10:11], s[24:25], 2
	v_mov_b32_e32 v2, s11
	v_subrev_co_u32_e64 v0, s[10:11], s10, v0
	v_add_u32_e32 v28, 0x108, v23
	s_nop 0
	v_subb_co_u32_e64 v1, s[10:11], v1, v2, s[10:11]
	s_mov_b64 s[10:11], 0x84
	s_nop 0
	v_lshl_add_u64 v[0:1], v[0:1], 0, s[10:11]
	v_add_u32_e32 v26, 0x210, v23
	v_add_u32_e32 v27, 0x318, v23
	v_cndmask_b32_e32 v11, v1, v11, vcc
	v_cndmask_b32_e32 v10, v0, v10, vcc
.LBB87_63:
	s_waitcnt lgkmcnt(0)
	s_barrier
	v_lshlrev_b32_e32 v0, 2, v23
	ds_read_b32 v23, v14 offset:4544
	v_lshlrev_b32_e32 v1, 2, v28
	ds_read_b32 v28, v0
	ds_read_b32 v29, v1
	v_lshlrev_b32_e32 v0, 2, v15
	v_lshlrev_b32_e32 v1, 2, v26
	;; [unrolled: 1-line block ×5, first 2 shown]
	ds_read_b32 v24, v0 offset:4544
	ds_read_b32 v25, v1
	ds_read_b32 v26, v2 offset:4544
	ds_read_b32 v27, v3
	ds_read_b32 v30, v12 offset:4544
	ds_read2_b32 v[14:15], v20 offset1:1
	ds_read_b128 v[0:3], v22 offset:128
	ds_read2_b32 v[12:13], v20 offset0:2 offset1:3
	s_waitcnt lgkmcnt(9)
	v_fma_f32 v20, v28, v23, 0
	s_waitcnt lgkmcnt(7)
	v_fmac_f32_e32 v20, v29, v24
	s_waitcnt lgkmcnt(5)
	v_fmac_f32_e32 v20, v25, v26
	;; [unrolled: 2-line block ×3, first 2 shown]
	s_waitcnt lgkmcnt(0)
	s_barrier
	ds_write_b32 v21, v20
	s_waitcnt lgkmcnt(0)
	s_barrier
	s_and_saveexec_b64 s[10:11], s[8:9]
	s_cbranch_execz .LBB87_65
; %bb.64:
	v_lshlrev_b32_e32 v20, 2, v19
	ds_read2_b32 v[22:23], v20 offset1:1
	ds_read2_b32 v[24:25], v20 offset0:2 offset1:3
	ds_read2_b32 v[26:27], v20 offset0:4 offset1:5
	;; [unrolled: 1-line block ×3, first 2 shown]
	s_waitcnt lgkmcnt(3)
	v_add_f32_e32 v16, v16, v22
	v_add_f32_e32 v16, v16, v23
	s_waitcnt lgkmcnt(2)
	v_add_f32_e32 v16, v16, v24
	v_add_f32_e32 v16, v16, v25
	;; [unrolled: 3-line block ×4, first 2 shown]
.LBB87_65:
	s_or_b64 exec, exec, s[10:11]
	v_fma_f32 v0, v14, v0, 0
	v_fmac_f32_e32 v0, v15, v1
	v_fmac_f32_e32 v0, v12, v2
	;; [unrolled: 1-line block ×3, first 2 shown]
	s_barrier
	ds_write_b32 v21, v0
	s_waitcnt lgkmcnt(0)
	s_barrier
	s_and_saveexec_b64 s[8:9], s[6:7]
	s_cbranch_execz .LBB87_67
; %bb.66:
	v_lshlrev_b32_e32 v14, 2, v19
	ds_read2_b32 v[0:1], v14 offset1:1
	ds_read2_b32 v[2:3], v14 offset0:2 offset1:3
	ds_read2_b32 v[12:13], v14 offset0:4 offset1:5
	;; [unrolled: 1-line block ×3, first 2 shown]
	s_waitcnt lgkmcnt(3)
	v_add_f32_e32 v0, v16, v0
	v_add_f32_e32 v0, v0, v1
	s_waitcnt lgkmcnt(2)
	v_add_f32_e32 v0, v0, v2
	v_add_f32_e32 v0, v0, v3
	;; [unrolled: 3-line block ×4, first 2 shown]
.LBB87_67:
	s_or_b64 exec, exec, s[8:9]
	s_load_dwordx2 s[0:1], s[0:1], 0x60
	s_mul_hi_u32 s6, s26, s3
	s_mul_i32 s40, s40, s3
	s_add_i32 s6, s6, s40
	s_mul_i32 s3, s26, s3
	s_mul_i32 s6, s6, s33
	s_mul_hi_u32 s7, s3, s33
	s_add_i32 s7, s7, s6
	s_mul_i32 s6, s3, s33
	s_lshl_b64 s[6:7], s[6:7], 2
	s_waitcnt lgkmcnt(0)
	s_add_u32 s3, s0, s6
	s_mul_i32 s0, s2, s26
	s_addc_u32 s7, s1, s7
	s_ashr_i32 s1, s0, 31
	s_lshl_b64 s[0:1], s[0:1], 2
	s_add_u32 s6, s3, s0
	v_cmp_le_i32_e32 vcc, s24, v17
	s_addc_u32 s7, s7, s1
	s_and_b64 vcc, s[34:35], vcc
	s_cmp_lt_i32 s2, 1
	v_lshlrev_b32_e32 v12, 2, v17
	s_barrier
	s_cbranch_scc1 .LBB87_74
; %bb.68:
	s_mul_i32 s0, s28, s27
	s_ashr_i32 s1, s0, 31
	s_lshl_b64 s[0:1], s[0:1], 2
	v_mov_b32_e32 v1, s1
	v_subrev_co_u32_e64 v0, s[0:1], s0, v6
	v_mov_b32_e32 v2, s31
	s_nop 0
	v_subb_co_u32_e64 v1, s[0:1], v7, v1, s[0:1]
	v_subrev_co_u32_e64 v6, s[0:1], s30, v10
	s_ashr_i32 s25, s24, 31
	s_nop 0
	v_subb_co_u32_e64 v7, s[0:1], v11, v2, s[0:1]
	v_lshlrev_b64 v[2:3], 2, v[8:9]
	v_sub_co_u32_e64 v2, s[0:1], v6, v2
	v_mul_lo_u32 v6, v5, s22
	s_nop 0
	v_subb_co_u32_e64 v3, s[0:1], v7, v3, s[0:1]
	v_lshl_add_u32 v6, v6, 2, v17
	v_ashrrev_i32_e32 v7, 31, v6
	s_movk_i32 s0, 0xff80
	v_lshl_add_u64 v[6:7], v[6:7], 2, v[2:3]
	s_mov_b32 s1, -1
	v_lshl_add_u64 v[8:9], v[6:7], 0, s[0:1]
	v_sub_co_u32_e64 v6, s[0:1], v6, v12
	v_lshrrev_b32_e32 v2, 2, v18
	s_nop 0
	v_subbrev_co_u32_e64 v7, s[0:1], 0, v7, s[0:1]
	s_movk_i32 s0, 0xff7c
	v_lshl_add_u64 v[6:7], s[24:25], 2, v[6:7]
	s_mov_b32 s1, -1
	v_and_b32_e32 v20, 48, v17
	v_and_b32_e32 v19, 15, v17
	v_lshl_add_u64 v[6:7], v[6:7], 0, s[0:1]
	v_and_b32_e32 v2, 0x7ffc, v2
	v_lshlrev_b32_e32 v10, 2, v20
	s_movk_i32 s8, 0x10c
	v_or_b32_e32 v11, 60, v12
	v_and_b32_e32 v13, 0x1fff0, v18
	s_ashr_i32 s23, s22, 31
	v_mov_b32_e32 v14, 0x10c0
	s_movk_i32 s9, 0x430
	v_mov_b32_e32 v3, 0
	v_cndmask_b32_e32 v7, v9, v7, vcc
	v_cndmask_b32_e32 v6, v8, v6, vcc
	s_lshl_b32 s3, s27, 6
	v_add_u32_e32 v8, 0x10c0, v12
	v_add_u32_e32 v9, 0x11c0, v12
	v_cmp_gt_u32_e64 s[0:1], 64, v18
	v_mad_u32_u24 v10, v19, s8, v10
	v_mad_u32_u24 v11, v19, s8, v11
	;; [unrolled: 1-line block ×3, first 2 shown]
	v_lshl_add_u32 v14, v5, 4, v14
	v_mad_u32_u24 v15, v5, s9, v12
	v_mad_u32_u24 v17, v19, s8, v2
	s_lshl_b64 s[8:9], s[22:23], 2
	s_lshl_b64 s[10:11], s[22:23], 8
	;; [unrolled: 1-line block ×3, first 2 shown]
	s_mul_hi_i32 s15, s22, 12
	s_mul_i32 s14, s22, 12
	s_mul_hi_i32 s17, s22, 0x48
	s_mul_i32 s16, s22, 0x48
	;; [unrolled: 2-line block ×10, first 2 shown]
	s_lshl_b64 s[40:41], s[22:23], 7
	s_mul_hi_i32 s43, s22, 0x44
	s_mul_i32 s42, s22, 0x44
	s_lshl_b64 s[22:23], s[22:23], 6
	v_or_b32_e32 v2, v20, v19
	s_mov_b32 s44, 0
	s_branch .LBB87_70
.LBB87_69:                              ;   in Loop: Header=BB87_70 Depth=1
	s_or_b64 exec, exec, s[46:47]
	v_fmac_f32_e32 v16, v18, v22
	v_fmac_f32_e32 v16, v20, v23
	;; [unrolled: 1-line block ×15, first 2 shown]
	s_add_i32 s2, s2, -1
	s_add_i32 s44, s44, s3
	v_fmac_f32_e32 v16, v42, v49
	v_lshl_add_u64 v[6:7], v[6:7], 0, s[10:11]
	s_cmp_eq_u32 s2, 0
	v_add_u32_e32 v2, 64, v2
	s_barrier
	s_cbranch_scc1 .LBB87_74
.LBB87_70:                              ; =>This Inner Loop Header: Depth=1
	s_and_saveexec_b64 s[46:47], s[18:19]
	s_cbranch_execz .LBB87_72
; %bb.71:                               ;   in Loop: Header=BB87_70 Depth=1
	s_ashr_i32 s45, s44, 31
	v_lshl_add_u64 v[18:19], s[44:45], 2, v[0:1]
	global_load_dword v18, v[18:19], off
	s_waitcnt vmcnt(0)
	ds_write_b32 v8, v18
.LBB87_72:                              ;   in Loop: Header=BB87_70 Depth=1
	s_or_b64 exec, exec, s[46:47]
	s_waitcnt lgkmcnt(0)
	s_barrier
	global_load_dword v18, v[6:7], off
	v_lshl_add_u64 v[22:23], v[6:7], 0, s[8:9]
	v_lshl_add_u64 v[24:25], v[6:7], 0, s[12:13]
	global_load_dword v20, v[22:23], off
	global_load_dword v19, v[24:25], off
	v_lshl_add_u64 v[22:23], v[6:7], 0, s[14:15]
	global_load_dword v21, v[22:23], off
	ds_read_b32 v23, v9
	ds_read_b32 v22, v14
	v_lshl_add_u64 v[30:31], v[6:7], 0, s[22:23]
	v_lshl_add_u64 v[32:33], v[6:7], 0, s[42:43]
	;; [unrolled: 1-line block ×12, first 2 shown]
	s_waitcnt vmcnt(3) lgkmcnt(1)
	v_mul_f32_e32 v24, v18, v23
	ds_write_b32 v15, v24
	s_waitcnt vmcnt(2)
	v_mul_f32_e32 v24, v20, v23
	s_waitcnt vmcnt(1)
	v_mul_f32_e32 v25, v19, v23
	;; [unrolled: 2-line block ×3, first 2 shown]
	ds_read_b32 v23, v14 offset:4
	ds_write_b32 v15, v24 offset:268
	ds_read_b32 v24, v14 offset:8
	ds_write_b32 v15, v25 offset:536
	ds_read_b32 v25, v14 offset:12
	ds_write_b32 v15, v26 offset:804
	s_waitcnt lgkmcnt(0)
	s_barrier
	ds_read2_b32 v[46:47], v13 offset1:1
	ds_read2_b32 v[48:49], v13 offset0:2 offset1:3
	s_waitcnt lgkmcnt(0)
	s_barrier
	global_load_dword v29, v[30:31], off
	global_load_dword v28, v[32:33], off
	;; [unrolled: 1-line block ×4, first 2 shown]
	ds_read_b32 v31, v9
	ds_read_b32 v30, v14 offset:64
	v_add_f32_e32 v46, 0, v46
	v_add_f32_e32 v46, v46, v47
	;; [unrolled: 1-line block ×3, first 2 shown]
	s_waitcnt vmcnt(3) lgkmcnt(1)
	v_mul_f32_e32 v32, v29, v31
	s_waitcnt vmcnt(2)
	v_mul_f32_e32 v33, v28, v31
	ds_write_b32 v15, v32
	s_waitcnt vmcnt(1)
	v_mul_f32_e32 v34, v27, v31
	s_waitcnt vmcnt(0)
	v_mul_f32_e32 v35, v26, v31
	ds_read_b32 v31, v14 offset:68
	ds_write_b32 v15, v33 offset:268
	ds_read_b32 v32, v14 offset:72
	ds_write_b32 v15, v34 offset:536
	;; [unrolled: 2-line block ×3, first 2 shown]
	s_waitcnt lgkmcnt(0)
	s_barrier
	ds_read2_b32 v[50:51], v13 offset1:1
	ds_read2_b32 v[52:53], v13 offset0:2 offset1:3
	s_waitcnt lgkmcnt(0)
	s_barrier
	global_load_dword v37, v[38:39], off
	global_load_dword v36, v[40:41], off
	;; [unrolled: 1-line block ×4, first 2 shown]
	ds_read_b32 v39, v9
	ds_read_b32 v38, v14 offset:128
	s_waitcnt vmcnt(3) lgkmcnt(1)
	v_mul_f32_e32 v40, v37, v39
	s_waitcnt vmcnt(2)
	v_mul_f32_e32 v41, v36, v39
	ds_write_b32 v15, v40
	s_waitcnt vmcnt(1)
	v_mul_f32_e32 v42, v35, v39
	s_waitcnt vmcnt(0)
	v_mul_f32_e32 v43, v34, v39
	ds_read_b32 v39, v14 offset:132
	ds_write_b32 v15, v41 offset:268
	ds_read_b32 v40, v14 offset:136
	ds_write_b32 v15, v42 offset:536
	;; [unrolled: 2-line block ×3, first 2 shown]
	s_waitcnt lgkmcnt(0)
	s_barrier
	ds_read2_b32 v[62:63], v13 offset1:1
	ds_read2_b32 v[64:65], v13 offset0:2 offset1:3
	s_waitcnt lgkmcnt(0)
	s_barrier
	global_load_dword v45, v[54:55], off
	global_load_dword v44, v[56:57], off
	;; [unrolled: 1-line block ×4, first 2 shown]
	v_add_f32_e32 v54, v46, v49
	v_add_f32_e32 v46, 0, v50
	;; [unrolled: 1-line block ×5, first 2 shown]
	ds_read_b32 v47, v9
	ds_read_b32 v46, v14 offset:192
	v_add_f32_e32 v48, 0, v62
	v_add_f32_e32 v48, v48, v63
	;; [unrolled: 1-line block ×4, first 2 shown]
	s_waitcnt vmcnt(3) lgkmcnt(1)
	v_mul_f32_e32 v48, v45, v47
	s_waitcnt vmcnt(2)
	v_mul_f32_e32 v49, v44, v47
	ds_write_b32 v15, v48
	s_waitcnt vmcnt(1)
	v_mul_f32_e32 v50, v43, v47
	s_waitcnt vmcnt(0)
	v_mul_f32_e32 v51, v42, v47
	ds_read_b32 v47, v14 offset:196
	ds_write_b32 v15, v49 offset:268
	ds_read_b32 v48, v14 offset:200
	ds_write_b32 v15, v50 offset:536
	;; [unrolled: 2-line block ×3, first 2 shown]
	s_waitcnt lgkmcnt(0)
	s_barrier
	ds_read2_b32 v[50:51], v13 offset1:1
	ds_read2_b32 v[52:53], v13 offset0:2 offset1:3
	s_waitcnt lgkmcnt(0)
	s_barrier
	v_add_f32_e32 v50, 0, v50
	v_add_f32_e32 v50, v50, v51
	;; [unrolled: 1-line block ×4, first 2 shown]
	ds_write2_b32 v17, v54, v55 offset1:16
	ds_write2_b32 v17, v56, v50 offset0:32 offset1:48
	s_waitcnt lgkmcnt(0)
	s_barrier
	s_and_saveexec_b64 s[46:47], s[0:1]
	s_cbranch_execz .LBB87_69
; %bb.73:                               ;   in Loop: Header=BB87_70 Depth=1
	ds_read2_b32 v[50:51], v10 offset1:1
	ds_read2_b32 v[52:53], v10 offset0:2 offset1:3
	ds_read2_b32 v[54:55], v10 offset0:4 offset1:5
	ds_read2_b32 v[56:57], v10 offset0:6 offset1:7
	s_waitcnt lgkmcnt(3)
	v_add_f32_e32 v50, v50, v51
	s_waitcnt lgkmcnt(2)
	v_add_f32_e32 v50, v50, v52
	v_add_f32_e32 v50, v50, v53
	s_waitcnt lgkmcnt(1)
	v_add_f32_e32 v50, v50, v54
	;; [unrolled: 3-line block ×3, first 2 shown]
	ds_read2_b32 v[50:51], v10 offset0:8 offset1:9
	v_add_f32_e32 v56, v52, v57
	ds_read2_b32 v[52:53], v10 offset0:10 offset1:11
	ds_read2_b32 v[54:55], v10 offset0:12 offset1:13
	ds_read_b32 v57, v10 offset:56
	s_waitcnt lgkmcnt(3)
	v_add_f32_e32 v50, v56, v50
	v_add_f32_e32 v50, v50, v51
	s_waitcnt lgkmcnt(2)
	v_add_f32_e32 v50, v50, v52
	ds_read_b32 v51, v11
	v_add_f32_e32 v50, v50, v53
	s_waitcnt lgkmcnt(2)
	v_add_f32_e32 v50, v50, v54
	v_add_f32_e32 v50, v50, v55
	s_waitcnt lgkmcnt(1)
	v_add_f32_e32 v50, v50, v57
	s_waitcnt lgkmcnt(0)
	v_add_f32_e32 v52, v50, v51
	v_lshl_add_u64 v[50:51], v[2:3], 2, s[6:7]
	global_store_dword v[50:51], v52, off
	s_branch .LBB87_69
.LBB87_74:
	s_movk_i32 s0, 0x10c
	v_mad_u32_u24 v0, v5, s0, v12
	s_or_b64 s[0:1], s[4:5], vcc
	s_xor_b64 s[0:1], s[0:1], -1
	ds_write_b32 v0, v16
	s_waitcnt lgkmcnt(0)
	s_barrier
	s_and_saveexec_b64 s[2:3], s[0:1]
	s_cbranch_execz .LBB87_76
; %bb.75:
	ds_read2_b32 v[0:1], v12 offset1:67
	ds_read2_b32 v[2:3], v12 offset0:134 offset1:201
	v_ashrrev_i32_e32 v5, 31, v4
	s_waitcnt lgkmcnt(1)
	v_add_f32_e32 v0, v0, v1
	s_waitcnt lgkmcnt(0)
	v_add_f32_e32 v0, v0, v2
	v_add_f32_e32 v2, v0, v3
	v_lshl_add_u64 v[0:1], v[4:5], 2, s[6:7]
	global_store_dword v[0:1], v2, off
.LBB87_76:
	s_endpgm
	.section	.rodata,"a",@progbits
	.p2align	6, 0x0
	.amdhsa_kernel _ZL26rocblas_hemvn_kernel_lowerILb0ELi64ELi4ELi33ELi32ELi16EifPKfPfEviT6_lT7_lT5_lS4_lS5_lS3_lT8_i
		.amdhsa_group_segment_fixed_size 4800
		.amdhsa_private_segment_fixed_size 0
		.amdhsa_kernarg_size 368
		.amdhsa_user_sgpr_count 2
		.amdhsa_user_sgpr_dispatch_ptr 0
		.amdhsa_user_sgpr_queue_ptr 0
		.amdhsa_user_sgpr_kernarg_segment_ptr 1
		.amdhsa_user_sgpr_dispatch_id 0
		.amdhsa_user_sgpr_kernarg_preload_length 0
		.amdhsa_user_sgpr_kernarg_preload_offset 0
		.amdhsa_user_sgpr_private_segment_size 0
		.amdhsa_uses_dynamic_stack 0
		.amdhsa_enable_private_segment 0
		.amdhsa_system_sgpr_workgroup_id_x 1
		.amdhsa_system_sgpr_workgroup_id_y 0
		.amdhsa_system_sgpr_workgroup_id_z 1
		.amdhsa_system_sgpr_workgroup_info 0
		.amdhsa_system_vgpr_workitem_id 1
		.amdhsa_next_free_vgpr 66
		.amdhsa_next_free_sgpr 48
		.amdhsa_accum_offset 68
		.amdhsa_reserve_vcc 1
		.amdhsa_float_round_mode_32 0
		.amdhsa_float_round_mode_16_64 0
		.amdhsa_float_denorm_mode_32 3
		.amdhsa_float_denorm_mode_16_64 3
		.amdhsa_dx10_clamp 1
		.amdhsa_ieee_mode 1
		.amdhsa_fp16_overflow 0
		.amdhsa_tg_split 0
		.amdhsa_exception_fp_ieee_invalid_op 0
		.amdhsa_exception_fp_denorm_src 0
		.amdhsa_exception_fp_ieee_div_zero 0
		.amdhsa_exception_fp_ieee_overflow 0
		.amdhsa_exception_fp_ieee_underflow 0
		.amdhsa_exception_fp_ieee_inexact 0
		.amdhsa_exception_int_div_zero 0
	.end_amdhsa_kernel
	.section	.text._ZL26rocblas_hemvn_kernel_lowerILb0ELi64ELi4ELi33ELi32ELi16EifPKfPfEviT6_lT7_lT5_lS4_lS5_lS3_lT8_i,"axG",@progbits,_ZL26rocblas_hemvn_kernel_lowerILb0ELi64ELi4ELi33ELi32ELi16EifPKfPfEviT6_lT7_lT5_lS4_lS5_lS3_lT8_i,comdat
.Lfunc_end87:
	.size	_ZL26rocblas_hemvn_kernel_lowerILb0ELi64ELi4ELi33ELi32ELi16EifPKfPfEviT6_lT7_lT5_lS4_lS5_lS3_lT8_i, .Lfunc_end87-_ZL26rocblas_hemvn_kernel_lowerILb0ELi64ELi4ELi33ELi32ELi16EifPKfPfEviT6_lT7_lT5_lS4_lS5_lS3_lT8_i
                                        ; -- End function
	.section	.AMDGPU.csdata,"",@progbits
; Kernel info:
; codeLenInByte = 5448
; NumSgprs: 54
; NumVgprs: 66
; NumAgprs: 0
; TotalNumVgprs: 66
; ScratchSize: 0
; MemoryBound: 0
; FloatMode: 240
; IeeeMode: 1
; LDSByteSize: 4800 bytes/workgroup (compile time only)
; SGPRBlocks: 6
; VGPRBlocks: 8
; NumSGPRsForWavesPerEU: 54
; NumVGPRsForWavesPerEU: 66
; AccumOffset: 68
; Occupancy: 7
; WaveLimiterHint : 1
; COMPUTE_PGM_RSRC2:SCRATCH_EN: 0
; COMPUTE_PGM_RSRC2:USER_SGPR: 2
; COMPUTE_PGM_RSRC2:TRAP_HANDLER: 0
; COMPUTE_PGM_RSRC2:TGID_X_EN: 1
; COMPUTE_PGM_RSRC2:TGID_Y_EN: 0
; COMPUTE_PGM_RSRC2:TGID_Z_EN: 1
; COMPUTE_PGM_RSRC2:TIDIG_COMP_CNT: 1
; COMPUTE_PGM_RSRC3_GFX90A:ACCUM_OFFSET: 16
; COMPUTE_PGM_RSRC3_GFX90A:TG_SPLIT: 0
	.section	.text._ZL36rocblas_hemvn_kernel_lower_block_sumILi64EifPffEviT1_lS1_lT2_lT0_lPT3_i,"axG",@progbits,_ZL36rocblas_hemvn_kernel_lower_block_sumILi64EifPffEviT1_lS1_lT2_lT0_lPT3_i,comdat
	.globl	_ZL36rocblas_hemvn_kernel_lower_block_sumILi64EifPffEviT1_lS1_lT2_lT0_lPT3_i ; -- Begin function _ZL36rocblas_hemvn_kernel_lower_block_sumILi64EifPffEviT1_lS1_lT2_lT0_lPT3_i
	.p2align	8
	.type	_ZL36rocblas_hemvn_kernel_lower_block_sumILi64EifPffEviT1_lS1_lT2_lT0_lPT3_i,@function
_ZL36rocblas_hemvn_kernel_lower_block_sumILi64EifPffEviT1_lS1_lT2_lT0_lPT3_i: ; @_ZL36rocblas_hemvn_kernel_lower_block_sumILi64EifPffEviT1_lS1_lT2_lT0_lPT3_i
; %bb.0:
	s_load_dwordx2 s[8:9], s[0:1], 0x0
	s_load_dword s16, s[0:1], 0x10
	s_waitcnt lgkmcnt(0)
	v_cmp_eq_f32_e64 s[4:5], s9, 0
	v_cmp_eq_f32_e64 s[6:7], s16, 1.0
	s_and_b64 s[4:5], s[4:5], s[6:7]
	s_and_b64 vcc, exec, s[4:5]
	s_cbranch_vccnz .LBB88_19
; %bb.1:
	s_load_dwordx2 s[10:11], s[0:1], 0x38
	s_load_dwordx4 s[4:7], s[0:1], 0x20
	s_load_dword s17, s[0:1], 0x30
	v_lshl_or_b32 v2, s2, 6, v0
	s_waitcnt lgkmcnt(0)
	s_mul_i32 s11, s3, s11
	s_mul_hi_u32 s12, s3, s10
	s_mul_i32 s10, s3, s10
	s_add_i32 s11, s12, s11
	s_lshl_b64 s[10:11], s[10:11], 2
	s_add_u32 s10, s4, s10
	s_addc_u32 s11, s5, s11
	s_lshl_b64 s[4:5], s[6:7], 2
	s_add_u32 s6, s10, s4
	s_addc_u32 s7, s11, s5
	v_cmp_neq_f32_e64 s[4:5], s9, 0
	s_and_b64 vcc, exec, s[4:5]
	v_cmp_gt_i32_e64 s[4:5], s8, v2
	s_cbranch_vccnz .LBB88_6
; %bb.2:
	s_mov_b64 s[12:13], 0
	s_mov_b64 s[10:11], 0
                                        ; implicit-def: $vgpr3
                                        ; implicit-def: $vgpr0_vgpr1
	s_and_saveexec_b64 s[14:15], s[4:5]
	s_cbranch_execz .LBB88_7
; %bb.3:
	v_cmp_eq_f32_e64 s[4:5], s16, 0
	v_mul_lo_u32 v0, v2, s17
	v_mov_b32_e32 v3, 0
	v_ashrrev_i32_e32 v1, 31, v0
	s_and_b64 vcc, exec, s[4:5]
	s_cbranch_vccnz .LBB88_5
; %bb.4:
	v_lshl_add_u64 v[4:5], v[0:1], 2, s[6:7]
	global_load_dword v3, v[4:5], off
	s_waitcnt vmcnt(0)
	v_mul_f32_e32 v3, s16, v3
.LBB88_5:
	s_mov_b64 s[10:11], exec
	s_or_b64 exec, exec, s[14:15]
	s_and_b64 vcc, exec, s[12:13]
	s_cbranch_vccnz .LBB88_8
	s_branch .LBB88_17
.LBB88_6:
	s_mov_b64 s[10:11], 0
                                        ; implicit-def: $vgpr3
                                        ; implicit-def: $vgpr0_vgpr1
	s_cbranch_execnz .LBB88_8
	s_branch .LBB88_17
.LBB88_7:
	s_or_b64 exec, exec, s[14:15]
	s_and_b64 vcc, exec, s[12:13]
	s_cbranch_vccz .LBB88_17
.LBB88_8:
	v_cmp_gt_i32_e32 vcc, s8, v2
                                        ; implicit-def: $vgpr3
                                        ; implicit-def: $vgpr0_vgpr1
	s_and_saveexec_b64 s[4:5], vcc
	s_cbranch_execz .LBB88_16
; %bb.9:
	s_load_dword s12, s[0:1], 0x50
	v_mov_b32_e32 v4, 0
	s_waitcnt lgkmcnt(0)
	s_cmp_ge_i32 s2, s12
	s_cbranch_scc1 .LBB88_12
; %bb.10:
	s_ashr_i32 s15, s8, 31
	s_mul_i32 s13, s2, s8
	s_load_dwordx2 s[0:1], s[0:1], 0x40
	v_add_u32_e32 v0, s13, v2
	s_mul_hi_u32 s13, s8, s3
	s_mul_i32 s18, s15, s3
	s_add_i32 s13, s13, s18
	s_mul_i32 s3, s8, s3
	s_mov_b32 s14, s8
	s_mul_i32 s13, s13, s12
	s_mul_hi_u32 s8, s3, s12
	s_add_i32 s19, s8, s13
	s_mul_i32 s18, s3, s12
	s_lshl_b64 s[18:19], s[18:19], 2
	s_waitcnt lgkmcnt(0)
	s_add_u32 s0, s0, s18
	v_ashrrev_i32_e32 v1, 31, v0
	s_addc_u32 s1, s1, s19
	v_lshl_add_u64 v[0:1], v[0:1], 2, s[0:1]
	s_lshl_b64 s[0:1], s[14:15], 2
	v_mov_b32_e32 v4, 0
.LBB88_11:                              ; =>This Inner Loop Header: Depth=1
	global_load_dword v3, v[0:1], off
	s_add_i32 s2, s2, 1
	v_lshl_add_u64 v[0:1], v[0:1], 0, s[0:1]
	s_cmp_ge_i32 s2, s12
	s_waitcnt vmcnt(0)
	v_add_f32_e32 v4, v4, v3
	s_cbranch_scc0 .LBB88_11
.LBB88_12:
	v_cmp_eq_f32_e64 s[0:1], s16, 0
	v_mul_lo_u32 v0, v2, s17
	s_and_b64 vcc, exec, s[0:1]
	v_ashrrev_i32_e32 v1, 31, v0
	s_cbranch_vccz .LBB88_20
; %bb.13:
	v_mul_f32_e32 v3, s9, v4
	s_cbranch_execnz .LBB88_15
.LBB88_14:
	v_lshl_add_u64 v[2:3], v[0:1], 2, s[6:7]
	global_load_dword v2, v[2:3], off
	s_waitcnt vmcnt(0)
	v_mul_f32_e32 v3, s16, v2
	v_fmac_f32_e32 v3, s9, v4
.LBB88_15:
	s_or_b64 s[10:11], s[10:11], exec
.LBB88_16:
	s_or_b64 exec, exec, s[4:5]
.LBB88_17:
	s_and_saveexec_b64 s[0:1], s[10:11]
	s_cbranch_execz .LBB88_19
; %bb.18:
	v_lshl_add_u64 v[0:1], v[0:1], 2, s[6:7]
	global_store_dword v[0:1], v3, off
.LBB88_19:
	s_endpgm
.LBB88_20:
                                        ; implicit-def: $vgpr3
	s_branch .LBB88_14
	.section	.rodata,"a",@progbits
	.p2align	6, 0x0
	.amdhsa_kernel _ZL36rocblas_hemvn_kernel_lower_block_sumILi64EifPffEviT1_lS1_lT2_lT0_lPT3_i
		.amdhsa_group_segment_fixed_size 0
		.amdhsa_private_segment_fixed_size 0
		.amdhsa_kernarg_size 336
		.amdhsa_user_sgpr_count 2
		.amdhsa_user_sgpr_dispatch_ptr 0
		.amdhsa_user_sgpr_queue_ptr 0
		.amdhsa_user_sgpr_kernarg_segment_ptr 1
		.amdhsa_user_sgpr_dispatch_id 0
		.amdhsa_user_sgpr_kernarg_preload_length 0
		.amdhsa_user_sgpr_kernarg_preload_offset 0
		.amdhsa_user_sgpr_private_segment_size 0
		.amdhsa_uses_dynamic_stack 0
		.amdhsa_enable_private_segment 0
		.amdhsa_system_sgpr_workgroup_id_x 1
		.amdhsa_system_sgpr_workgroup_id_y 0
		.amdhsa_system_sgpr_workgroup_id_z 1
		.amdhsa_system_sgpr_workgroup_info 0
		.amdhsa_system_vgpr_workitem_id 0
		.amdhsa_next_free_vgpr 6
		.amdhsa_next_free_sgpr 20
		.amdhsa_accum_offset 8
		.amdhsa_reserve_vcc 1
		.amdhsa_float_round_mode_32 0
		.amdhsa_float_round_mode_16_64 0
		.amdhsa_float_denorm_mode_32 3
		.amdhsa_float_denorm_mode_16_64 3
		.amdhsa_dx10_clamp 1
		.amdhsa_ieee_mode 1
		.amdhsa_fp16_overflow 0
		.amdhsa_tg_split 0
		.amdhsa_exception_fp_ieee_invalid_op 0
		.amdhsa_exception_fp_denorm_src 0
		.amdhsa_exception_fp_ieee_div_zero 0
		.amdhsa_exception_fp_ieee_overflow 0
		.amdhsa_exception_fp_ieee_underflow 0
		.amdhsa_exception_fp_ieee_inexact 0
		.amdhsa_exception_int_div_zero 0
	.end_amdhsa_kernel
	.section	.text._ZL36rocblas_hemvn_kernel_lower_block_sumILi64EifPffEviT1_lS1_lT2_lT0_lPT3_i,"axG",@progbits,_ZL36rocblas_hemvn_kernel_lower_block_sumILi64EifPffEviT1_lS1_lT2_lT0_lPT3_i,comdat
.Lfunc_end88:
	.size	_ZL36rocblas_hemvn_kernel_lower_block_sumILi64EifPffEviT1_lS1_lT2_lT0_lPT3_i, .Lfunc_end88-_ZL36rocblas_hemvn_kernel_lower_block_sumILi64EifPffEviT1_lS1_lT2_lT0_lPT3_i
                                        ; -- End function
	.section	.AMDGPU.csdata,"",@progbits
; Kernel info:
; codeLenInByte = 532
; NumSgprs: 26
; NumVgprs: 6
; NumAgprs: 0
; TotalNumVgprs: 6
; ScratchSize: 0
; MemoryBound: 0
; FloatMode: 240
; IeeeMode: 1
; LDSByteSize: 0 bytes/workgroup (compile time only)
; SGPRBlocks: 3
; VGPRBlocks: 0
; NumSGPRsForWavesPerEU: 26
; NumVGPRsForWavesPerEU: 6
; AccumOffset: 8
; Occupancy: 8
; WaveLimiterHint : 0
; COMPUTE_PGM_RSRC2:SCRATCH_EN: 0
; COMPUTE_PGM_RSRC2:USER_SGPR: 2
; COMPUTE_PGM_RSRC2:TRAP_HANDLER: 0
; COMPUTE_PGM_RSRC2:TGID_X_EN: 1
; COMPUTE_PGM_RSRC2:TGID_Y_EN: 0
; COMPUTE_PGM_RSRC2:TGID_Z_EN: 1
; COMPUTE_PGM_RSRC2:TIDIG_COMP_CNT: 0
; COMPUTE_PGM_RSRC3_GFX90A:ACCUM_OFFSET: 1
; COMPUTE_PGM_RSRC3_GFX90A:TG_SPLIT: 0
	.section	.text._ZL50rocblas_symv_kernel_upper_double_buffered_diagonalILi32ELi4E24rocblas_internal_val_ptrIdEPKdPdEvbiT1_lT2_lllS6_lllS5_lT3_llli,"axG",@progbits,_ZL50rocblas_symv_kernel_upper_double_buffered_diagonalILi32ELi4E24rocblas_internal_val_ptrIdEPKdPdEvbiT1_lT2_lllS6_lllS5_lT3_llli,comdat
	.globl	_ZL50rocblas_symv_kernel_upper_double_buffered_diagonalILi32ELi4E24rocblas_internal_val_ptrIdEPKdPdEvbiT1_lT2_lllS6_lllS5_lT3_llli ; -- Begin function _ZL50rocblas_symv_kernel_upper_double_buffered_diagonalILi32ELi4E24rocblas_internal_val_ptrIdEPKdPdEvbiT1_lT2_lllS6_lllS5_lT3_llli
	.p2align	8
	.type	_ZL50rocblas_symv_kernel_upper_double_buffered_diagonalILi32ELi4E24rocblas_internal_val_ptrIdEPKdPdEvbiT1_lT2_lllS6_lllS5_lT3_llli,@function
_ZL50rocblas_symv_kernel_upper_double_buffered_diagonalILi32ELi4E24rocblas_internal_val_ptrIdEPKdPdEvbiT1_lT2_lllS6_lllS5_lT3_llli: ; @_ZL50rocblas_symv_kernel_upper_double_buffered_diagonalILi32ELi4E24rocblas_internal_val_ptrIdEPKdPdEvbiT1_lT2_lllS6_lllS5_lT3_llli
; %bb.0:
	s_load_dword s20, s[0:1], 0x0
	s_load_dwordx16 s[4:19], s[0:1], 0x8
	s_waitcnt lgkmcnt(0)
	s_bitcmp1_b32 s20, 0
	s_load_dwordx8 s[20:27], s[0:1], 0x48
	s_cselect_b64 s[30:31], -1, 0
	s_xor_b64 s[28:29], s[30:31], -1
	s_and_b64 vcc, exec, s[30:31]
	v_mov_b64_e32 v[2:3], s[4:5]
	s_cbranch_vccnz .LBB89_2
; %bb.1:
	s_mul_i32 s7, s3, s7
	s_mul_hi_u32 s30, s3, s6
	s_add_i32 s7, s30, s7
	s_mul_i32 s6, s3, s6
	s_lshl_b64 s[6:7], s[6:7], 3
	s_add_u32 s4, s4, s6
	s_addc_u32 s5, s5, s7
	v_mov_b64_e32 v[2:3], s[4:5]
	flat_load_dwordx2 v[2:3], v[2:3]
.LBB89_2:
	s_andn2_b64 vcc, exec, s[28:29]
	s_waitcnt lgkmcnt(0)
	v_mov_b64_e32 v[4:5], s[24:25]
	s_cbranch_vccnz .LBB89_4
; %bb.3:
	s_mul_i32 s4, s3, s27
	s_mul_hi_u32 s5, s3, s26
	s_add_i32 s5, s5, s4
	s_mul_i32 s4, s3, s26
	s_lshl_b64 s[4:5], s[4:5], 3
	s_add_u32 s4, s24, s4
	s_addc_u32 s5, s25, s5
	v_mov_b64_e32 v[4:5], s[4:5]
	flat_load_dwordx2 v[4:5], v[4:5]
.LBB89_4:
	s_waitcnt vmcnt(0)
	v_cmp_neq_f64_e32 vcc, 0, v[2:3]
	s_waitcnt lgkmcnt(0)
	v_cmp_neq_f64_e64 s[4:5], 1.0, v[4:5]
	s_or_b64 s[4:5], vcc, s[4:5]
	s_and_saveexec_b64 s[6:7], s[4:5]
	s_cbranch_execz .LBB89_34
; %bb.5:
	s_load_dwordx2 s[24:25], s[0:1], 0x80
	s_load_dwordx2 s[26:27], s[0:1], 0x68
	s_load_dwordx4 s[4:7], s[0:1], 0x70
	v_and_b32_e32 v16, 0x3ff, v0
	v_bfe_u32 v17, v0, 10, 10
	s_waitcnt lgkmcnt(0)
	s_mul_i32 s1, s3, s25
	s_mul_hi_u32 s25, s3, s24
	s_mul_i32 s0, s3, s24
	s_add_i32 s1, s25, s1
	s_lshl_b64 s[0:1], s[0:1], 3
	s_add_u32 s24, s26, s0
	s_addc_u32 s25, s27, s1
	s_lshl_b64 s[0:1], s[4:5], 3
	s_add_u32 s4, s24, s0
	s_addc_u32 s5, s25, s1
	s_lshl_b32 s2, s2, 5
	s_ashr_i32 s28, s2, 31
	s_mul_i32 s0, s2, s7
	s_mul_hi_u32 s1, s2, s6
	s_add_i32 s0, s1, s0
	s_mul_i32 s1, s28, s6
	s_add_i32 s1, s0, s1
	s_mul_i32 s0, s2, s6
	s_lshl_b64 s[0:1], s[0:1], 3
	s_add_u32 s4, s4, s0
	s_addc_u32 s5, s5, s1
	v_cmp_eq_f64_e32 vcc, 0, v[2:3]
	s_and_saveexec_b64 s[0:1], vcc
	s_xor_b64 s[0:1], exec, s[0:1]
	s_cbranch_execz .LBB89_9
; %bb.6:
	v_cmp_eq_u32_e32 vcc, 0, v17
	s_and_saveexec_b64 s[24:25], vcc
	s_cbranch_execz .LBB89_8
; %bb.7:
	v_mad_u64_u32 v[0:1], s[26:27], v16, s6, 0
	v_mov_b32_e32 v2, v1
	v_mad_u64_u32 v[2:3], s[26:27], v16, s7, v[2:3]
	v_mov_b32_e32 v1, v2
	v_lshl_add_u64 v[0:1], v[0:1], 3, s[4:5]
	global_load_dwordx2 v[2:3], v[0:1], off
	s_waitcnt vmcnt(0)
	v_mul_f64 v[2:3], v[4:5], v[2:3]
	global_store_dwordx2 v[0:1], v[2:3], off
.LBB89_8:
	s_or_b64 exec, exec, s[24:25]
                                        ; implicit-def: $vgpr17
                                        ; implicit-def: $vgpr2_vgpr3
                                        ; implicit-def: $vgpr4_vgpr5
                                        ; implicit-def: $vgpr16
.LBB89_9:
	s_andn2_saveexec_b64 s[0:1], s[0:1]
	s_cbranch_execz .LBB89_34
; %bb.10:
	v_cmp_eq_u32_e32 vcc, 0, v17
	v_mov_b64_e32 v[0:1], 0
	s_and_saveexec_b64 s[24:25], vcc
	s_cbranch_execz .LBB89_14
; %bb.11:
	v_cmp_neq_f64_e64 s[0:1], 0, v[4:5]
	v_mov_b64_e32 v[0:1], 0
	s_and_saveexec_b64 s[26:27], s[0:1]
	s_cbranch_execz .LBB89_13
; %bb.12:
	v_mad_u64_u32 v[0:1], s[0:1], v16, s6, 0
	v_mov_b32_e32 v6, v1
	v_mad_u64_u32 v[6:7], s[0:1], v16, s7, v[6:7]
	v_mov_b32_e32 v1, v6
	v_lshl_add_u64 v[0:1], v[0:1], 3, s[4:5]
	global_load_dwordx2 v[0:1], v[0:1], off
	s_waitcnt vmcnt(0)
	v_mul_f64 v[0:1], v[4:5], v[0:1]
.LBB89_13:
	s_or_b64 exec, exec, s[26:27]
	s_mul_i32 s0, s3, s23
	s_mul_hi_u32 s1, s3, s22
	s_add_i32 s1, s1, s0
	s_mul_i32 s0, s3, s22
	s_lshl_b64 s[0:1], s[0:1], 3
	s_add_u32 s16, s16, s0
	s_addc_u32 s17, s17, s1
	s_lshl_b64 s[0:1], s[18:19], 3
	s_add_u32 s16, s16, s0
	s_addc_u32 s17, s17, s1
	s_mul_i32 s0, s2, s21
	s_mul_hi_u32 s1, s2, s20
	s_add_i32 s0, s1, s0
	s_mul_i32 s1, s28, s20
	s_add_i32 s1, s0, s1
	s_mul_i32 s0, s2, s20
	s_lshl_b64 s[0:1], s[0:1], 3
	s_add_u32 s0, s16, s0
	s_addc_u32 s1, s17, s1
	v_mad_u64_u32 v[6:7], s[16:17], v16, s20, 0
	v_mov_b32_e32 v8, v7
	v_mad_u64_u32 v[8:9], s[16:17], v16, s21, v[8:9]
	v_mov_b32_e32 v7, v8
	v_lshl_add_u64 v[6:7], v[6:7], 3, s[0:1]
	global_load_dwordx2 v[6:7], v[6:7], off
	v_lshlrev_b32_e32 v8, 3, v16
	s_waitcnt vmcnt(0)
	ds_write_b64 v8, v[6:7] offset:10240
.LBB89_14:
	s_or_b64 exec, exec, s[24:25]
	s_mul_i32 s0, s3, s15
	s_mul_hi_u32 s1, s3, s14
	s_add_i32 s1, s1, s0
	s_mul_i32 s0, s3, s14
	s_lshl_b64 s[0:1], s[0:1], 3
	s_add_u32 s3, s8, s0
	s_addc_u32 s8, s9, s1
	s_lshl_b64 s[0:1], s[10:11], 3
	s_add_u32 s3, s3, s0
	s_addc_u32 s8, s8, s1
	s_add_u32 s0, s12, 1
	s_addc_u32 s1, s13, 0
	s_mul_i32 s9, s0, s28
	s_mul_hi_u32 s10, s0, s2
	s_add_i32 s9, s10, s9
	s_mul_i32 s1, s1, s2
	s_add_i32 s1, s9, s1
	s_mul_i32 s0, s0, s2
	s_lshl_b64 s[0:1], s[0:1], 3
	s_add_u32 s0, s3, s0
	v_mad_u64_u32 v[6:7], s[2:3], v17, s12, 0
	v_mov_b32_e32 v8, v7
	v_mad_u64_u32 v[8:9], s[2:3], v17, s13, v[8:9]
	s_addc_u32 s1, s8, s1
	v_mov_b32_e32 v7, v8
	v_lshl_add_u64 v[8:9], v[6:7], 3, s[0:1]
	v_lshlrev_b32_e32 v6, 3, v16
	v_mov_b32_e32 v7, 0
	v_cmp_lt_u32_e64 s[0:1], 15, v16
	s_mul_i32 s14, s13, 12
	s_mul_hi_u32 s15, s12, 12
	s_mul_i32 s2, s12, 12
                                        ; implicit-def: $sgpr8_sgpr9
                                        ; implicit-def: $sgpr10_sgpr11
	s_and_saveexec_b64 s[16:17], s[0:1]
	s_xor_b64 s[0:1], exec, s[16:17]
; %bb.15:
	s_lshl_b64 s[8:9], s[12:13], 2
	s_lshl_b64 s[10:11], s[12:13], 3
	s_add_i32 s3, s15, s14
; %bb.16:
	s_or_saveexec_b64 s[0:1], s[0:1]
	v_lshl_add_u64 v[8:9], v[8:9], 0, v[6:7]
	v_lshlrev_b32_e32 v7, 5, v17
	v_mov_b64_e32 v[10:11], s[2:3]
	v_mov_b64_e32 v[12:13], s[10:11]
	;; [unrolled: 1-line block ×3, first 2 shown]
	s_xor_b64 exec, exec, s[0:1]
	s_cbranch_execz .LBB89_18
; %bb.17:
	s_lshl_b64 s[8:9], s[12:13], 5
	v_lshl_add_u64 v[10:11], v[8:9], 0, s[8:9]
	global_load_dwordx2 v[14:15], v[8:9], off
	global_load_dwordx2 v[18:19], v[10:11], off
	v_lshl_add_u64 v[10:11], v[10:11], 0, s[8:9]
	global_load_dwordx2 v[20:21], v[10:11], off
	v_lshl_add_u64 v[10:11], v[10:11], 0, s[8:9]
	global_load_dwordx2 v[22:23], v[10:11], off
	v_or_b32_e32 v10, v7, v16
	s_lshl_b64 s[8:9], s[12:13], 2
	s_lshl_b64 s[10:11], s[12:13], 3
	s_add_i32 s3, s15, s14
	v_lshlrev_b32_e32 v24, 3, v10
	v_mov_b64_e32 v[10:11], s[2:3]
	v_mov_b64_e32 v[12:13], s[10:11]
	s_waitcnt vmcnt(2)
	ds_write2st64_b64 v24, v[14:15], v[18:19] offset1:2
	s_waitcnt vmcnt(0)
	ds_write2st64_b64 v24, v[20:21], v[22:23] offset0:4 offset1:6
	v_mov_b64_e32 v[14:15], s[8:9]
.LBB89_18:
	s_or_b64 exec, exec, s[0:1]
	s_lshl_b64 s[0:1], s[12:13], 7
	v_lshl_add_u64 v[8:9], v[8:9], 0, s[0:1]
	v_lshl_add_u64 v[14:15], v[14:15], 3, v[8:9]
	global_load_dwordx2 v[18:19], v[8:9], off
	v_lshl_add_u64 v[12:13], v[12:13], 3, v[8:9]
	v_lshl_add_u64 v[8:9], v[10:11], 3, v[8:9]
	global_load_dwordx2 v[10:11], v[14:15], off
	global_load_dwordx2 v[20:21], v[12:13], off
	;; [unrolled: 1-line block ×3, first 2 shown]
	v_sub_u32_e32 v12, v16, v17
	v_sub_u32_e32 v14, 0, v12
	v_add_lshl_u32 v9, v7, v16, 3
	v_lshlrev_b32_e32 v13, 5, v16
	v_max_i32_e32 v14, v12, v14
	v_add_u32_e32 v8, 0x1000, v9
	v_cmp_lt_u32_e64 s[0:1], 16, v14
	v_add_lshl_u32 v13, v17, v13, 3
	s_waitcnt vmcnt(2)
	ds_write2st64_b64 v9, v[18:19], v[10:11] offset0:8 offset1:10
	s_waitcnt vmcnt(0)
	ds_write2st64_b64 v9, v[20:21], v[22:23] offset0:12 offset1:14
	s_waitcnt lgkmcnt(0)
	s_barrier
	s_and_saveexec_b64 s[2:3], s[0:1]
	s_cbranch_execz .LBB89_20
; %bb.19:
	ds_read_b64 v[10:11], v13 offset:128
	s_waitcnt lgkmcnt(0)
	ds_write_b64 v8, v[10:11]
.LBB89_20:
	s_or_b64 exec, exec, s[2:3]
	v_add_u32_e32 v10, 0x1400, v9
	v_cmp_lt_u32_e64 s[0:1], 20, v14
	s_and_saveexec_b64 s[2:3], s[0:1]
	s_cbranch_execz .LBB89_22
; %bb.21:
	ds_read_b64 v[18:19], v13 offset:160
	s_waitcnt lgkmcnt(0)
	ds_write_b64 v10, v[18:19]
.LBB89_22:
	s_or_b64 exec, exec, s[2:3]
	v_add_u32_e32 v11, 0x1800, v9
	v_cmp_lt_u32_e64 s[0:1], 24, v14
	;; [unrolled: 10-line block ×3, first 2 shown]
	s_and_saveexec_b64 s[2:3], s[0:1]
	s_cbranch_execz .LBB89_26
; %bb.25:
	ds_read_b64 v[18:19], v13 offset:224
	s_waitcnt lgkmcnt(0)
	ds_write_b64 v12, v[18:19]
.LBB89_26:
	s_or_b64 exec, exec, s[2:3]
	v_add_u32_e32 v15, v7, v16
	v_cmp_ge_u32_e64 s[0:1], v16, v17
	v_lshlrev_b32_e32 v15, 3, v15
	s_and_saveexec_b64 s[2:3], s[0:1]
	s_cbranch_execnz .LBB89_35
; %bb.27:
	s_or_b64 exec, exec, s[2:3]
	v_cmp_lt_u32_e64 s[0:1], 4, v14
	s_and_saveexec_b64 s[2:3], s[0:1]
	s_cbranch_execnz .LBB89_36
.LBB89_28:
	s_or_b64 exec, exec, s[2:3]
	v_cmp_lt_u32_e64 s[0:1], 8, v14
	s_and_saveexec_b64 s[2:3], s[0:1]
	s_cbranch_execz .LBB89_30
.LBB89_29:
	ds_read_b64 v[18:19], v13 offset:64
	s_waitcnt lgkmcnt(0)
	ds_write_b64 v9, v[18:19] offset:2048
.LBB89_30:
	s_or_b64 exec, exec, s[2:3]
	s_movk_i32 s2, 0x180
	v_add3_u32 v7, v7, v16, s2
	v_cmp_lt_u32_e64 s[0:1], 12, v14
	v_lshlrev_b32_e32 v7, 3, v7
	s_and_saveexec_b64 s[2:3], s[0:1]
	s_cbranch_execz .LBB89_32
; %bb.31:
	ds_read_b64 v[18:19], v13 offset:96
	s_waitcnt lgkmcnt(0)
	ds_write_b64 v7, v[18:19]
.LBB89_32:
	s_or_b64 exec, exec, s[2:3]
	v_lshlrev_b32_e32 v13, 3, v17
	v_add_u32_e32 v13, 0x2800, v13
	s_waitcnt lgkmcnt(0)
	s_barrier
	ds_read2_b64 v[18:21], v13 offset1:4
	ds_read_b64 v[30:31], v15
	ds_read2st64_b64 v[22:25], v9 offset0:2 offset1:4
	ds_read2_b64 v[26:29], v13 offset0:8 offset1:12
	ds_read_b64 v[32:33], v7
	s_waitcnt lgkmcnt(3)
	v_fma_f64 v[30:31], v[30:31], v[18:19], 0
	s_waitcnt lgkmcnt(2)
	v_fmac_f64_e32 v[30:31], v[22:23], v[20:21]
	s_waitcnt lgkmcnt(1)
	v_fmac_f64_e32 v[30:31], v[24:25], v[26:27]
	ds_read2_b64 v[18:21], v13 offset0:16 offset1:20
	ds_read2_b64 v[22:25], v13 offset0:24 offset1:28
	ds_read_b64 v[8:9], v8
	ds_read_b64 v[26:27], v10
	;; [unrolled: 1-line block ×4, first 2 shown]
	s_waitcnt lgkmcnt(6)
	v_fmac_f64_e32 v[30:31], v[32:33], v[28:29]
	s_waitcnt lgkmcnt(3)
	v_fmac_f64_e32 v[30:31], v[8:9], v[18:19]
	;; [unrolled: 2-line block ×5, first 2 shown]
	ds_write_b64 v15, v[30:31] offset:8192
	s_waitcnt lgkmcnt(0)
	s_barrier
	s_and_saveexec_b64 s[0:1], vcc
	s_cbranch_execz .LBB89_34
; %bb.33:
	v_add_u32_e32 v10, 0x2000, v6
	ds_read2_b64 v[6:9], v10 offset1:32
	ds_read2_b64 v[10:13], v10 offset0:64 offset1:96
	v_cmp_neq_f64_e32 vcc, 0, v[4:5]
	s_waitcnt lgkmcnt(1)
	v_add_f64 v[6:7], v[6:7], 0
	v_add_f64 v[6:7], v[6:7], v[8:9]
	s_waitcnt lgkmcnt(0)
	v_add_f64 v[6:7], v[6:7], v[10:11]
	v_add_f64 v[6:7], v[6:7], v[12:13]
	v_mul_f64 v[8:9], v[2:3], v[6:7]
	v_fmac_f64_e32 v[0:1], v[2:3], v[6:7]
	v_mad_u64_u32 v[2:3], s[0:1], v16, s6, 0
	v_mov_b32_e32 v4, v3
	v_mad_u64_u32 v[4:5], s[0:1], v16, s7, v[4:5]
	v_mov_b32_e32 v3, v4
	v_cndmask_b32_e32 v1, v9, v1, vcc
	v_cndmask_b32_e32 v0, v8, v0, vcc
	v_lshl_add_u64 v[2:3], v[2:3], 3, s[4:5]
	global_store_dwordx2 v[2:3], v[0:1], off
.LBB89_34:
	s_endpgm
.LBB89_35:
	ds_read_b64 v[18:19], v13
	s_waitcnt lgkmcnt(0)
	ds_write_b64 v15, v[18:19]
	s_or_b64 exec, exec, s[2:3]
	v_cmp_lt_u32_e64 s[0:1], 4, v14
	s_and_saveexec_b64 s[2:3], s[0:1]
	s_cbranch_execz .LBB89_28
.LBB89_36:
	ds_read_b64 v[18:19], v13 offset:32
	s_waitcnt lgkmcnt(0)
	ds_write_b64 v9, v[18:19] offset:1024
	s_or_b64 exec, exec, s[2:3]
	v_cmp_lt_u32_e64 s[0:1], 8, v14
	s_and_saveexec_b64 s[2:3], s[0:1]
	s_cbranch_execnz .LBB89_29
	s_branch .LBB89_30
	.section	.rodata,"a",@progbits
	.p2align	6, 0x0
	.amdhsa_kernel _ZL50rocblas_symv_kernel_upper_double_buffered_diagonalILi32ELi4E24rocblas_internal_val_ptrIdEPKdPdEvbiT1_lT2_lllS6_lllS5_lT3_llli
		.amdhsa_group_segment_fixed_size 10496
		.amdhsa_private_segment_fixed_size 0
		.amdhsa_kernarg_size 140
		.amdhsa_user_sgpr_count 2
		.amdhsa_user_sgpr_dispatch_ptr 0
		.amdhsa_user_sgpr_queue_ptr 0
		.amdhsa_user_sgpr_kernarg_segment_ptr 1
		.amdhsa_user_sgpr_dispatch_id 0
		.amdhsa_user_sgpr_kernarg_preload_length 0
		.amdhsa_user_sgpr_kernarg_preload_offset 0
		.amdhsa_user_sgpr_private_segment_size 0
		.amdhsa_uses_dynamic_stack 0
		.amdhsa_enable_private_segment 0
		.amdhsa_system_sgpr_workgroup_id_x 1
		.amdhsa_system_sgpr_workgroup_id_y 0
		.amdhsa_system_sgpr_workgroup_id_z 1
		.amdhsa_system_sgpr_workgroup_info 0
		.amdhsa_system_vgpr_workitem_id 1
		.amdhsa_next_free_vgpr 34
		.amdhsa_next_free_sgpr 32
		.amdhsa_accum_offset 36
		.amdhsa_reserve_vcc 1
		.amdhsa_float_round_mode_32 0
		.amdhsa_float_round_mode_16_64 0
		.amdhsa_float_denorm_mode_32 3
		.amdhsa_float_denorm_mode_16_64 3
		.amdhsa_dx10_clamp 1
		.amdhsa_ieee_mode 1
		.amdhsa_fp16_overflow 0
		.amdhsa_tg_split 0
		.amdhsa_exception_fp_ieee_invalid_op 0
		.amdhsa_exception_fp_denorm_src 0
		.amdhsa_exception_fp_ieee_div_zero 0
		.amdhsa_exception_fp_ieee_overflow 0
		.amdhsa_exception_fp_ieee_underflow 0
		.amdhsa_exception_fp_ieee_inexact 0
		.amdhsa_exception_int_div_zero 0
	.end_amdhsa_kernel
	.section	.text._ZL50rocblas_symv_kernel_upper_double_buffered_diagonalILi32ELi4E24rocblas_internal_val_ptrIdEPKdPdEvbiT1_lT2_lllS6_lllS5_lT3_llli,"axG",@progbits,_ZL50rocblas_symv_kernel_upper_double_buffered_diagonalILi32ELi4E24rocblas_internal_val_ptrIdEPKdPdEvbiT1_lT2_lllS6_lllS5_lT3_llli,comdat
.Lfunc_end89:
	.size	_ZL50rocblas_symv_kernel_upper_double_buffered_diagonalILi32ELi4E24rocblas_internal_val_ptrIdEPKdPdEvbiT1_lT2_lllS6_lllS5_lT3_llli, .Lfunc_end89-_ZL50rocblas_symv_kernel_upper_double_buffered_diagonalILi32ELi4E24rocblas_internal_val_ptrIdEPKdPdEvbiT1_lT2_lllS6_lllS5_lT3_llli
                                        ; -- End function
	.section	.AMDGPU.csdata,"",@progbits
; Kernel info:
; codeLenInByte = 1840
; NumSgprs: 38
; NumVgprs: 34
; NumAgprs: 0
; TotalNumVgprs: 34
; ScratchSize: 0
; MemoryBound: 0
; FloatMode: 240
; IeeeMode: 1
; LDSByteSize: 10496 bytes/workgroup (compile time only)
; SGPRBlocks: 4
; VGPRBlocks: 4
; NumSGPRsForWavesPerEU: 38
; NumVGPRsForWavesPerEU: 34
; AccumOffset: 36
; Occupancy: 3
; WaveLimiterHint : 0
; COMPUTE_PGM_RSRC2:SCRATCH_EN: 0
; COMPUTE_PGM_RSRC2:USER_SGPR: 2
; COMPUTE_PGM_RSRC2:TRAP_HANDLER: 0
; COMPUTE_PGM_RSRC2:TGID_X_EN: 1
; COMPUTE_PGM_RSRC2:TGID_Y_EN: 0
; COMPUTE_PGM_RSRC2:TGID_Z_EN: 1
; COMPUTE_PGM_RSRC2:TIDIG_COMP_CNT: 1
; COMPUTE_PGM_RSRC3_GFX90A:ACCUM_OFFSET: 8
; COMPUTE_PGM_RSRC3_GFX90A:TG_SPLIT: 0
	.section	.text._ZL54rocblas_symv_kernel_upper_double_buffered_non_diagonalILi32ELi4ELi4E24rocblas_internal_val_ptrIdEPKdPdEvbiT2_lT3_lllS6_lllT4_llli,"axG",@progbits,_ZL54rocblas_symv_kernel_upper_double_buffered_non_diagonalILi32ELi4ELi4E24rocblas_internal_val_ptrIdEPKdPdEvbiT2_lT3_lllS6_lllT4_llli,comdat
	.globl	_ZL54rocblas_symv_kernel_upper_double_buffered_non_diagonalILi32ELi4ELi4E24rocblas_internal_val_ptrIdEPKdPdEvbiT2_lT3_lllS6_lllT4_llli ; -- Begin function _ZL54rocblas_symv_kernel_upper_double_buffered_non_diagonalILi32ELi4ELi4E24rocblas_internal_val_ptrIdEPKdPdEvbiT2_lT3_lllS6_lllT4_llli
	.p2align	8
	.type	_ZL54rocblas_symv_kernel_upper_double_buffered_non_diagonalILi32ELi4ELi4E24rocblas_internal_val_ptrIdEPKdPdEvbiT2_lT3_lllS6_lllT4_llli,@function
_ZL54rocblas_symv_kernel_upper_double_buffered_non_diagonalILi32ELi4ELi4E24rocblas_internal_val_ptrIdEPKdPdEvbiT2_lT3_lllS6_lllT4_llli: ; @_ZL54rocblas_symv_kernel_upper_double_buffered_non_diagonalILi32ELi4ELi4E24rocblas_internal_val_ptrIdEPKdPdEvbiT2_lT3_lllS6_lllT4_llli
; %bb.0:
	s_load_dword s5, s[0:1], 0x0
	s_load_dwordx16 s[8:23], s[0:1], 0x8
	s_waitcnt lgkmcnt(0)
	s_bitcmp1_b32 s5, 0
	s_cselect_b64 s[6:7], -1, 0
	s_and_b64 vcc, exec, s[6:7]
	v_mov_b64_e32 v[8:9], s[8:9]
	s_cbranch_vccnz .LBB90_2
; %bb.1:
	s_mul_i32 s5, s4, s11
	s_mul_hi_u32 s6, s4, s10
	s_add_i32 s7, s6, s5
	s_mul_i32 s6, s4, s10
	s_lshl_b64 s[6:7], s[6:7], 3
	s_add_u32 s6, s8, s6
	s_addc_u32 s7, s9, s7
	v_mov_b64_e32 v[2:3], s[6:7]
	flat_load_dwordx2 v[8:9], v[2:3]
.LBB90_2:
	s_waitcnt vmcnt(0) lgkmcnt(0)
	v_cmp_neq_f64_e32 vcc, 0, v[8:9]
	s_and_saveexec_b64 s[6:7], vcc
	s_cbranch_execz .LBB90_19
; %bb.3:
	s_load_dword s5, s[0:1], 0x84
	s_cmp_eq_u32 s2, 0
	s_waitcnt lgkmcnt(0)
	v_cvt_f32_u32_e32 v1, s5
	v_rcp_iflag_f32_e32 v1, v1
	s_nop 0
	v_mul_f32_e32 v1, 0x4f7ffffe, v1
	v_cvt_u32_f32_e32 v1, v1
	s_nop 0
	v_readfirstlane_b32 s6, v1
	s_cbranch_scc1 .LBB90_19
; %bb.4:
	s_load_dwordx4 s[24:27], s[0:1], 0x48
	s_sub_i32 s7, 0, s5
	s_mul_i32 s7, s7, s6
	s_mul_hi_u32 s7, s6, s7
	s_add_i32 s6, s6, s7
	s_mul_hi_u32 s10, s2, s6
	s_waitcnt lgkmcnt(0)
	s_mul_i32 s6, s4, s27
	s_mul_hi_u32 s7, s4, s26
	s_add_i32 s7, s7, s6
	s_mul_i32 s6, s4, s26
	s_lshl_b64 s[6:7], s[6:7], 3
	s_add_u32 s8, s20, s6
	s_addc_u32 s9, s21, s7
	s_lshl_b64 s[6:7], s[22:23], 3
	s_add_u32 s20, s8, s6
	s_addc_u32 s21, s9, s7
	v_and_b32_e32 v76, 0x3ff, v0
	v_bfe_u32 v0, v0, 10, 10
	s_lshl_b32 s6, s2, 5
	s_ashr_i32 s7, s6, 31
	v_cmp_eq_u32_e32 vcc, 0, v0
	s_and_saveexec_b64 s[8:9], vcc
	s_cbranch_execz .LBB90_6
; %bb.5:
	s_mul_i32 s11, s6, s25
	s_mul_hi_u32 s22, s6, s24
	s_add_i32 s11, s22, s11
	s_mul_i32 s22, s7, s24
	s_add_i32 s23, s11, s22
	s_mul_i32 s22, s6, s24
	v_mad_u64_u32 v[2:3], s[26:27], v76, s24, 0
	s_lshl_b64 s[22:23], s[22:23], 3
	v_mov_b32_e32 v4, v3
	s_add_u32 s22, s20, s22
	v_mad_u64_u32 v[4:5], s[26:27], v76, s25, v[4:5]
	s_addc_u32 s23, s21, s23
	v_mov_b32_e32 v3, v4
	v_lshl_add_u64 v[2:3], v[2:3], 3, s[22:23]
	global_load_dwordx2 v[2:3], v[2:3], off
	v_lshlrev_b32_e32 v1, 3, v76
	s_waitcnt vmcnt(0)
	ds_write_b64 v1, v[2:3] offset:6144
.LBB90_6:
	s_or_b64 exec, exec, s[8:9]
	s_mul_i32 s8, s10, s5
	s_sub_i32 s8, s2, s8
	s_add_i32 s9, s10, 1
	s_sub_i32 s11, s8, s5
	s_cmp_ge_u32 s8, s5
	s_cselect_b32 s9, s9, s10
	s_cselect_b32 s8, s11, s8
	s_add_i32 s10, s9, 1
	s_cmp_ge_u32 s8, s5
	s_cselect_b32 s27, s10, s9
	s_add_i32 s8, s5, -1
	s_cmp_lg_u32 s3, s8
	s_mov_b32 s26, s27
	s_cbranch_scc1 .LBB90_8
; %bb.7:
	s_mul_i32 s5, s27, s5
	s_sub_i32 s2, s2, s5
	s_add_i32 s26, s2, s27
.LBB90_8:
	s_cmp_eq_u32 s26, 0
	s_cbranch_scc1 .LBB90_19
; %bb.9:
	s_load_dwordx2 s[22:23], s[0:1], 0x70
	s_load_dwordx2 s[28:29], s[0:1], 0x58
	s_load_dwordx4 s[8:11], s[0:1], 0x60
	v_lshl_add_u32 v0, v0, 5, v76
	v_and_b32_e32 v10, 15, v76
	s_waitcnt lgkmcnt(0)
	s_mul_i32 s1, s4, s23
	s_mul_hi_u32 s2, s4, s22
	s_mul_i32 s0, s4, s22
	s_add_i32 s1, s2, s1
	s_lshl_b64 s[0:1], s[0:1], 3
	s_add_u32 s2, s28, s0
	s_addc_u32 s5, s29, s1
	s_lshl_b64 s[0:1], s[8:9], 3
	s_add_u32 s22, s2, s0
	s_addc_u32 s23, s5, s1
	v_mov_b64_e32 v[38:39], 0
	v_lshrrev_b32_e32 v77, 4, v0
	s_cmp_lt_i32 s26, 1
	v_lshlrev_b32_e32 v12, 3, v10
	v_mov_b64_e32 v[40:41], v[38:39]
	v_mov_b64_e32 v[42:43], v[38:39]
	;; [unrolled: 1-line block ×3, first 2 shown]
	s_barrier
	s_cbranch_scc1 .LBB90_17
; %bb.10:
	v_lshlrev_b32_e32 v1, 2, v77
	v_mov_b32_e32 v11, 0
	v_mad_u64_u32 v[2:3], s[0:1], v1, s16, v[10:11]
	v_mov_b32_e32 v4, v3
	v_mad_u64_u32 v[4:5], s[0:1], v1, s17, v[4:5]
	v_mov_b32_e32 v3, v4
	v_mad_u64_u32 v[4:5], s[0:1], v10, s24, 0
	v_mov_b32_e32 v6, v5
	v_mad_u64_u32 v[6:7], s[0:1], v10, s25, v[6:7]
	s_mul_i32 s3, s3, s27
	s_lshl_b32 s0, s3, 5
	s_ashr_i32 s1, s0, 31
	s_mul_i32 s2, s0, s11
	s_mul_hi_u32 s3, s0, s10
	s_add_i32 s2, s3, s2
	s_mul_i32 s3, s1, s10
	s_add_i32 s3, s2, s3
	s_mul_i32 s2, s0, s10
	s_lshl_b64 s[2:3], s[2:3], 3
	s_add_u32 s8, s22, s2
	s_addc_u32 s9, s23, s3
	s_mul_i32 s2, s4, s19
	s_mul_hi_u32 s3, s4, s18
	s_add_i32 s3, s3, s2
	s_mul_i32 s2, s4, s18
	s_lshl_b64 s[4:5], s[2:3], 3
	s_add_u32 s2, s12, s4
	s_addc_u32 s3, s13, s5
	s_lshl_b64 s[14:15], s[14:15], 3
	s_add_u32 s18, s2, s14
	s_addc_u32 s19, s3, s15
	s_mul_i32 s2, s6, s17
	s_mul_hi_u32 s3, s6, s16
	s_add_i32 s2, s3, s2
	s_mul_i32 s3, s7, s16
	s_add_i32 s3, s2, s3
	s_mul_i32 s2, s6, s16
	s_lshl_b64 s[2:3], s[2:3], 3
	s_add_u32 s2, s18, s2
	s_addc_u32 s3, s19, s3
	s_lshl_b64 s[18:19], s[0:1], 3
	s_add_u32 s2, s2, s18
	s_mul_i32 s27, s0, s25
	s_mul_hi_u32 s28, s0, s24
	s_addc_u32 s3, s3, s19
	s_add_i32 s27, s28, s27
	s_mul_i32 s1, s1, s24
	s_add_i32 s1, s27, s1
	s_mul_i32 s0, s0, s24
	s_lshl_b64 s[0:1], s[0:1], 3
	s_add_u32 s0, s20, s0
	v_mov_b32_e32 v5, v6
	s_addc_u32 s1, s21, s1
	v_lshl_add_u64 v[2:3], v[2:3], 3, s[2:3]
	s_lshl_b64 s[2:3], s[16:17], 3
	v_lshl_add_u64 v[6:7], v[2:3], 0, s[2:3]
	global_load_dwordx2 v[18:19], v[2:3], off
	global_load_dwordx2 v[20:21], v[6:7], off
	v_lshl_add_u64 v[2:3], v[4:5], 3, s[0:1]
	global_load_dwordx2 v[16:17], v[2:3], off
	v_lshl_add_u64 v[2:3], v[6:7], 0, s[2:3]
	;; [unrolled: 2-line block ×3, first 2 shown]
	global_load_dwordx2 v[26:27], v[2:3], off
	v_lshlrev_b32_e32 v1, 5, v77
	v_or_b32_e32 v2, v1, v10
	v_mov_b32_e32 v4, 0x1000
	v_mad_u64_u32 v[14:15], s[2:3], v76, s10, 0
	v_lshl_add_u32 v78, v2, 3, v4
	v_mov_b32_e32 v2, v15
	v_mad_u64_u32 v[2:3], s[2:3], v76, s11, v[2:3]
	s_lshl_b64 s[0:1], s[24:25], 8
	s_lshl_b64 s[2:3], s[10:11], 8
	s_add_u32 s12, s12, s18
	s_addc_u32 s13, s13, s19
	s_add_u32 s12, s12, s14
	v_lshlrev_b32_e32 v0, 1, v0
	s_addc_u32 s13, s13, s15
	v_add_u32_e32 v79, 0x1800, v1
	v_and_b32_e32 v0, 0x1ffe0, v0
	v_mov_b32_e32 v1, v11
	s_add_u32 s4, s12, s4
	v_lshl_add_u64 v[0:1], s[6:7], 3, v[0:1]
	s_addc_u32 s5, s13, s5
	v_mov_b32_e32 v15, v2
	v_lshl_add_u32 v80, v76, 3, v4
	v_lshl_add_u64 v[2:3], v[0:1], 0, 8
	v_mov_b64_e32 v[4:5], s[4:5]
	v_mad_u64_u32 v[22:23], s[4:5], s16, v2, v[4:5]
	v_mul_lo_u32 v3, s16, v3
	v_mul_lo_u32 v2, s17, v2
	v_add3_u32 v23, v2, v23, v3
	v_lshl_add_u64 v[2:3], v[0:1], 0, 16
	v_mad_u64_u32 v[28:29], s[4:5], s16, v2, v[4:5]
	v_mul_lo_u32 v3, s16, v3
	v_mul_lo_u32 v2, s17, v2
	v_add3_u32 v29, v2, v29, v3
	v_lshl_add_u64 v[2:3], v[0:1], 0, 24
	v_mad_u64_u32 v[32:33], s[4:5], s16, v0, v[4:5]
	v_mul_lo_u32 v1, s16, v1
	v_mul_lo_u32 v0, s17, v0
	v_mad_u64_u32 v[30:31], s[4:5], s16, v2, v[4:5]
	v_mul_lo_u32 v3, s16, v3
	v_mul_lo_u32 v2, s17, v2
	v_add3_u32 v33, v0, v33, v1
	v_or_b32_e32 v0, s18, v12
	v_add3_u32 v31, v2, v31, v3
	v_or_b32_e32 v2, 0x80, v0
	v_mad_u64_u32 v[36:37], s[4:5], s24, v2, 0
	v_mov_b32_e32 v1, s19
	s_mov_b64 s[4:5], 0x100
	s_mul_i32 s12, s24, s19
	v_mul_lo_u32 v3, s25, v2
	v_lshl_add_u64 v[0:1], v[0:1], 0, s[4:5]
	v_add3_u32 v37, v37, s12, v3
	v_mul_lo_u32 v2, s25, v0
	v_mul_lo_u32 v1, s24, v1
	v_mad_u64_u32 v[44:45], s[12:13], s24, v0, 0
	v_mov_b64_e32 v[34:35], 0
	v_mov_b32_e32 v13, v11
	v_add3_u32 v45, v45, v1, v2
	v_mov_b64_e32 v[46:47], s[8:9]
	v_mov_b64_e32 v[42:43], v[34:35]
	;; [unrolled: 1-line block ×4, first 2 shown]
	s_waitcnt vmcnt(4)
	v_mov_b64_e32 v[48:49], v[18:19]
	s_waitcnt vmcnt(3)
	v_mov_b64_e32 v[50:51], v[20:21]
	;; [unrolled: 2-line block ×5, first 2 shown]
.LBB90_11:                              ; =>This Inner Loop Header: Depth=1
	v_lshl_add_u64 v[0:1], s[20:21], 0, v[36:37]
	v_lshl_add_u64 v[68:69], v[32:33], 0, v[12:13]
	;; [unrolled: 1-line block ×5, first 2 shown]
	global_load_dwordx2 v[58:59], v[0:1], off
	global_load_dwordx2 v[60:61], v[68:69], off offset:128
	global_load_dwordx2 v[62:63], v[70:71], off offset:128
	;; [unrolled: 1-line block ×4, first 2 shown]
	ds_read_b128 v[4:7], v79
	ds_read_b128 v[0:3], v79 offset:16
	s_cmp_eq_u32 s26, 1
	s_cbranch_scc1 .LBB90_13
; %bb.12:                               ;   in Loop: Header=BB90_11 Depth=1
	global_load_dwordx2 v[48:49], v[68:69], off offset:256
	global_load_dwordx2 v[50:51], v[70:71], off offset:256
	;; [unrolled: 1-line block ×4, first 2 shown]
	v_lshl_add_u64 v[56:57], s[20:21], 0, v[44:45]
	global_load_dwordx2 v[56:57], v[56:57], off
.LBB90_13:                              ;   in Loop: Header=BB90_11 Depth=1
	s_waitcnt lgkmcnt(1)
	v_fma_f64 v[68:69], v[18:19], v[4:5], 0
	s_waitcnt vmcnt(3)
	v_fma_f64 v[4:5], v[60:61], v[4:5], 0
	v_fmac_f64_e32 v[68:69], v[20:21], v[6:7]
	s_waitcnt vmcnt(2)
	v_fmac_f64_e32 v[4:5], v[62:63], v[6:7]
	s_waitcnt lgkmcnt(0)
	v_fmac_f64_e32 v[68:69], v[24:25], v[0:1]
	s_waitcnt vmcnt(1)
	v_fmac_f64_e32 v[4:5], v[64:65], v[0:1]
	v_fmac_f64_e32 v[68:69], v[26:27], v[2:3]
	s_waitcnt vmcnt(0)
	v_fmac_f64_e32 v[4:5], v[66:67], v[2:3]
	s_barrier
	ds_write2_b64 v78, v[68:69], v[4:5] offset1:16
	s_waitcnt lgkmcnt(0)
	s_barrier
	s_and_saveexec_b64 s[8:9], vcc
	s_cbranch_execz .LBB90_15
; %bb.14:                               ;   in Loop: Header=BB90_11 Depth=1
	ds_read2_b64 v[0:3], v80 offset1:32
	ds_read2_b64 v[4:7], v80 offset0:64 offset1:96
	ds_read2_b64 v[68:71], v80 offset0:128 offset1:160
	;; [unrolled: 1-line block ×3, first 2 shown]
	s_waitcnt lgkmcnt(3)
	v_add_f64 v[0:1], v[0:1], 0
	v_add_f64 v[0:1], v[0:1], v[2:3]
	s_waitcnt lgkmcnt(2)
	v_add_f64 v[0:1], v[0:1], v[4:5]
	v_add_f64 v[0:1], v[0:1], v[6:7]
	;; [unrolled: 3-line block ×4, first 2 shown]
	v_lshl_add_u64 v[2:3], v[14:15], 3, v[46:47]
	v_mul_f64 v[0:1], v[8:9], v[0:1]
	global_atomic_add_f64 v[2:3], v[0:1], off
	v_lshl_add_u64 v[46:47], v[46:47], 0, s[2:3]
.LBB90_15:                              ;   in Loop: Header=BB90_11 Depth=1
	s_or_b64 exec, exec, s[8:9]
	s_add_i32 s26, s26, -1
	s_add_u32 s20, s20, s0
	v_fmac_f64_e32 v[34:35], v[16:17], v[18:19]
	v_fmac_f64_e32 v[42:43], v[16:17], v[20:21]
	;; [unrolled: 1-line block ×4, first 2 shown]
	s_addc_u32 s21, s21, s1
	v_fmac_f64_e32 v[34:35], v[58:59], v[60:61]
	v_fmac_f64_e32 v[42:43], v[58:59], v[62:63]
	;; [unrolled: 1-line block ×4, first 2 shown]
	v_lshl_add_u64 v[22:23], v[22:23], 0, s[4:5]
	v_lshl_add_u64 v[28:29], v[28:29], 0, s[4:5]
	;; [unrolled: 1-line block ×3, first 2 shown]
	s_cmp_eq_u32 s26, 0
	v_lshl_add_u64 v[32:33], v[32:33], 0, s[4:5]
	s_cbranch_scc1 .LBB90_17
; %bb.16:                               ;   in Loop: Header=BB90_11 Depth=1
	v_mov_b64_e32 v[16:17], v[56:57]
	v_mov_b64_e32 v[18:19], v[48:49]
	;; [unrolled: 1-line block ×5, first 2 shown]
	s_branch .LBB90_11
.LBB90_17:
	v_lshl_or_b32 v0, v77, 9, v12
	ds_write2_b64 v0, v[34:35], v[42:43] offset1:16
	ds_write2_b64 v0, v[40:41], v[38:39] offset0:32 offset1:48
	s_waitcnt lgkmcnt(0)
	s_barrier
	s_and_b64 exec, exec, vcc
	s_cbranch_execz .LBB90_19
; %bb.18:
	v_lshlrev_b32_e32 v14, 4, v76
	v_add_u32_e32 v1, 1, v76
	v_and_or_b32 v1, v1, 15, v14
	v_lshlrev_b32_e32 v2, 3, v1
	v_add_u32_e32 v1, 2, v76
	v_or_b32_e32 v15, v10, v14
	v_and_or_b32 v1, v1, 15, v14
	v_lshlrev_b32_e32 v0, 3, v15
	v_lshlrev_b32_e32 v4, 3, v1
	v_add_u32_e32 v1, 3, v76
	v_and_or_b32 v6, v1, 15, v14
	ds_read_b64 v[0:1], v0
	ds_read_b64 v[2:3], v2
	;; [unrolled: 1-line block ×3, first 2 shown]
	v_lshlrev_b32_e32 v6, 3, v6
	ds_read_b64 v[6:7], v6
	s_waitcnt lgkmcnt(3)
	v_add_f64 v[0:1], v[0:1], 0
	s_waitcnt lgkmcnt(2)
	v_add_f64 v[0:1], v[0:1], v[2:3]
	v_add_u32_e32 v3, 5, v76
	v_and_or_b32 v3, v3, 15, v14
	s_waitcnt lgkmcnt(1)
	v_add_f64 v[0:1], v[0:1], v[4:5]
	v_lshlrev_b32_e32 v4, 3, v3
	v_add_u32_e32 v3, 6, v76
	v_and_or_b32 v3, v3, 15, v14
	v_add_u32_e32 v2, 4, v76
	v_lshlrev_b32_e32 v10, 3, v3
	v_add_u32_e32 v3, 7, v76
	v_and_or_b32 v2, v2, 15, v14
	v_and_or_b32 v3, v3, 15, v14
	v_lshlrev_b32_e32 v2, 3, v2
	v_lshlrev_b32_e32 v12, 3, v3
	ds_read_b64 v[2:3], v2
	ds_read_b64 v[4:5], v4
	;; [unrolled: 1-line block ×4, first 2 shown]
	s_waitcnt lgkmcnt(4)
	v_add_f64 v[0:1], v[0:1], v[6:7]
	s_waitcnt lgkmcnt(3)
	v_add_f64 v[0:1], v[0:1], v[2:3]
	v_add_u32_e32 v3, 9, v76
	v_and_or_b32 v3, v3, 15, v14
	s_waitcnt lgkmcnt(2)
	v_add_f64 v[0:1], v[0:1], v[4:5]
	v_lshlrev_b32_e32 v4, 3, v3
	v_add_u32_e32 v3, 10, v76
	v_xor_b32_e32 v2, 8, v15
	v_and_or_b32 v3, v3, 15, v14
	v_lshlrev_b32_e32 v2, 3, v2
	v_lshlrev_b32_e32 v6, 3, v3
	v_add_u32_e32 v3, 11, v76
	s_waitcnt lgkmcnt(1)
	v_add_f64 v[0:1], v[0:1], v[10:11]
	v_and_or_b32 v10, v3, 15, v14
	ds_read_b64 v[2:3], v2
	ds_read_b64 v[4:5], v4
	;; [unrolled: 1-line block ×3, first 2 shown]
	s_waitcnt lgkmcnt(3)
	v_add_f64 v[0:1], v[0:1], v[12:13]
	v_lshlrev_b32_e32 v10, 3, v10
	s_waitcnt lgkmcnt(2)
	v_add_f64 v[0:1], v[0:1], v[2:3]
	v_add_u32_e32 v3, 13, v76
	v_and_or_b32 v3, v3, 15, v14
	s_waitcnt lgkmcnt(1)
	v_add_f64 v[0:1], v[0:1], v[4:5]
	v_lshlrev_b32_e32 v4, 3, v3
	v_add_u32_e32 v3, 14, v76
	ds_read_b64 v[10:11], v10
	v_and_or_b32 v3, v3, 15, v14
	s_waitcnt lgkmcnt(1)
	v_add_f64 v[0:1], v[0:1], v[6:7]
	v_add_u32_e32 v2, 12, v76
	v_lshlrev_b32_e32 v6, 3, v3
	v_add_u32_e32 v3, -1, v76
	v_and_or_b32 v2, v2, 15, v14
	v_and_or_b32 v3, v3, 15, v14
	v_lshlrev_b32_e32 v2, 3, v2
	v_lshlrev_b32_e32 v12, 3, v3
	s_mul_i32 s0, s6, s11
	s_mul_hi_u32 s1, s6, s10
	ds_read_b64 v[2:3], v2
	ds_read_b64 v[4:5], v4
	;; [unrolled: 1-line block ×4, first 2 shown]
	s_add_i32 s0, s1, s0
	s_mul_i32 s1, s7, s10
	s_waitcnt lgkmcnt(4)
	v_add_f64 v[0:1], v[0:1], v[10:11]
	s_add_i32 s1, s0, s1
	s_mul_i32 s0, s6, s10
	s_waitcnt lgkmcnt(3)
	v_add_f64 v[0:1], v[0:1], v[2:3]
	v_mad_u64_u32 v[2:3], s[2:3], v76, s10, 0
	s_lshl_b64 s[0:1], s[0:1], 3
	s_waitcnt lgkmcnt(2)
	v_add_f64 v[0:1], v[0:1], v[4:5]
	v_mov_b32_e32 v4, v3
	s_add_u32 s0, s22, s0
	s_waitcnt lgkmcnt(1)
	v_add_f64 v[0:1], v[0:1], v[6:7]
	v_mad_u64_u32 v[4:5], s[2:3], v76, s11, v[4:5]
	s_addc_u32 s1, s23, s1
	s_waitcnt lgkmcnt(0)
	v_add_f64 v[0:1], v[0:1], v[12:13]
	v_mov_b32_e32 v3, v4
	v_lshl_add_u64 v[2:3], v[2:3], 3, s[0:1]
	v_mul_f64 v[0:1], v[8:9], v[0:1]
	global_atomic_add_f64 v[2:3], v[0:1], off
.LBB90_19:
	s_endpgm
	.section	.rodata,"a",@progbits
	.p2align	6, 0x0
	.amdhsa_kernel _ZL54rocblas_symv_kernel_upper_double_buffered_non_diagonalILi32ELi4ELi4E24rocblas_internal_val_ptrIdEPKdPdEvbiT2_lT3_lllS6_lllT4_llli
		.amdhsa_group_segment_fixed_size 6400
		.amdhsa_private_segment_fixed_size 0
		.amdhsa_kernarg_size 384
		.amdhsa_user_sgpr_count 2
		.amdhsa_user_sgpr_dispatch_ptr 0
		.amdhsa_user_sgpr_queue_ptr 0
		.amdhsa_user_sgpr_kernarg_segment_ptr 1
		.amdhsa_user_sgpr_dispatch_id 0
		.amdhsa_user_sgpr_kernarg_preload_length 0
		.amdhsa_user_sgpr_kernarg_preload_offset 0
		.amdhsa_user_sgpr_private_segment_size 0
		.amdhsa_uses_dynamic_stack 0
		.amdhsa_enable_private_segment 0
		.amdhsa_system_sgpr_workgroup_id_x 1
		.amdhsa_system_sgpr_workgroup_id_y 1
		.amdhsa_system_sgpr_workgroup_id_z 1
		.amdhsa_system_sgpr_workgroup_info 0
		.amdhsa_system_vgpr_workitem_id 1
		.amdhsa_next_free_vgpr 81
		.amdhsa_next_free_sgpr 30
		.amdhsa_accum_offset 84
		.amdhsa_reserve_vcc 1
		.amdhsa_float_round_mode_32 0
		.amdhsa_float_round_mode_16_64 0
		.amdhsa_float_denorm_mode_32 3
		.amdhsa_float_denorm_mode_16_64 3
		.amdhsa_dx10_clamp 1
		.amdhsa_ieee_mode 1
		.amdhsa_fp16_overflow 0
		.amdhsa_tg_split 0
		.amdhsa_exception_fp_ieee_invalid_op 0
		.amdhsa_exception_fp_denorm_src 0
		.amdhsa_exception_fp_ieee_div_zero 0
		.amdhsa_exception_fp_ieee_overflow 0
		.amdhsa_exception_fp_ieee_underflow 0
		.amdhsa_exception_fp_ieee_inexact 0
		.amdhsa_exception_int_div_zero 0
	.end_amdhsa_kernel
	.section	.text._ZL54rocblas_symv_kernel_upper_double_buffered_non_diagonalILi32ELi4ELi4E24rocblas_internal_val_ptrIdEPKdPdEvbiT2_lT3_lllS6_lllT4_llli,"axG",@progbits,_ZL54rocblas_symv_kernel_upper_double_buffered_non_diagonalILi32ELi4ELi4E24rocblas_internal_val_ptrIdEPKdPdEvbiT2_lT3_lllS6_lllT4_llli,comdat
.Lfunc_end90:
	.size	_ZL54rocblas_symv_kernel_upper_double_buffered_non_diagonalILi32ELi4ELi4E24rocblas_internal_val_ptrIdEPKdPdEvbiT2_lT3_lllS6_lllT4_llli, .Lfunc_end90-_ZL54rocblas_symv_kernel_upper_double_buffered_non_diagonalILi32ELi4ELi4E24rocblas_internal_val_ptrIdEPKdPdEvbiT2_lT3_lllS6_lllT4_llli
                                        ; -- End function
	.section	.AMDGPU.csdata,"",@progbits
; Kernel info:
; codeLenInByte = 2480
; NumSgprs: 36
; NumVgprs: 81
; NumAgprs: 0
; TotalNumVgprs: 81
; ScratchSize: 0
; MemoryBound: 0
; FloatMode: 240
; IeeeMode: 1
; LDSByteSize: 6400 bytes/workgroup (compile time only)
; SGPRBlocks: 4
; VGPRBlocks: 10
; NumSGPRsForWavesPerEU: 36
; NumVGPRsForWavesPerEU: 81
; AccumOffset: 84
; Occupancy: 5
; WaveLimiterHint : 0
; COMPUTE_PGM_RSRC2:SCRATCH_EN: 0
; COMPUTE_PGM_RSRC2:USER_SGPR: 2
; COMPUTE_PGM_RSRC2:TRAP_HANDLER: 0
; COMPUTE_PGM_RSRC2:TGID_X_EN: 1
; COMPUTE_PGM_RSRC2:TGID_Y_EN: 1
; COMPUTE_PGM_RSRC2:TGID_Z_EN: 1
; COMPUTE_PGM_RSRC2:TIDIG_COMP_CNT: 1
; COMPUTE_PGM_RSRC3_GFX90A:ACCUM_OFFSET: 20
; COMPUTE_PGM_RSRC3_GFX90A:TG_SPLIT: 0
	.section	.text._ZL58rocblas_symv_kernel_upper_double_buffered_diagonal_genericILi32ELi8E24rocblas_internal_val_ptrIdEPKdPdEvbiT1_lT2_lllS6_lllS5_lT3_lllii,"axG",@progbits,_ZL58rocblas_symv_kernel_upper_double_buffered_diagonal_genericILi32ELi8E24rocblas_internal_val_ptrIdEPKdPdEvbiT1_lT2_lllS6_lllS5_lT3_lllii,comdat
	.globl	_ZL58rocblas_symv_kernel_upper_double_buffered_diagonal_genericILi32ELi8E24rocblas_internal_val_ptrIdEPKdPdEvbiT1_lT2_lllS6_lllS5_lT3_lllii ; -- Begin function _ZL58rocblas_symv_kernel_upper_double_buffered_diagonal_genericILi32ELi8E24rocblas_internal_val_ptrIdEPKdPdEvbiT1_lT2_lllS6_lllS5_lT3_lllii
	.p2align	8
	.type	_ZL58rocblas_symv_kernel_upper_double_buffered_diagonal_genericILi32ELi8E24rocblas_internal_val_ptrIdEPKdPdEvbiT1_lT2_lllS6_lllS5_lT3_lllii,@function
_ZL58rocblas_symv_kernel_upper_double_buffered_diagonal_genericILi32ELi8E24rocblas_internal_val_ptrIdEPKdPdEvbiT1_lT2_lllS6_lllS5_lT3_lllii: ; @_ZL58rocblas_symv_kernel_upper_double_buffered_diagonal_genericILi32ELi8E24rocblas_internal_val_ptrIdEPKdPdEvbiT1_lT2_lllS6_lllS5_lT3_lllii
; %bb.0:
	s_load_dword s20, s[0:1], 0x0
	s_load_dwordx16 s[4:19], s[0:1], 0x8
	s_waitcnt lgkmcnt(0)
	s_bitcmp1_b32 s20, 0
	s_load_dwordx8 s[20:27], s[0:1], 0x48
	s_cselect_b64 s[30:31], -1, 0
	s_xor_b64 s[28:29], s[30:31], -1
	s_and_b64 vcc, exec, s[30:31]
	v_mov_b64_e32 v[4:5], s[4:5]
	s_cbranch_vccnz .LBB91_2
; %bb.1:
	s_mul_i32 s7, s3, s7
	s_mul_hi_u32 s30, s3, s6
	s_add_i32 s7, s30, s7
	s_mul_i32 s6, s3, s6
	s_lshl_b64 s[6:7], s[6:7], 3
	s_add_u32 s4, s4, s6
	s_addc_u32 s5, s5, s7
	v_mov_b64_e32 v[2:3], s[4:5]
	flat_load_dwordx2 v[4:5], v[2:3]
.LBB91_2:
	s_andn2_b64 vcc, exec, s[28:29]
	s_waitcnt lgkmcnt(0)
	v_mov_b64_e32 v[2:3], s[24:25]
	s_cbranch_vccnz .LBB91_4
; %bb.3:
	s_mul_i32 s4, s3, s27
	s_mul_hi_u32 s5, s3, s26
	s_add_i32 s5, s5, s4
	s_mul_i32 s4, s3, s26
	s_lshl_b64 s[4:5], s[4:5], 3
	s_add_u32 s4, s24, s4
	s_addc_u32 s5, s25, s5
	v_mov_b64_e32 v[2:3], s[4:5]
	flat_load_dwordx2 v[2:3], v[2:3]
.LBB91_4:
	s_waitcnt vmcnt(0)
	v_cmp_neq_f64_e32 vcc, 0, v[4:5]
	s_waitcnt lgkmcnt(0)
	v_cmp_neq_f64_e64 s[4:5], 1.0, v[2:3]
	s_or_b64 s[4:5], vcc, s[4:5]
	s_and_saveexec_b64 s[6:7], s[4:5]
	s_cbranch_execz .LBB91_49
; %bb.5:
	s_load_dwordx2 s[4:5], s[0:1], 0x80
	s_load_dwordx2 s[6:7], s[0:1], 0x68
	s_load_dwordx4 s[24:27], s[0:1], 0x70
	s_load_dword s33, s[0:1], 0x88
	v_and_b32_e32 v18, 0x3ff, v0
	s_waitcnt lgkmcnt(0)
	s_mul_i32 s5, s3, s5
	s_mul_hi_u32 s28, s3, s4
	s_add_i32 s5, s28, s5
	s_mul_i32 s4, s3, s4
	s_lshl_b64 s[4:5], s[4:5], 3
	s_add_u32 s6, s6, s4
	s_addc_u32 s7, s7, s5
	s_lshl_b64 s[4:5], s[24:25], 3
	s_add_u32 s6, s6, s4
	s_addc_u32 s7, s7, s5
	s_lshl_b32 s38, s2, 5
	s_ashr_i32 s39, s38, 31
	s_mul_i32 s4, s38, s27
	s_mul_hi_u32 s5, s38, s26
	s_add_i32 s4, s5, s4
	s_mul_i32 s5, s39, s26
	s_add_i32 s5, s4, s5
	s_mul_i32 s4, s38, s26
	s_lshl_b64 s[4:5], s[4:5], 3
	s_add_u32 s24, s6, s4
	v_bfe_u32 v19, v0, 10, 10
	s_addc_u32 s25, s7, s5
	v_cmp_eq_f64_e32 vcc, 0, v[4:5]
	s_and_saveexec_b64 s[4:5], vcc
	s_xor_b64 s[4:5], exec, s[4:5]
	s_cbranch_execz .LBB91_12
; %bb.6:
	v_cmp_eq_u32_e32 vcc, 0, v19
	s_and_saveexec_b64 s[6:7], vcc
	s_cbranch_execz .LBB91_11
; %bb.7:
	v_cmp_gt_i32_e64 s[28:29], s33, v18
	v_cmp_le_i32_e32 vcc, s33, v18
	s_and_saveexec_b64 s[30:31], vcc
	s_cbranch_execz .LBB91_9
; %bb.8:
	s_load_dword s34, s[0:1], 0x90
	s_waitcnt lgkmcnt(0)
	s_add_i32 s34, s34, -1
	s_cmp_lt_u32 s2, s34
	s_cselect_b64 s[34:35], -1, 0
	s_andn2_b64 s[28:29], s[28:29], exec
	s_and_b64 s[34:35], s[34:35], exec
	s_or_b64 s[28:29], s[28:29], s[34:35]
.LBB91_9:
	s_or_b64 exec, exec, s[30:31]
	s_and_b64 exec, exec, s[28:29]
	s_cbranch_execz .LBB91_11
; %bb.10:
	v_mad_u64_u32 v[0:1], s[28:29], v18, s26, 0
	v_mov_b32_e32 v4, v1
	v_mad_u64_u32 v[4:5], s[28:29], v18, s27, v[4:5]
	v_mov_b32_e32 v1, v4
	v_lshl_add_u64 v[0:1], v[0:1], 3, s[24:25]
	global_load_dwordx2 v[4:5], v[0:1], off
	s_waitcnt vmcnt(0)
	v_mul_f64 v[2:3], v[2:3], v[4:5]
	global_store_dwordx2 v[0:1], v[2:3], off
.LBB91_11:
	s_or_b64 exec, exec, s[6:7]
                                        ; implicit-def: $vgpr19
                                        ; implicit-def: $vgpr18
                                        ; implicit-def: $vgpr2_vgpr3
                                        ; implicit-def: $vgpr4_vgpr5
.LBB91_12:
	s_andn2_saveexec_b64 s[4:5], s[4:5]
	s_cbranch_execz .LBB91_49
; %bb.13:
	v_cmp_ne_u32_e64 s[4:5], 0, v19
	v_cmp_eq_u32_e64 s[6:7], 0, v19
	v_mov_b64_e32 v[0:1], 0
	s_and_saveexec_b64 s[28:29], s[6:7]
	s_cbranch_execz .LBB91_21
; %bb.14:
	v_cmp_gt_i32_e64 s[34:35], s33, v18
	v_cmp_le_i32_e32 vcc, s33, v18
                                        ; implicit-def: $sgpr30_sgpr31
	s_and_saveexec_b64 s[36:37], vcc
	s_cbranch_execz .LBB91_16
; %bb.15:
	s_load_dword s40, s[0:1], 0x90
	s_mov_b64 s[30:31], 0
	s_waitcnt lgkmcnt(0)
	s_add_i32 s40, s40, -1
	s_cmp_lt_u32 s2, s40
	s_cselect_b64 s[40:41], -1, 0
	s_andn2_b64 s[34:35], s[34:35], exec
	s_and_b64 s[40:41], s[40:41], exec
	s_or_b64 s[34:35], s[34:35], s[40:41]
.LBB91_16:
	s_or_b64 exec, exec, s[36:37]
	v_mov_b64_e32 v[0:1], s[30:31]
	s_and_saveexec_b64 s[30:31], s[34:35]
	s_cbranch_execz .LBB91_20
; %bb.17:
	s_mul_i32 s23, s3, s23
	s_mul_hi_u32 s34, s3, s22
	s_add_i32 s23, s34, s23
	s_mul_i32 s22, s3, s22
	s_lshl_b64 s[22:23], s[22:23], 3
	s_add_u32 s22, s16, s22
	s_addc_u32 s23, s17, s23
	s_lshl_b64 s[16:17], s[18:19], 3
	s_add_u32 s18, s22, s16
	s_addc_u32 s19, s23, s17
	s_mul_i32 s16, s38, s21
	s_mul_hi_u32 s17, s38, s20
	s_add_i32 s16, s17, s16
	s_mul_i32 s17, s39, s20
	s_add_i32 s17, s16, s17
	s_mul_i32 s16, s38, s20
	s_lshl_b64 s[16:17], s[16:17], 3
	s_add_u32 s16, s18, s16
	s_addc_u32 s17, s19, s17
	v_mad_u64_u32 v[0:1], s[18:19], v18, s20, 0
	v_mov_b32_e32 v6, v1
	v_mad_u64_u32 v[6:7], s[18:19], v18, s21, v[6:7]
	v_mov_b32_e32 v1, v6
	v_lshl_add_u64 v[0:1], v[0:1], 3, s[16:17]
	global_load_dwordx2 v[0:1], v[0:1], off
	v_lshlrev_b32_e32 v6, 3, v18
	v_cmp_neq_f64_e32 vcc, 0, v[2:3]
	s_waitcnt vmcnt(0)
	ds_write_b64 v6, v[0:1] offset:12288
	v_mov_b64_e32 v[0:1], 0
	s_and_saveexec_b64 s[16:17], vcc
	s_cbranch_execz .LBB91_19
; %bb.18:
	v_mad_u64_u32 v[0:1], s[18:19], v18, s26, 0
	v_mov_b32_e32 v6, v1
	v_mad_u64_u32 v[6:7], s[18:19], v18, s27, v[6:7]
	v_mov_b32_e32 v1, v6
	v_lshl_add_u64 v[0:1], v[0:1], 3, s[24:25]
	global_load_dwordx2 v[0:1], v[0:1], off
	s_waitcnt vmcnt(0)
	v_mul_f64 v[0:1], v[2:3], v[0:1]
.LBB91_19:
	s_or_b64 exec, exec, s[16:17]
.LBB91_20:
	s_or_b64 exec, exec, s[30:31]
.LBB91_21:
	s_or_b64 exec, exec, s[28:29]
	s_mul_i32 s15, s3, s15
	s_mul_hi_u32 s16, s3, s14
	s_add_i32 s15, s16, s15
	s_mul_i32 s14, s3, s14
	s_lshl_b64 s[14:15], s[14:15], 3
	s_add_u32 s3, s8, s14
	s_addc_u32 s16, s9, s15
	s_lshl_b64 s[10:11], s[10:11], 3
	s_add_u32 s3, s3, s10
	s_addc_u32 s19, s16, s11
	s_add_u32 s16, s12, 1
	s_addc_u32 s17, s13, 0
	s_mul_i32 s18, s16, s39
	s_mul_hi_u32 s20, s16, s38
	s_add_i32 s18, s20, s18
	s_mul_i32 s17, s17, s38
	s_add_i32 s17, s18, s17
	s_mul_i32 s16, s16, s38
	s_lshl_b64 s[16:17], s[16:17], 3
	s_add_u32 s18, s3, s16
	s_load_dword s3, s[0:1], 0x90
	v_mad_u64_u32 v[8:9], s[20:21], v19, s12, 0
	v_mov_b32_e32 v7, 0
	v_mov_b32_e32 v6, v9
	v_mad_u64_u32 v[10:11], s[20:21], v19, s13, v[6:7]
	s_addc_u32 s19, s19, s17
	v_mov_b32_e32 v9, v10
	v_lshl_add_u64 v[10:11], v[8:9], 3, s[18:19]
	v_lshlrev_b32_e32 v6, 3, v18
	v_lshl_add_u32 v22, v19, 5, v18
	s_waitcnt lgkmcnt(0)
	s_add_i32 s3, s3, -1
	v_lshl_add_u64 v[8:9], v[10:11], 0, v[6:7]
	s_cmp_eq_u32 s2, s3
	v_lshlrev_b32_e32 v20, 3, v22
	v_add_u32_e32 v21, 16, v19
	s_cbranch_scc1 .LBB91_24
; %bb.22:
	s_lshl_b64 s[0:1], s[12:13], 6
	v_lshl_add_u64 v[12:13], v[8:9], 0, s[0:1]
	global_load_dwordx2 v[16:17], v[8:9], off
	global_load_dwordx2 v[24:25], v[12:13], off
	v_lshl_add_u64 v[12:13], v[12:13], 0, s[0:1]
	global_load_dwordx2 v[26:27], v[12:13], off
	v_mov_b32_e32 v12, 0xc0
	v_add_u32_e32 v14, 16, v19
	s_mul_i32 s20, s13, 0xc0
	v_mad_u64_u32 v[12:13], s[0:1], s12, v12, v[8:9]
	v_lshlrev_b32_e32 v15, 3, v22
	v_add_u32_e32 v7, 0x300, v22
	v_lshlrev_b32_e32 v23, 5, v14
	v_add_u32_e32 v13, s20, v13
	s_mov_b64 s[0:1], -1
	v_add_lshl_u32 v23, v23, v18, 3
	s_waitcnt vmcnt(1)
	ds_write2st64_b64 v15, v[16:17], v[24:25] offset1:4
	s_waitcnt vmcnt(0)
	ds_write_b64 v23, v[26:27]
	s_cbranch_execz .LBB91_25
; %bb.23:
                                        ; implicit-def: $vgpr21
	s_and_saveexec_b64 s[4:5], s[0:1]
	s_cbranch_execnz .LBB91_39
	s_branch .LBB91_40
.LBB91_24:
	s_mov_b64 s[0:1], 0
                                        ; implicit-def: $vgpr14
                                        ; implicit-def: $vgpr12_vgpr13
                                        ; implicit-def: $vgpr7
.LBB91_25:
	s_mov_b32 s18, 0
	v_cmp_gt_i32_e32 vcc, s33, v18
	s_mov_b32 s19, s18
	v_lshlrev_b32_e32 v7, 5, v21
	s_or_b64 s[4:5], s[4:5], vcc
	v_mov_b64_e32 v[12:13], s[18:19]
	v_add_lshl_u32 v7, v7, v18, 3
	s_xor_b64 s[18:19], s[4:5], -1
	ds_write2st64_b64 v20, v[12:13], v[12:13] offset1:4
	ds_write_b64 v7, v[12:13]
	ds_write_b64 v20, v[12:13] offset:6144
	s_and_saveexec_b64 s[4:5], s[18:19]
	s_cbranch_execz .LBB91_27
; %bb.26:
	v_mov_b32_e32 v12, 0
	v_mov_b32_e32 v13, v12
	ds_write_b64 v6, v[12:13] offset:12288
.LBB91_27:
	s_or_b64 exec, exec, s[4:5]
                                        ; implicit-def: $vgpr14
                                        ; implicit-def: $vgpr12_vgpr13
                                        ; implicit-def: $vgpr7
	s_and_saveexec_b64 s[4:5], vcc
	s_cbranch_execz .LBB91_38
; %bb.28:
	s_cmp_lt_u32 s33, 8
	s_mov_b32 s20, 0
	s_cbranch_scc1 .LBB91_35
; %bb.29:
	s_lshr_b32 s20, s33, 3
	s_add_i32 s18, s20, -1
	s_cmp_lt_u32 s18, 3
	s_mov_b32 s21, 0
	s_cbranch_scc1 .LBB91_32
; %bb.30:
	s_and_b32 s21, s20, 0x1ffffffc
	s_add_u32 s18, s16, s14
	s_addc_u32 s19, s17, s15
	s_add_u32 s22, s8, s10
	s_addc_u32 s23, s9, s11
	s_add_u32 s18, s22, s18
	v_lshlrev_b32_e32 v23, 3, v19
	s_addc_u32 s19, s23, s19
	v_add_u32_e32 v15, 0xc0, v23
	v_mov_b64_e32 v[16:17], s[18:19]
	v_mad_u64_u32 v[12:13], s[18:19], s12, v15, v[16:17]
	v_mov_b32_e32 v14, v13
	v_mad_u64_u32 v[14:15], s[18:19], s13, v15, v[14:15]
	v_add_u32_e32 v25, 0x80, v23
	v_mov_b32_e32 v13, v14
	v_mad_u64_u32 v[14:15], s[22:23], s12, v25, v[16:17]
	v_mov_b32_e32 v24, v15
	v_add_u32_e32 v23, 64, v23
	v_mad_u64_u32 v[24:25], s[22:23], s13, v25, v[24:25]
	v_mad_u64_u32 v[16:17], s[22:23], s12, v23, v[16:17]
	v_mov_b32_e32 v15, v24
	v_mov_b32_e32 v24, v17
	v_mad_u64_u32 v[24:25], s[22:23], s13, v23, v[24:25]
	v_mov_b32_e32 v7, 0
	s_lshl_b64 s[18:19], s[12:13], 8
	v_mov_b32_e32 v17, v24
	s_mov_b32 s22, 0
	v_mov_b32_e32 v23, v20
.LBB91_31:                              ; =>This Inner Loop Header: Depth=1
	v_lshl_add_u64 v[24:25], v[10:11], 0, v[6:7]
	v_lshl_add_u64 v[26:27], v[16:17], 0, v[6:7]
	;; [unrolled: 1-line block ×4, first 2 shown]
	global_load_dwordx2 v[32:33], v[24:25], off
	global_load_dwordx2 v[34:35], v[26:27], off
	;; [unrolled: 1-line block ×4, first 2 shown]
	s_add_i32 s22, s22, 4
	v_lshl_add_u64 v[12:13], v[12:13], 0, s[18:19]
	v_lshl_add_u64 v[14:15], v[14:15], 0, s[18:19]
	;; [unrolled: 1-line block ×4, first 2 shown]
	s_cmp_lg_u32 s21, s22
	s_waitcnt vmcnt(2)
	ds_write2st64_b64 v23, v[32:33], v[34:35] offset1:4
	s_waitcnt vmcnt(0)
	ds_write2st64_b64 v23, v[36:37], v[38:39] offset0:8 offset1:12
	v_add_u32_e32 v23, 0x2000, v23
	s_cbranch_scc1 .LBB91_31
.LBB91_32:
	s_bfe_u32 s22, s33, 0x20003
	s_cmp_eq_u32 s22, 0
	s_mov_b32 s19, 0
	s_cbranch_scc1 .LBB91_35
; %bb.33:
	s_lshl_b32 s18, s21, 11
	v_lshlrev_b32_e32 v7, 8, v19
	s_add_u32 s14, s16, s14
	v_add3_u32 v12, s18, v7, v6
	s_addc_u32 s15, s17, s15
	s_lshl_b32 s18, s21, 3
	s_add_u32 s10, s10, s14
	v_lshlrev_b32_e32 v10, 3, v19
	v_mov_b32_e32 v11, 0
	s_addc_u32 s11, s11, s15
	v_lshl_add_u64 v[14:15], s[18:19], 3, v[10:11]
	v_mov_b64_e32 v[16:17], s[10:11]
	v_mad_u64_u32 v[16:17], s[10:11], s12, v14, v[16:17]
	v_mul_lo_u32 v7, s12, v15
	v_mul_lo_u32 v10, s13, v14
	v_add3_u32 v17, v10, v17, v7
	v_mov_b32_e32 v7, v11
	v_lshl_add_u64 v[10:11], v[16:17], 0, v[6:7]
	v_lshl_add_u64 v[10:11], s[8:9], 0, v[10:11]
	s_lshl_b64 s[8:9], s[12:13], 6
.LBB91_34:                              ; =>This Inner Loop Header: Depth=1
	global_load_dwordx2 v[14:15], v[10:11], off
	s_add_i32 s22, s22, -1
	v_lshl_add_u64 v[10:11], v[10:11], 0, s[8:9]
	s_cmp_lg_u32 s22, 0
	s_waitcnt vmcnt(0)
	ds_write_b64 v12, v[14:15]
	v_add_u32_e32 v12, 0x800, v12
	s_cbranch_scc1 .LBB91_34
.LBB91_35:
	s_and_b32 s8, s33, 7
	v_cmp_gt_u32_e32 vcc, s8, v19
	s_mov_b64 s[8:9], s[0:1]
                                        ; implicit-def: $vgpr12_vgpr13
                                        ; implicit-def: $vgpr7
	s_and_saveexec_b64 s[10:11], vcc
; %bb.36:
	s_lshl_b32 s8, s20, 3
	s_mul_i32 s9, s8, s13
	s_mul_hi_u32 s13, s8, s12
	s_add_i32 s9, s13, s9
	s_mul_i32 s8, s8, s12
	v_lshl_add_u64 v[12:13], s[8:9], 3, v[8:9]
	v_lshl_add_u32 v7, s20, 8, v22
	s_or_b64 s[8:9], s[0:1], exec
; %bb.37:
	s_or_b64 exec, exec, s[10:11]
	s_andn2_b64 s[0:1], s[0:1], exec
	s_and_b64 s[8:9], s[8:9], exec
	s_or_b64 s[0:1], s[0:1], s[8:9]
	v_mov_b32_e32 v14, v21
.LBB91_38:
	s_or_b64 exec, exec, s[4:5]
	s_and_saveexec_b64 s[4:5], s[0:1]
	s_cbranch_execz .LBB91_40
.LBB91_39:
	global_load_dwordx2 v[8:9], v[12:13], off
	v_lshlrev_b32_e32 v7, 3, v7
	v_mov_b32_e32 v21, v14
	s_waitcnt vmcnt(0)
	ds_write_b64 v7, v[8:9]
.LBB91_40:
	s_or_b64 exec, exec, s[4:5]
	v_sub_u32_e32 v7, v18, v19
	v_sub_u32_e32 v8, 0, v7
	v_max_i32_e32 v9, v7, v8
	v_lshlrev_b32_e32 v8, 5, v18
	v_add_u32_e32 v10, v21, v8
	v_cmp_lt_u32_e32 vcc, 16, v9
	v_lshlrev_b32_e32 v7, 5, v21
	v_lshlrev_b32_e32 v10, 3, v10
	s_waitcnt lgkmcnt(0)
	s_barrier
	s_and_saveexec_b64 s[0:1], vcc
	s_cbranch_execnz .LBB91_50
; %bb.41:
	s_or_b64 exec, exec, s[0:1]
	v_cmp_lt_u32_e32 vcc, 24, v9
	s_and_saveexec_b64 s[0:1], vcc
	s_cbranch_execnz .LBB91_51
.LBB91_42:
	s_or_b64 exec, exec, s[0:1]
	v_cmp_ge_u32_e32 vcc, v18, v19
	s_and_saveexec_b64 s[0:1], vcc
	s_cbranch_execz .LBB91_44
.LBB91_43:
	v_add_lshl_u32 v10, v8, v19, 3
	ds_read_b64 v[10:11], v10
	s_waitcnt lgkmcnt(0)
	ds_write_b64 v20, v[10:11]
.LBB91_44:
	s_or_b64 exec, exec, s[0:1]
	v_cmp_lt_u32_e32 vcc, 8, v9
	v_lshlrev_b32_e32 v9, 5, v19
	s_movk_i32 s0, 0x100
	v_add3_u32 v10, v9, v18, s0
	v_lshlrev_b32_e32 v10, 3, v10
	s_and_saveexec_b64 s[0:1], vcc
	s_cbranch_execz .LBB91_46
; %bb.45:
	v_add_lshl_u32 v8, v19, v8, 3
	ds_read_b64 v[12:13], v8 offset:64
	s_waitcnt lgkmcnt(0)
	ds_write_b64 v10, v[12:13]
.LBB91_46:
	s_or_b64 exec, exec, s[0:1]
	v_lshlrev_b32_e32 v19, 3, v19
	v_add_u32_e32 v8, 0x3000, v19
	s_waitcnt lgkmcnt(0)
	s_barrier
	ds_read2_b64 v[12:15], v8 offset1:8
	ds_read_b64 v[16:17], v20
	ds_read_b64 v[10:11], v10
	v_lshlrev_b32_e32 v8, 3, v21
	v_add_lshl_u32 v7, v7, v18, 3
	v_add_lshl_u32 v21, v9, v18, 3
	ds_read_b64 v[8:9], v8 offset:12288
	ds_read_b64 v[22:23], v21 offset:6144
	ds_read_b64 v[24:25], v7
	ds_read_b64 v[26:27], v19 offset:12480
	s_waitcnt lgkmcnt(5)
	v_fma_f64 v[12:13], v[16:17], v[12:13], 0
	s_waitcnt lgkmcnt(4)
	v_fmac_f64_e32 v[12:13], v[10:11], v[14:15]
	s_waitcnt lgkmcnt(1)
	v_fmac_f64_e32 v[12:13], v[24:25], v[8:9]
	;; [unrolled: 2-line block ×3, first 2 shown]
	ds_write_b64 v20, v[12:13] offset:8192
	s_waitcnt lgkmcnt(0)
	s_barrier
	s_and_saveexec_b64 s[0:1], s[6:7]
	s_cbranch_execz .LBB91_49
; %bb.47:
	s_cmp_lt_u32 s2, s3
	v_cmp_gt_i32_e32 vcc, s33, v18
	s_cselect_b64 s[0:1], -1, 0
	s_or_b64 s[0:1], vcc, s[0:1]
	s_and_b64 exec, exec, s[0:1]
	s_cbranch_execz .LBB91_49
; %bb.48:
	v_add_u32_e32 v19, 0x2000, v6
	ds_read2_b64 v[6:9], v19 offset1:32
	ds_read2_b64 v[10:13], v19 offset0:64 offset1:96
	ds_read2_b64 v[14:17], v19 offset0:128 offset1:160
	;; [unrolled: 1-line block ×3, first 2 shown]
	v_cmp_neq_f64_e32 vcc, 0, v[2:3]
	s_waitcnt lgkmcnt(3)
	v_add_f64 v[6:7], v[6:7], 0
	v_add_f64 v[6:7], v[6:7], v[8:9]
	s_waitcnt lgkmcnt(2)
	v_add_f64 v[6:7], v[6:7], v[10:11]
	v_add_f64 v[6:7], v[6:7], v[12:13]
	;; [unrolled: 3-line block ×4, first 2 shown]
	v_mad_u64_u32 v[2:3], s[0:1], v18, s26, 0
	v_mul_f64 v[8:9], v[4:5], v[6:7]
	v_fmac_f64_e32 v[0:1], v[4:5], v[6:7]
	v_mov_b32_e32 v4, v3
	v_mad_u64_u32 v[4:5], s[0:1], v18, s27, v[4:5]
	v_mov_b32_e32 v3, v4
	v_cndmask_b32_e32 v1, v9, v1, vcc
	v_cndmask_b32_e32 v0, v8, v0, vcc
	v_lshl_add_u64 v[2:3], v[2:3], 3, s[24:25]
	global_store_dwordx2 v[2:3], v[0:1], off
.LBB91_49:
	s_endpgm
.LBB91_50:
	ds_read_b64 v[12:13], v10
	v_add_lshl_u32 v11, v7, v18, 3
	s_waitcnt lgkmcnt(0)
	ds_write_b64 v11, v[12:13]
	s_or_b64 exec, exec, s[0:1]
	v_cmp_lt_u32_e32 vcc, 24, v9
	s_and_saveexec_b64 s[0:1], vcc
	s_cbranch_execz .LBB91_42
.LBB91_51:
	ds_read_b64 v[10:11], v10 offset:64
	s_waitcnt lgkmcnt(0)
	ds_write_b64 v20, v[10:11] offset:6144
	s_or_b64 exec, exec, s[0:1]
	v_cmp_ge_u32_e32 vcc, v18, v19
	s_and_saveexec_b64 s[0:1], vcc
	s_cbranch_execnz .LBB91_43
	s_branch .LBB91_44
	.section	.rodata,"a",@progbits
	.p2align	6, 0x0
	.amdhsa_kernel _ZL58rocblas_symv_kernel_upper_double_buffered_diagonal_genericILi32ELi8E24rocblas_internal_val_ptrIdEPKdPdEvbiT1_lT2_lllS6_lllS5_lT3_lllii
		.amdhsa_group_segment_fixed_size 12544
		.amdhsa_private_segment_fixed_size 0
		.amdhsa_kernarg_size 400
		.amdhsa_user_sgpr_count 2
		.amdhsa_user_sgpr_dispatch_ptr 0
		.amdhsa_user_sgpr_queue_ptr 0
		.amdhsa_user_sgpr_kernarg_segment_ptr 1
		.amdhsa_user_sgpr_dispatch_id 0
		.amdhsa_user_sgpr_kernarg_preload_length 0
		.amdhsa_user_sgpr_kernarg_preload_offset 0
		.amdhsa_user_sgpr_private_segment_size 0
		.amdhsa_uses_dynamic_stack 0
		.amdhsa_enable_private_segment 0
		.amdhsa_system_sgpr_workgroup_id_x 1
		.amdhsa_system_sgpr_workgroup_id_y 0
		.amdhsa_system_sgpr_workgroup_id_z 1
		.amdhsa_system_sgpr_workgroup_info 0
		.amdhsa_system_vgpr_workitem_id 1
		.amdhsa_next_free_vgpr 40
		.amdhsa_next_free_sgpr 42
		.amdhsa_accum_offset 40
		.amdhsa_reserve_vcc 1
		.amdhsa_float_round_mode_32 0
		.amdhsa_float_round_mode_16_64 0
		.amdhsa_float_denorm_mode_32 3
		.amdhsa_float_denorm_mode_16_64 3
		.amdhsa_dx10_clamp 1
		.amdhsa_ieee_mode 1
		.amdhsa_fp16_overflow 0
		.amdhsa_tg_split 0
		.amdhsa_exception_fp_ieee_invalid_op 0
		.amdhsa_exception_fp_denorm_src 0
		.amdhsa_exception_fp_ieee_div_zero 0
		.amdhsa_exception_fp_ieee_overflow 0
		.amdhsa_exception_fp_ieee_underflow 0
		.amdhsa_exception_fp_ieee_inexact 0
		.amdhsa_exception_int_div_zero 0
	.end_amdhsa_kernel
	.section	.text._ZL58rocblas_symv_kernel_upper_double_buffered_diagonal_genericILi32ELi8E24rocblas_internal_val_ptrIdEPKdPdEvbiT1_lT2_lllS6_lllS5_lT3_lllii,"axG",@progbits,_ZL58rocblas_symv_kernel_upper_double_buffered_diagonal_genericILi32ELi8E24rocblas_internal_val_ptrIdEPKdPdEvbiT1_lT2_lllS6_lllS5_lT3_lllii,comdat
.Lfunc_end91:
	.size	_ZL58rocblas_symv_kernel_upper_double_buffered_diagonal_genericILi32ELi8E24rocblas_internal_val_ptrIdEPKdPdEvbiT1_lT2_lllS6_lllS5_lT3_lllii, .Lfunc_end91-_ZL58rocblas_symv_kernel_upper_double_buffered_diagonal_genericILi32ELi8E24rocblas_internal_val_ptrIdEPKdPdEvbiT1_lT2_lllS6_lllS5_lT3_lllii
                                        ; -- End function
	.section	.AMDGPU.csdata,"",@progbits
; Kernel info:
; codeLenInByte = 2464
; NumSgprs: 48
; NumVgprs: 40
; NumAgprs: 0
; TotalNumVgprs: 40
; ScratchSize: 0
; MemoryBound: 0
; FloatMode: 240
; IeeeMode: 1
; LDSByteSize: 12544 bytes/workgroup (compile time only)
; SGPRBlocks: 5
; VGPRBlocks: 4
; NumSGPRsForWavesPerEU: 48
; NumVGPRsForWavesPerEU: 40
; AccumOffset: 40
; Occupancy: 5
; WaveLimiterHint : 0
; COMPUTE_PGM_RSRC2:SCRATCH_EN: 0
; COMPUTE_PGM_RSRC2:USER_SGPR: 2
; COMPUTE_PGM_RSRC2:TRAP_HANDLER: 0
; COMPUTE_PGM_RSRC2:TGID_X_EN: 1
; COMPUTE_PGM_RSRC2:TGID_Y_EN: 0
; COMPUTE_PGM_RSRC2:TGID_Z_EN: 1
; COMPUTE_PGM_RSRC2:TIDIG_COMP_CNT: 1
; COMPUTE_PGM_RSRC3_GFX90A:ACCUM_OFFSET: 9
; COMPUTE_PGM_RSRC3_GFX90A:TG_SPLIT: 0
	.section	.text._ZL62rocblas_symv_kernel_upper_double_buffered_non_diagonal_genericILi32ELi8ELi2ELi0E24rocblas_internal_val_ptrIdEPKdPdEvbiT3_lT4_lllS6_lllT5_lllii,"axG",@progbits,_ZL62rocblas_symv_kernel_upper_double_buffered_non_diagonal_genericILi32ELi8ELi2ELi0E24rocblas_internal_val_ptrIdEPKdPdEvbiT3_lT4_lllS6_lllT5_lllii,comdat
	.globl	_ZL62rocblas_symv_kernel_upper_double_buffered_non_diagonal_genericILi32ELi8ELi2ELi0E24rocblas_internal_val_ptrIdEPKdPdEvbiT3_lT4_lllS6_lllT5_lllii ; -- Begin function _ZL62rocblas_symv_kernel_upper_double_buffered_non_diagonal_genericILi32ELi8ELi2ELi0E24rocblas_internal_val_ptrIdEPKdPdEvbiT3_lT4_lllS6_lllT5_lllii
	.p2align	8
	.type	_ZL62rocblas_symv_kernel_upper_double_buffered_non_diagonal_genericILi32ELi8ELi2ELi0E24rocblas_internal_val_ptrIdEPKdPdEvbiT3_lT4_lllS6_lllT5_lllii,@function
_ZL62rocblas_symv_kernel_upper_double_buffered_non_diagonal_genericILi32ELi8ELi2ELi0E24rocblas_internal_val_ptrIdEPKdPdEvbiT3_lT4_lllS6_lllT5_lllii: ; @_ZL62rocblas_symv_kernel_upper_double_buffered_non_diagonal_genericILi32ELi8ELi2ELi0E24rocblas_internal_val_ptrIdEPKdPdEvbiT3_lT4_lllS6_lllT5_lllii
; %bb.0:
	s_load_dword s5, s[0:1], 0x0
	s_load_dwordx16 s[8:23], s[0:1], 0x8
	s_waitcnt lgkmcnt(0)
	s_bitcmp1_b32 s5, 0
	s_cselect_b64 s[6:7], -1, 0
	s_and_b64 vcc, exec, s[6:7]
	v_mov_b64_e32 v[12:13], s[8:9]
	s_cbranch_vccnz .LBB92_2
; %bb.1:
	s_mul_i32 s5, s4, s11
	s_mul_hi_u32 s6, s4, s10
	s_add_i32 s7, s6, s5
	s_mul_i32 s6, s4, s10
	s_lshl_b64 s[6:7], s[6:7], 3
	s_add_u32 s6, s8, s6
	s_addc_u32 s7, s9, s7
	v_mov_b64_e32 v[2:3], s[6:7]
	flat_load_dwordx2 v[12:13], v[2:3]
.LBB92_2:
	s_waitcnt vmcnt(0) lgkmcnt(0)
	v_cmp_neq_f64_e32 vcc, 0, v[12:13]
	s_and_saveexec_b64 s[6:7], vcc
	s_cbranch_execz .LBB92_36
; %bb.3:
	s_load_dword s8, s[0:1], 0x84
	s_add_u32 s6, s0, 0x80
	s_addc_u32 s7, s1, 0
	s_cmp_eq_u32 s2, 0
	s_waitcnt lgkmcnt(0)
	v_cvt_f32_u32_e32 v1, s8
	v_rcp_iflag_f32_e32 v1, v1
	s_nop 0
	v_mul_f32_e32 v1, 0x4f7ffffe, v1
	v_cvt_u32_f32_e32 v1, v1
	s_nop 0
	v_readfirstlane_b32 s5, v1
	s_cbranch_scc1 .LBB92_36
; %bb.4:
	s_sub_i32 s9, 0, s8
	s_mul_i32 s9, s9, s5
	s_mul_hi_u32 s9, s5, s9
	s_add_i32 s5, s5, s9
	s_mul_hi_u32 s5, s2, s5
	s_mul_i32 s9, s5, s8
	s_sub_i32 s9, s2, s9
	s_add_i32 s10, s5, 1
	s_sub_i32 s11, s9, s8
	s_cmp_ge_u32 s9, s8
	s_cselect_b32 s5, s10, s5
	s_cselect_b32 s9, s11, s9
	s_add_i32 s10, s5, 1
	s_cmp_ge_u32 s9, s8
	s_cselect_b32 s5, s10, s5
	s_add_i32 s9, s8, -1
	s_cmp_lg_u32 s3, s9
	s_mov_b32 s34, s5
	s_cbranch_scc1 .LBB92_6
; %bb.5:
	s_mul_i32 s8, s5, s8
	s_sub_i32 s8, s2, s8
	s_add_i32 s34, s8, s5
.LBB92_6:
	s_cmp_eq_u32 s34, 0
	s_cbranch_scc1 .LBB92_36
; %bb.7:
	s_load_dwordx4 s[24:27], s[0:1], 0x48
	s_load_dword s33, s[0:1], 0x78
	s_load_dword s35, s[6:7], 0x0
	v_and_b32_e32 v44, 0x3ff, v0
	v_bfe_u32 v0, v0, 10, 10
	s_waitcnt lgkmcnt(0)
	s_mul_i32 s9, s4, s27
	s_mul_hi_u32 s10, s4, s26
	s_mul_i32 s8, s4, s26
	s_add_i32 s9, s10, s9
	s_lshl_b64 s[8:9], s[8:9], 3
	s_add_u32 s10, s20, s8
	s_addc_u32 s11, s21, s9
	s_lshl_b64 s[8:9], s[22:23], 3
	s_add_u32 s22, s10, s8
	s_addc_u32 s23, s11, s9
	s_lshl_b32 s20, s2, 5
	s_ashr_i32 s21, s20, 31
	s_mul_i32 s8, s20, s25
	s_mul_hi_u32 s9, s20, s24
	s_add_i32 s8, s9, s8
	s_mul_i32 s9, s21, s24
	s_add_i32 s9, s8, s9
	s_mul_i32 s8, s20, s24
	s_lshl_b64 s[6:7], s[8:9], 3
	s_add_u32 s10, s22, s6
	s_addc_u32 s11, s23, s7
	s_add_i32 s35, s35, -1
	s_cmp_lg_u32 s2, s35
	v_lshl_add_u32 v4, v0, 5, v44
	s_cselect_b64 s[8:9], -1, 0
	v_and_b32_e32 v14, 15, v44
	v_lshrrev_b32_e32 v5, 4, v4
	v_cmp_eq_u32_e64 s[6:7], 0, v0
	s_mov_b64 s[26:27], -1
	s_and_b64 vcc, exec, s[8:9]
	s_cbranch_vccnz .LBB92_13
; %bb.8:
	s_and_saveexec_b64 s[26:27], s[6:7]
	s_cbranch_execz .LBB92_12
; %bb.9:
	v_cmp_gt_i32_e32 vcc, s33, v44
	v_mov_b64_e32 v[0:1], 0
	s_and_saveexec_b64 s[28:29], vcc
	s_cbranch_execz .LBB92_11
; %bb.10:
	v_mad_u64_u32 v[0:1], s[30:31], v44, s24, 0
	v_mov_b32_e32 v2, v1
	v_mad_u64_u32 v[2:3], s[30:31], v44, s25, v[2:3]
	v_mov_b32_e32 v1, v2
	v_lshl_add_u64 v[0:1], v[0:1], 3, s[10:11]
	global_load_dwordx2 v[0:1], v[0:1], off
.LBB92_11:
	s_or_b64 exec, exec, s[28:29]
	v_lshlrev_b32_e32 v2, 3, v44
	s_waitcnt vmcnt(0)
	ds_write_b64 v2, v[0:1] offset:8192
.LBB92_12:
	s_or_b64 exec, exec, s[26:27]
	s_mov_b32 s26, 0
	v_lshlrev_b32_e32 v0, 3, v14
	s_mov_b32 s27, s26
	v_lshl_or_b32 v2, v5, 8, v0
	v_mov_b64_e32 v[0:1], s[26:27]
	ds_write2_b64 v2, v[0:1], v[0:1] offset1:16
	v_add_u32_e32 v2, 0x1000, v2
	s_mov_b64 s[26:27], 0
	ds_write2_b64 v2, v[0:1], v[0:1] offset1:16
.LBB92_13:
	s_load_dwordx2 s[30:31], s[0:1], 0x58
	s_and_b64 vcc, exec, s[26:27]
	s_cbranch_vccz .LBB92_17
; %bb.14:
	s_and_saveexec_b64 s[26:27], s[6:7]
	s_cbranch_execz .LBB92_16
; %bb.15:
	v_mad_u64_u32 v[0:1], s[28:29], v44, s24, 0
	v_mov_b32_e32 v2, v1
	v_mad_u64_u32 v[2:3], s[28:29], v44, s25, v[2:3]
	v_mov_b32_e32 v1, v2
	v_lshl_add_u64 v[0:1], v[0:1], 3, s[10:11]
	global_load_dwordx2 v[0:1], v[0:1], off
	v_lshlrev_b32_e32 v2, 3, v44
	s_waitcnt vmcnt(0)
	ds_write_b64 v2, v[0:1] offset:8192
.LBB92_16:
	s_or_b64 exec, exec, s[26:27]
.LBB92_17:
	s_lshr_b32 s10, s33, 31
	s_add_i32 s10, s33, s10
	s_ashr_i32 s10, s10, 1
	s_mul_i32 s11, s4, s19
	s_mul_hi_u32 s19, s4, s18
	v_cmp_gt_i32_e32 vcc, s10, v5
	s_add_i32 s29, s19, s11
	s_mul_i32 s28, s4, s18
	s_or_b64 s[18:19], s[8:9], vcc
	s_mov_b32 s8, 0
	s_mul_i32 s3, s3, s5
	s_mov_b32 s9, s8
	s_lshl_b32 s26, s3, 5
	s_mov_b32 s10, s8
	s_mov_b32 s11, s8
	v_mov_b64_e32 v[0:1], s[8:9]
	s_ashr_i32 s27, s26, 31
	v_lshlrev_b32_e32 v6, 1, v5
	v_mov_b32_e32 v15, 0
	v_mov_b64_e32 v[2:3], s[10:11]
	s_waitcnt lgkmcnt(0)
	s_barrier
	s_and_saveexec_b64 s[8:9], s[18:19]
	s_cbranch_execz .LBB92_19
; %bb.18:
	v_mad_u64_u32 v[0:1], s[10:11], v6, s16, v[14:15]
	v_mov_b32_e32 v2, v1
	v_mad_u64_u32 v[2:3], s[10:11], v6, s17, v[2:3]
	s_lshl_b64 s[10:11], s[28:29], 3
	s_add_u32 s3, s12, s10
	s_addc_u32 s5, s13, s11
	s_lshl_b64 s[10:11], s[14:15], 3
	s_add_u32 s3, s3, s10
	s_addc_u32 s5, s5, s11
	s_mul_i32 s10, s20, s17
	s_mul_hi_u32 s11, s20, s16
	s_add_i32 s10, s11, s10
	s_mul_i32 s11, s21, s16
	s_add_i32 s11, s10, s11
	s_mul_i32 s10, s20, s16
	s_lshl_b64 s[10:11], s[10:11], 3
	s_add_u32 s3, s3, s10
	s_addc_u32 s5, s5, s11
	s_lshl_b64 s[10:11], s[26:27], 3
	s_add_u32 s10, s3, s10
	v_mov_b32_e32 v1, v2
	s_addc_u32 s11, s5, s11
	v_lshl_add_u64 v[8:9], v[0:1], 3, s[10:11]
	v_lshl_add_u64 v[10:11], s[16:17], 3, v[8:9]
	global_load_dwordx2 v[0:1], v[8:9], off
	global_load_dwordx2 v[2:3], v[10:11], off
.LBB92_19:
	s_or_b64 exec, exec, s[8:9]
	s_load_dwordx2 s[36:37], s[0:1], 0x70
	s_load_dwordx4 s[8:11], s[0:1], 0x60
	v_lshl_or_b32 v15, v5, 5, v14
	s_waitcnt lgkmcnt(0)
	s_mul_i32 s1, s4, s37
	s_mul_hi_u32 s3, s4, s36
	s_mul_i32 s0, s4, s36
	s_add_i32 s1, s3, s1
	s_lshl_b64 s[0:1], s[0:1], 3
	s_add_u32 s3, s30, s0
	s_addc_u32 s4, s31, s1
	s_lshl_b64 s[0:1], s[8:9], 3
	s_add_u32 s3, s3, s0
	s_addc_u32 s30, s4, s1
	s_cmp_gt_i32 s34, 0
	s_cbranch_scc1 .LBB92_21
; %bb.20:
	v_lshl_or_b32 v5, v5, 5, v14
	v_or_b32_e32 v45, 16, v5
	s_mov_b64 s[4:5], 0
	v_mov_b64_e32 v[28:29], s[4:5]
	v_mov_b64_e32 v[26:27], s[4:5]
	s_cbranch_execz .LBB92_22
	s_branch .LBB92_33
.LBB92_21:
                                        ; implicit-def: $sgpr4_sgpr5
                                        ; implicit-def: $vgpr5
                                        ; implicit-def: $vgpr45
	v_mov_b64_e32 v[28:29], s[4:5]
	v_mov_b64_e32 v[26:27], s[4:5]
.LBB92_22:
	v_mad_u64_u32 v[8:9], s[0:1], v14, s24, 0
	v_mov_b32_e32 v10, v9
	v_mad_u64_u32 v[10:11], s[0:1], v14, s25, v[10:11]
	s_mul_i32 s0, s26, s25
	s_mul_hi_u32 s1, s26, s24
	s_add_i32 s0, s1, s0
	s_mul_i32 s1, s27, s24
	s_add_i32 s1, s0, s1
	s_mul_i32 s0, s26, s24
	s_lshl_b64 s[0:1], s[0:1], 3
	s_add_u32 s0, s22, s0
	v_mov_b32_e32 v9, v10
	s_addc_u32 s1, s23, s1
	v_lshl_add_u64 v[8:9], v[8:9], 3, s[0:1]
	global_load_dwordx2 v[18:19], v[8:9], off
	s_mul_i32 s0, s26, s11
	s_mul_hi_u32 s1, s26, s10
	s_add_i32 s0, s1, s0
	s_mul_i32 s1, s27, s10
	s_add_i32 s1, s0, s1
	s_mul_i32 s0, s26, s10
	v_mad_u64_u32 v[16:17], s[4:5], v44, s10, 0
	s_lshl_b64 s[0:1], s[0:1], 3
	v_mov_b32_e32 v8, v17
	s_add_u32 s36, s3, s0
	v_mad_u64_u32 v[8:9], s[4:5], v44, s11, v[8:9]
	s_addc_u32 s37, s30, s1
	s_lshl_b64 s[0:1], s[24:25], 8
	s_lshl_b64 s[4:5], s[10:11], 8
	;; [unrolled: 1-line block ×5, first 2 shown]
	s_add_u32 s12, s12, s26
	s_addc_u32 s13, s13, s27
	s_add_u32 s12, s12, s14
	v_mov_b32_e32 v5, 0x2000
	v_mov_b32_e32 v21, 0
	s_addc_u32 s13, s13, s15
	v_lshl_add_u32 v47, v6, 3, v5
	v_and_b32_e32 v4, 0xfff0, v4
	v_mov_b32_e32 v5, v21
	s_add_u32 s8, s12, s8
	v_lshl_add_u64 v[4:5], s[20:21], 3, v[4:5]
	s_addc_u32 s9, s13, s9
	v_mov_b32_e32 v17, v8
	v_lshl_add_u64 v[6:7], v[4:5], 0, 8
	v_mov_b64_e32 v[8:9], s[8:9]
	v_lshlrev_b32_e32 v20, 3, v14
	v_mad_u64_u32 v[22:23], s[8:9], s16, v6, v[8:9]
	v_mad_u64_u32 v[24:25], s[8:9], s16, v4, v[8:9]
	v_mul_lo_u32 v5, s16, v5
	v_mul_lo_u32 v4, s17, v4
	;; [unrolled: 1-line block ×4, first 2 shown]
	v_add3_u32 v25, v4, v25, v5
	v_lshl_add_u64 v[4:5], s[26:27], 0, v[20:21]
	s_mov_b64 s[8:9], 0x80
	v_add3_u32 v23, v6, v23, v7
	v_lshl_add_u64 v[6:7], v[4:5], 0, s[8:9]
	v_mad_u64_u32 v[30:31], s[8:9], s24, v6, 0
	s_mov_b64 s[8:9], 0x100
	s_nop 0
	v_lshl_add_u64 v[4:5], v[4:5], 0, s[8:9]
	v_mul_lo_u32 v8, s25, v6
	v_mul_lo_u32 v7, s24, v7
	;; [unrolled: 1-line block ×4, first 2 shown]
	v_mad_u64_u32 v[32:33], s[12:13], s24, v4, 0
	v_mov_b64_e32 v[26:27], 0
	v_lshlrev_b32_e32 v46, 3, v15
	v_or_b32_e32 v45, 16, v15
	v_lshlrev_b32_e32 v48, 3, v44
	v_add3_u32 v31, v31, v7, v8
	v_add3_u32 v33, v33, v5, v6
	v_mov_b64_e32 v[34:35], s[36:37]
	v_mov_b64_e32 v[28:29], v[26:27]
	;; [unrolled: 1-line block ×4, first 2 shown]
	v_lshl_add_u64 v[4:5], s[22:23], 0, v[30:31]
	global_load_dwordx2 v[40:41], v[4:5], off
	s_and_saveexec_b64 s[12:13], s[18:19]
	s_cbranch_execz .LBB92_24
.LBB92_23:
	v_lshl_add_u64 v[6:7], v[24:25], 0, v[20:21]
	v_lshl_add_u64 v[4:5], v[22:23], 0, v[20:21]
	global_load_dwordx2 v[36:37], v[6:7], off offset:128
	global_load_dwordx2 v[38:39], v[4:5], off offset:128
.LBB92_24:                              ; =>This Inner Loop Header: Depth=1
	s_or_b64 exec, exec, s[12:13]
	ds_read_b128 v[8:11], v47
	s_waitcnt vmcnt(2)
	v_mov_b64_e32 v[6:7], v[2:3]
	s_cmp_eq_u32 s34, 1
	s_waitcnt vmcnt(1)
	v_mov_b64_e32 v[42:43], v[18:19]
	v_mov_b64_e32 v[4:5], v[0:1]
	s_cbranch_scc1 .LBB92_28
; %bb.25:                               ;   in Loop: Header=BB92_24 Depth=1
	v_mov_b64_e32 v[6:7], v[2:3]
	v_mov_b64_e32 v[4:5], v[0:1]
	s_and_saveexec_b64 s[12:13], s[18:19]
	s_cbranch_execz .LBB92_27
; %bb.26:                               ;   in Loop: Header=BB92_24 Depth=1
	v_lshl_add_u64 v[42:43], v[24:25], 0, v[20:21]
	v_lshl_add_u64 v[50:51], v[22:23], 0, v[20:21]
	global_load_dwordx2 v[4:5], v[42:43], off offset:256
	global_load_dwordx2 v[6:7], v[50:51], off offset:256
.LBB92_27:                              ;   in Loop: Header=BB92_24 Depth=1
	s_or_b64 exec, exec, s[12:13]
	v_lshl_add_u64 v[42:43], s[22:23], 0, v[32:33]
	global_load_dwordx2 v[42:43], v[42:43], off
.LBB92_28:                              ;   in Loop: Header=BB92_24 Depth=1
	s_waitcnt lgkmcnt(0)
	v_fma_f64 v[50:51], v[0:1], v[8:9], 0
	v_fma_f64 v[8:9], v[36:37], v[8:9], 0
	v_fmac_f64_e32 v[50:51], v[2:3], v[10:11]
	s_waitcnt vmcnt(0)
	v_fmac_f64_e32 v[8:9], v[38:39], v[10:11]
	s_barrier
	ds_write2_b64 v46, v[50:51], v[8:9] offset1:16
	s_waitcnt lgkmcnt(0)
	s_barrier
	s_and_saveexec_b64 s[12:13], s[6:7]
	s_cbranch_execz .LBB92_30
; %bb.29:                               ;   in Loop: Header=BB92_24 Depth=1
	ds_read2_b64 v[8:11], v48 offset1:32
	ds_read2_b64 v[50:53], v48 offset0:64 offset1:96
	ds_read2_b64 v[54:57], v48 offset0:128 offset1:160
	;; [unrolled: 1-line block ×3, first 2 shown]
	v_add_u32_e32 v49, 0x800, v48
	s_waitcnt lgkmcnt(3)
	v_add_f64 v[8:9], v[8:9], 0
	v_add_f64 v[8:9], v[8:9], v[10:11]
	s_waitcnt lgkmcnt(2)
	v_add_f64 v[8:9], v[8:9], v[50:51]
	v_add_f64 v[8:9], v[8:9], v[52:53]
	s_waitcnt lgkmcnt(1)
	v_add_f64 v[50:51], v[8:9], v[54:55]
	ds_read2_b64 v[8:11], v49 offset1:32
	v_add_f64 v[50:51], v[50:51], v[56:57]
	s_waitcnt lgkmcnt(1)
	v_add_f64 v[50:51], v[50:51], v[58:59]
	v_add_f64 v[54:55], v[50:51], v[60:61]
	ds_read2_b64 v[50:53], v49 offset0:64 offset1:96
	s_waitcnt lgkmcnt(1)
	v_add_f64 v[8:9], v[54:55], v[8:9]
	ds_read2_b64 v[54:57], v49 offset0:128 offset1:160
	v_add_f64 v[58:59], v[8:9], v[10:11]
	ds_read2_b64 v[8:11], v49 offset0:192 offset1:224
	s_waitcnt lgkmcnt(2)
	v_add_f64 v[50:51], v[58:59], v[50:51]
	v_add_f64 v[50:51], v[50:51], v[52:53]
	s_waitcnt lgkmcnt(1)
	v_add_f64 v[50:51], v[50:51], v[54:55]
	v_add_f64 v[50:51], v[50:51], v[56:57]
	;; [unrolled: 3-line block ×3, first 2 shown]
	v_lshl_add_u64 v[10:11], v[16:17], 3, v[34:35]
	v_mul_f64 v[8:9], v[12:13], v[8:9]
	global_atomic_add_f64 v[10:11], v[8:9], off
	v_lshl_add_u64 v[34:35], v[34:35], 0, s[4:5]
.LBB92_30:                              ;   in Loop: Header=BB92_24 Depth=1
	s_or_b64 exec, exec, s[12:13]
	s_add_i32 s34, s34, -1
	s_add_u32 s22, s22, s0
	v_fmac_f64_e32 v[26:27], v[18:19], v[0:1]
	v_fmac_f64_e32 v[28:29], v[18:19], v[2:3]
	s_addc_u32 s23, s23, s1
	v_fmac_f64_e32 v[26:27], v[40:41], v[36:37]
	v_fmac_f64_e32 v[28:29], v[40:41], v[38:39]
	v_lshl_add_u64 v[22:23], v[22:23], 0, s[8:9]
	s_cmp_eq_u32 s34, 0
	v_lshl_add_u64 v[24:25], v[24:25], 0, s[8:9]
	s_cbranch_scc1 .LBB92_32
; %bb.31:                               ;   in Loop: Header=BB92_24 Depth=1
	v_mov_b64_e32 v[0:1], v[4:5]
	v_mov_b64_e32 v[18:19], v[42:43]
	;; [unrolled: 1-line block ×3, first 2 shown]
	v_lshl_add_u64 v[4:5], s[22:23], 0, v[30:31]
	global_load_dwordx2 v[40:41], v[4:5], off
	s_and_saveexec_b64 s[12:13], s[18:19]
	s_cbranch_execnz .LBB92_23
	s_branch .LBB92_24
.LBB92_32:
	v_mov_b32_e32 v5, v15
.LBB92_33:
	s_waitcnt vmcnt(1)
	v_lshlrev_b32_e32 v0, 3, v5
	ds_write_b64 v0, v[26:27] offset:4096
	v_lshlrev_b32_e32 v0, 3, v45
	ds_write_b64 v0, v[28:29] offset:4096
	s_waitcnt lgkmcnt(0)
	s_barrier
	s_and_b64 exec, exec, s[6:7]
	s_cbranch_execz .LBB92_36
; %bb.34:
	s_cmp_lt_u32 s2, s35
	v_cmp_gt_i32_e32 vcc, s33, v44
	s_cselect_b64 s[0:1], -1, 0
	s_or_b64 s[0:1], vcc, s[0:1]
	s_and_b64 exec, exec, s[0:1]
	s_cbranch_execz .LBB92_36
; %bb.35:
	v_lshlrev_b32_e32 v15, 4, v44
	v_add_u32_e32 v1, 1, v44
	v_and_or_b32 v1, v1, 15, v15
	s_waitcnt vmcnt(0)
	v_lshlrev_b32_e32 v2, 3, v1
	v_add_u32_e32 v1, 2, v44
	v_or_b32_e32 v14, v14, v15
	v_and_or_b32 v1, v1, 15, v15
	v_lshlrev_b32_e32 v0, 3, v14
	v_lshlrev_b32_e32 v4, 3, v1
	v_add_u32_e32 v1, 3, v44
	v_and_or_b32 v6, v1, 15, v15
	ds_read_b64 v[0:1], v0 offset:4096
	ds_read_b64 v[2:3], v2 offset:4096
	;; [unrolled: 1-line block ×3, first 2 shown]
	v_lshlrev_b32_e32 v6, 3, v6
	ds_read_b64 v[6:7], v6 offset:4096
	s_waitcnt lgkmcnt(3)
	v_add_f64 v[0:1], v[0:1], 0
	s_waitcnt lgkmcnt(2)
	v_add_f64 v[0:1], v[0:1], v[2:3]
	v_add_u32_e32 v3, 5, v44
	v_and_or_b32 v3, v3, 15, v15
	s_waitcnt lgkmcnt(1)
	v_add_f64 v[0:1], v[0:1], v[4:5]
	v_lshlrev_b32_e32 v4, 3, v3
	v_add_u32_e32 v3, 6, v44
	v_and_or_b32 v3, v3, 15, v15
	v_add_u32_e32 v2, 4, v44
	v_lshlrev_b32_e32 v8, 3, v3
	v_add_u32_e32 v3, 7, v44
	v_and_or_b32 v2, v2, 15, v15
	v_and_or_b32 v3, v3, 15, v15
	v_lshlrev_b32_e32 v2, 3, v2
	v_lshlrev_b32_e32 v10, 3, v3
	ds_read_b64 v[2:3], v2 offset:4096
	ds_read_b64 v[4:5], v4 offset:4096
	;; [unrolled: 1-line block ×4, first 2 shown]
	s_waitcnt lgkmcnt(4)
	v_add_f64 v[0:1], v[0:1], v[6:7]
	s_waitcnt lgkmcnt(3)
	v_add_f64 v[0:1], v[0:1], v[2:3]
	v_add_u32_e32 v3, 9, v44
	v_and_or_b32 v3, v3, 15, v15
	s_waitcnt lgkmcnt(2)
	v_add_f64 v[0:1], v[0:1], v[4:5]
	v_lshlrev_b32_e32 v4, 3, v3
	v_add_u32_e32 v3, 10, v44
	v_xor_b32_e32 v2, 8, v14
	v_and_or_b32 v3, v3, 15, v15
	v_lshlrev_b32_e32 v2, 3, v2
	v_lshlrev_b32_e32 v6, 3, v3
	v_add_u32_e32 v3, 11, v44
	s_waitcnt lgkmcnt(1)
	v_add_f64 v[0:1], v[0:1], v[8:9]
	v_and_or_b32 v8, v3, 15, v15
	ds_read_b64 v[2:3], v2 offset:4096
	ds_read_b64 v[4:5], v4 offset:4096
	;; [unrolled: 1-line block ×3, first 2 shown]
	s_waitcnt lgkmcnt(3)
	v_add_f64 v[0:1], v[0:1], v[10:11]
	v_lshlrev_b32_e32 v8, 3, v8
	s_waitcnt lgkmcnt(2)
	v_add_f64 v[0:1], v[0:1], v[2:3]
	v_add_u32_e32 v3, 13, v44
	v_and_or_b32 v3, v3, 15, v15
	s_waitcnt lgkmcnt(1)
	v_add_f64 v[0:1], v[0:1], v[4:5]
	v_lshlrev_b32_e32 v4, 3, v3
	v_add_u32_e32 v3, 14, v44
	ds_read_b64 v[8:9], v8 offset:4096
	v_and_or_b32 v3, v3, 15, v15
	s_waitcnt lgkmcnt(1)
	v_add_f64 v[0:1], v[0:1], v[6:7]
	v_add_u32_e32 v2, 12, v44
	v_lshlrev_b32_e32 v6, 3, v3
	v_add_u32_e32 v3, -1, v44
	s_mul_i32 s0, s20, s11
	s_mul_hi_u32 s1, s20, s10
	v_and_or_b32 v2, v2, 15, v15
	v_and_or_b32 v3, v3, 15, v15
	s_add_i32 s0, s1, s0
	s_mul_i32 s1, s21, s10
	v_lshlrev_b32_e32 v2, 3, v2
	v_lshlrev_b32_e32 v10, 3, v3
	s_add_i32 s1, s0, s1
	s_mul_i32 s0, s20, s10
	ds_read_b64 v[2:3], v2 offset:4096
	ds_read_b64 v[4:5], v4 offset:4096
	;; [unrolled: 1-line block ×4, first 2 shown]
	s_lshl_b64 s[0:1], s[0:1], 3
	s_waitcnt lgkmcnt(4)
	v_add_f64 v[0:1], v[0:1], v[8:9]
	s_add_u32 s0, s3, s0
	s_waitcnt lgkmcnt(3)
	v_add_f64 v[0:1], v[0:1], v[2:3]
	v_mad_u64_u32 v[2:3], s[2:3], v44, s10, 0
	s_waitcnt lgkmcnt(2)
	v_add_f64 v[0:1], v[0:1], v[4:5]
	v_mov_b32_e32 v4, v3
	s_waitcnt lgkmcnt(1)
	v_add_f64 v[0:1], v[0:1], v[6:7]
	v_mad_u64_u32 v[4:5], s[2:3], v44, s11, v[4:5]
	s_addc_u32 s1, s30, s1
	s_waitcnt lgkmcnt(0)
	v_add_f64 v[0:1], v[0:1], v[10:11]
	v_mov_b32_e32 v3, v4
	v_lshl_add_u64 v[2:3], v[2:3], 3, s[0:1]
	v_mul_f64 v[0:1], v[12:13], v[0:1]
	global_atomic_add_f64 v[2:3], v[0:1], off
.LBB92_36:
	s_endpgm
	.section	.rodata,"a",@progbits
	.p2align	6, 0x0
	.amdhsa_kernel _ZL62rocblas_symv_kernel_upper_double_buffered_non_diagonal_genericILi32ELi8ELi2ELi0E24rocblas_internal_val_ptrIdEPKdPdEvbiT3_lT4_lllS6_lllT5_lllii
		.amdhsa_group_segment_fixed_size 8448
		.amdhsa_private_segment_fixed_size 0
		.amdhsa_kernarg_size 384
		.amdhsa_user_sgpr_count 2
		.amdhsa_user_sgpr_dispatch_ptr 0
		.amdhsa_user_sgpr_queue_ptr 0
		.amdhsa_user_sgpr_kernarg_segment_ptr 1
		.amdhsa_user_sgpr_dispatch_id 0
		.amdhsa_user_sgpr_kernarg_preload_length 0
		.amdhsa_user_sgpr_kernarg_preload_offset 0
		.amdhsa_user_sgpr_private_segment_size 0
		.amdhsa_uses_dynamic_stack 0
		.amdhsa_enable_private_segment 0
		.amdhsa_system_sgpr_workgroup_id_x 1
		.amdhsa_system_sgpr_workgroup_id_y 1
		.amdhsa_system_sgpr_workgroup_id_z 1
		.amdhsa_system_sgpr_workgroup_info 0
		.amdhsa_system_vgpr_workitem_id 1
		.amdhsa_next_free_vgpr 62
		.amdhsa_next_free_sgpr 38
		.amdhsa_accum_offset 64
		.amdhsa_reserve_vcc 1
		.amdhsa_float_round_mode_32 0
		.amdhsa_float_round_mode_16_64 0
		.amdhsa_float_denorm_mode_32 3
		.amdhsa_float_denorm_mode_16_64 3
		.amdhsa_dx10_clamp 1
		.amdhsa_ieee_mode 1
		.amdhsa_fp16_overflow 0
		.amdhsa_tg_split 0
		.amdhsa_exception_fp_ieee_invalid_op 0
		.amdhsa_exception_fp_denorm_src 0
		.amdhsa_exception_fp_ieee_div_zero 0
		.amdhsa_exception_fp_ieee_overflow 0
		.amdhsa_exception_fp_ieee_underflow 0
		.amdhsa_exception_fp_ieee_inexact 0
		.amdhsa_exception_int_div_zero 0
	.end_amdhsa_kernel
	.section	.text._ZL62rocblas_symv_kernel_upper_double_buffered_non_diagonal_genericILi32ELi8ELi2ELi0E24rocblas_internal_val_ptrIdEPKdPdEvbiT3_lT4_lllS6_lllT5_lllii,"axG",@progbits,_ZL62rocblas_symv_kernel_upper_double_buffered_non_diagonal_genericILi32ELi8ELi2ELi0E24rocblas_internal_val_ptrIdEPKdPdEvbiT3_lT4_lllS6_lllT5_lllii,comdat
.Lfunc_end92:
	.size	_ZL62rocblas_symv_kernel_upper_double_buffered_non_diagonal_genericILi32ELi8ELi2ELi0E24rocblas_internal_val_ptrIdEPKdPdEvbiT3_lT4_lllS6_lllT5_lllii, .Lfunc_end92-_ZL62rocblas_symv_kernel_upper_double_buffered_non_diagonal_genericILi32ELi8ELi2ELi0E24rocblas_internal_val_ptrIdEPKdPdEvbiT3_lT4_lllS6_lllT5_lllii
                                        ; -- End function
	.section	.AMDGPU.csdata,"",@progbits
; Kernel info:
; codeLenInByte = 2752
; NumSgprs: 44
; NumVgprs: 62
; NumAgprs: 0
; TotalNumVgprs: 62
; ScratchSize: 0
; MemoryBound: 0
; FloatMode: 240
; IeeeMode: 1
; LDSByteSize: 8448 bytes/workgroup (compile time only)
; SGPRBlocks: 5
; VGPRBlocks: 7
; NumSGPRsForWavesPerEU: 44
; NumVGPRsForWavesPerEU: 62
; AccumOffset: 64
; Occupancy: 7
; WaveLimiterHint : 0
; COMPUTE_PGM_RSRC2:SCRATCH_EN: 0
; COMPUTE_PGM_RSRC2:USER_SGPR: 2
; COMPUTE_PGM_RSRC2:TRAP_HANDLER: 0
; COMPUTE_PGM_RSRC2:TGID_X_EN: 1
; COMPUTE_PGM_RSRC2:TGID_Y_EN: 1
; COMPUTE_PGM_RSRC2:TGID_Z_EN: 1
; COMPUTE_PGM_RSRC2:TIDIG_COMP_CNT: 1
; COMPUTE_PGM_RSRC3_GFX90A:ACCUM_OFFSET: 15
; COMPUTE_PGM_RSRC3_GFX90A:TG_SPLIT: 0
	.section	.text._ZL62rocblas_symv_kernel_upper_double_buffered_non_diagonal_genericILi32ELi8ELi2ELi1E24rocblas_internal_val_ptrIdEPKdPdEvbiT3_lT4_lllS6_lllT5_lllii,"axG",@progbits,_ZL62rocblas_symv_kernel_upper_double_buffered_non_diagonal_genericILi32ELi8ELi2ELi1E24rocblas_internal_val_ptrIdEPKdPdEvbiT3_lT4_lllS6_lllT5_lllii,comdat
	.globl	_ZL62rocblas_symv_kernel_upper_double_buffered_non_diagonal_genericILi32ELi8ELi2ELi1E24rocblas_internal_val_ptrIdEPKdPdEvbiT3_lT4_lllS6_lllT5_lllii ; -- Begin function _ZL62rocblas_symv_kernel_upper_double_buffered_non_diagonal_genericILi32ELi8ELi2ELi1E24rocblas_internal_val_ptrIdEPKdPdEvbiT3_lT4_lllS6_lllT5_lllii
	.p2align	8
	.type	_ZL62rocblas_symv_kernel_upper_double_buffered_non_diagonal_genericILi32ELi8ELi2ELi1E24rocblas_internal_val_ptrIdEPKdPdEvbiT3_lT4_lllS6_lllT5_lllii,@function
_ZL62rocblas_symv_kernel_upper_double_buffered_non_diagonal_genericILi32ELi8ELi2ELi1E24rocblas_internal_val_ptrIdEPKdPdEvbiT3_lT4_lllS6_lllT5_lllii: ; @_ZL62rocblas_symv_kernel_upper_double_buffered_non_diagonal_genericILi32ELi8ELi2ELi1E24rocblas_internal_val_ptrIdEPKdPdEvbiT3_lT4_lllS6_lllT5_lllii
; %bb.0:
	s_load_dword s5, s[0:1], 0x0
	s_load_dwordx16 s[8:23], s[0:1], 0x8
	s_waitcnt lgkmcnt(0)
	s_bitcmp1_b32 s5, 0
	s_cselect_b64 s[6:7], -1, 0
	s_and_b64 vcc, exec, s[6:7]
	v_mov_b64_e32 v[12:13], s[8:9]
	s_cbranch_vccnz .LBB93_2
; %bb.1:
	s_mul_i32 s5, s4, s11
	s_mul_hi_u32 s6, s4, s10
	s_add_i32 s7, s6, s5
	s_mul_i32 s6, s4, s10
	s_lshl_b64 s[6:7], s[6:7], 3
	s_add_u32 s6, s8, s6
	s_addc_u32 s7, s9, s7
	v_mov_b64_e32 v[2:3], s[6:7]
	flat_load_dwordx2 v[12:13], v[2:3]
.LBB93_2:
	s_waitcnt vmcnt(0) lgkmcnt(0)
	v_cmp_neq_f64_e32 vcc, 0, v[12:13]
	s_and_saveexec_b64 s[6:7], vcc
	s_cbranch_execz .LBB93_60
; %bb.3:
	s_load_dword s8, s[0:1], 0x84
	s_add_u32 s6, s0, 0x80
	s_addc_u32 s7, s1, 0
	s_cmp_eq_u32 s2, 0
	s_waitcnt lgkmcnt(0)
	v_cvt_f32_u32_e32 v1, s8
	v_rcp_iflag_f32_e32 v1, v1
	s_nop 0
	v_mul_f32_e32 v1, 0x4f7ffffe, v1
	v_cvt_u32_f32_e32 v1, v1
	s_nop 0
	v_readfirstlane_b32 s5, v1
	s_cbranch_scc1 .LBB93_60
; %bb.4:
	s_sub_i32 s9, 0, s8
	s_mul_i32 s9, s9, s5
	s_mul_hi_u32 s9, s5, s9
	s_add_i32 s5, s5, s9
	s_mul_hi_u32 s5, s2, s5
	s_mul_i32 s9, s5, s8
	s_sub_i32 s9, s2, s9
	s_add_i32 s10, s5, 1
	s_sub_i32 s11, s9, s8
	s_cmp_ge_u32 s9, s8
	s_cselect_b32 s5, s10, s5
	s_cselect_b32 s9, s11, s9
	s_add_i32 s10, s5, 1
	s_cmp_ge_u32 s9, s8
	s_cselect_b32 s5, s10, s5
	s_add_i32 s9, s8, -1
	s_cmp_lg_u32 s3, s9
	s_mov_b32 s33, s5
	s_cbranch_scc1 .LBB93_6
; %bb.5:
	s_mul_i32 s8, s5, s8
	s_sub_i32 s8, s2, s8
	s_add_i32 s33, s8, s5
.LBB93_6:
	s_cmp_eq_u32 s33, 0
	s_cbranch_scc1 .LBB93_60
; %bb.7:
	s_load_dwordx4 s[24:27], s[0:1], 0x48
	s_load_dword s38, s[6:7], 0x0
	v_and_b32_e32 v44, 0x3ff, v0
	v_bfe_u32 v0, v0, 10, 10
	v_lshl_add_u32 v6, v0, 5, v44
	s_waitcnt lgkmcnt(0)
	s_mul_i32 s9, s4, s27
	s_mul_hi_u32 s10, s4, s26
	s_mul_i32 s8, s4, s26
	s_add_i32 s9, s10, s9
	s_lshl_b64 s[8:9], s[8:9], 3
	s_add_u32 s10, s20, s8
	s_addc_u32 s11, s21, s9
	s_lshl_b64 s[8:9], s[22:23], 3
	s_add_u32 s28, s10, s8
	s_addc_u32 s29, s11, s9
	s_lshl_b32 s26, s2, 5
	s_ashr_i32 s27, s26, 31
	s_mul_i32 s8, s26, s25
	s_mul_hi_u32 s9, s26, s24
	s_add_i32 s8, s9, s8
	s_mul_i32 s9, s27, s24
	s_add_i32 s9, s8, s9
	s_mul_i32 s8, s26, s24
	s_lshl_b64 s[6:7], s[8:9], 3
	s_add_u32 s8, s28, s6
	s_addc_u32 s9, s29, s7
	s_add_i32 s38, s38, -1
	s_cmp_lg_u32 s2, s38
	s_cselect_b64 s[6:7], -1, 0
	v_cmp_eq_u32_e64 s[10:11], 0, v0
	s_mov_b64 s[20:21], -1
	s_and_b64 vcc, exec, s[6:7]
	s_cbranch_vccz .LBB93_11
; %bb.8:
	s_and_saveexec_b64 s[20:21], s[10:11]
	s_cbranch_execz .LBB93_10
; %bb.9:
	v_mad_u64_u32 v[0:1], s[22:23], v44, s24, 0
	v_mov_b32_e32 v2, v1
	v_mad_u64_u32 v[2:3], s[22:23], v44, s25, v[2:3]
	v_mov_b32_e32 v1, v2
	v_lshl_add_u64 v[0:1], v[0:1], 3, s[8:9]
	global_load_dwordx2 v[0:1], v[0:1], off
	v_lshlrev_b32_e32 v2, 3, v44
	s_waitcnt vmcnt(0)
	ds_write_b64 v2, v[0:1] offset:8192
.LBB93_10:
	s_or_b64 exec, exec, s[20:21]
	s_mov_b64 s[20:21], 0
.LBB93_11:
	s_load_dword s39, s[0:1], 0x78
	v_and_b32_e32 v14, 15, v44
	s_andn2_b64 vcc, exec, s[20:21]
	v_lshrrev_b32_e32 v7, 4, v6
	s_cbranch_vccnz .LBB93_17
; %bb.12:
	s_and_saveexec_b64 s[20:21], s[10:11]
	s_cbranch_execz .LBB93_16
; %bb.13:
	s_waitcnt lgkmcnt(0)
	v_cmp_gt_i32_e32 vcc, s39, v44
	v_mov_b64_e32 v[0:1], 0
	s_and_saveexec_b64 s[22:23], vcc
	s_cbranch_execz .LBB93_15
; %bb.14:
	v_mad_u64_u32 v[0:1], s[30:31], v44, s24, 0
	v_mov_b32_e32 v2, v1
	v_mad_u64_u32 v[2:3], s[30:31], v44, s25, v[2:3]
	v_mov_b32_e32 v1, v2
	v_lshl_add_u64 v[0:1], v[0:1], 3, s[8:9]
	global_load_dwordx2 v[0:1], v[0:1], off
.LBB93_15:
	s_or_b64 exec, exec, s[22:23]
	v_lshlrev_b32_e32 v2, 3, v44
	s_waitcnt vmcnt(0)
	ds_write_b64 v2, v[0:1] offset:8192
.LBB93_16:
	s_or_b64 exec, exec, s[20:21]
	s_mov_b32 s8, 0
	v_lshlrev_b32_e32 v0, 3, v14
	s_mov_b32 s9, s8
	v_lshl_or_b32 v2, v7, 8, v0
	v_mov_b64_e32 v[0:1], s[8:9]
	ds_write2_b64 v2, v[0:1], v[0:1] offset1:16
	v_add_u32_e32 v2, 0x1000, v2
	ds_write2_b64 v2, v[0:1], v[0:1] offset1:16
.LBB93_17:
	s_waitcnt lgkmcnt(0)
	s_lshr_b32 s8, s39, 31
	s_add_i32 s8, s39, s8
	s_ashr_i32 s40, s8, 1
	s_mul_i32 s8, s4, s19
	s_mul_hi_u32 s9, s4, s18
	s_add_i32 s9, s9, s8
	s_mul_i32 s8, s4, s18
	s_lshl_b64 s[18:19], s[8:9], 3
	s_add_u32 s8, s12, s18
	s_addc_u32 s9, s13, s19
	s_lshl_b64 s[34:35], s[14:15], 3
	s_add_u32 s14, s8, s34
	s_addc_u32 s15, s9, s35
	s_mul_i32 s8, s26, s17
	s_mul_hi_u32 s9, s26, s16
	s_add_i32 s8, s9, s8
	s_mul_i32 s9, s27, s16
	s_add_i32 s9, s8, s9
	s_mul_i32 s8, s26, s16
	s_lshl_b64 s[8:9], s[8:9], 3
	s_add_u32 s8, s14, s8
	s_mul_i32 s3, s3, s5
	s_addc_u32 s9, s15, s9
	s_lshl_b32 s14, s3, 5
	s_ashr_i32 s15, s14, 31
	s_lshl_b64 s[30:31], s[14:15], 3
	s_add_u32 s20, s8, s30
	v_lshlrev_b32_e32 v8, 1, v7
	v_mov_b32_e32 v15, 0
	s_load_dwordx2 s[36:37], s[0:1], 0x58
	s_addc_u32 s21, s9, s31
	v_mad_u64_u32 v[4:5], s[8:9], v8, s16, v[14:15]
	v_mov_b32_e32 v0, v5
	v_mad_u64_u32 v[0:1], s[8:9], v8, s17, v[0:1]
	v_cndmask_b32_e64 v1, 0, 1, s[6:7]
	v_cmp_ne_u32_e64 s[8:9], 1, v1
	s_andn2_b64 vcc, exec, s[6:7]
	v_mov_b32_e32 v5, v0
	s_waitcnt lgkmcnt(0)
	s_barrier
	s_cbranch_vccnz .LBB93_19
; %bb.18:
	v_lshl_add_u64 v[10:11], v[4:5], 3, s[20:21]
	v_lshl_add_u64 v[16:17], s[16:17], 3, v[10:11]
	global_load_dwordx2 v[0:1], v[10:11], off
	global_load_dwordx2 v[2:3], v[16:17], off
	v_cmp_le_i32_e64 s[6:7], s40, v7
	s_cbranch_execz .LBB93_20
	s_branch .LBB93_27
.LBB93_19:
                                        ; implicit-def: $vgpr0_vgpr1_vgpr2_vgpr3
	v_cmp_le_i32_e64 s[6:7], s40, v7
.LBB93_20:
                                        ; implicit-def: $vgpr0_vgpr1_vgpr2_vgpr3
	s_and_saveexec_b64 s[22:23], s[6:7]
	s_xor_b64 s[6:7], exec, s[22:23]
	s_cbranch_execz .LBB93_24
; %bb.21:
	s_mov_b32 s44, 0
	s_mov_b32 s45, s44
	;; [unrolled: 1-line block ×4, first 2 shown]
	s_waitcnt vmcnt(0)
	v_mov_b64_e32 v[0:1], s[44:45]
	v_cmp_eq_u32_e32 vcc, s40, v7
	v_mov_b64_e32 v[2:3], s[46:47]
	s_and_saveexec_b64 s[22:23], vcc
	s_cbranch_execz .LBB93_23
; %bb.22:
	v_lshl_add_u64 v[0:1], v[4:5], 3, s[20:21]
	global_load_dwordx2 v[0:1], v[0:1], off
	v_mov_b32_e32 v2, 0
	v_mov_b32_e32 v3, v2
.LBB93_23:
	s_or_b64 exec, exec, s[22:23]
                                        ; implicit-def: $vgpr4_vgpr5
.LBB93_24:
	s_andn2_saveexec_b64 s[6:7], s[6:7]
	s_cbranch_execz .LBB93_26
; %bb.25:
	v_lshl_add_u64 v[4:5], v[4:5], 3, s[20:21]
	v_lshl_add_u64 v[10:11], s[16:17], 3, v[4:5]
	global_load_dwordx2 v[0:1], v[4:5], off
	global_load_dwordx2 v[2:3], v[10:11], off
.LBB93_26:
	s_or_b64 exec, exec, s[6:7]
.LBB93_27:
	s_load_dwordx2 s[6:7], s[0:1], 0x70
	s_load_dwordx4 s[20:23], s[0:1], 0x60
	v_lshl_or_b32 v15, v7, 5, v14
	s_waitcnt lgkmcnt(0)
	s_mul_i32 s1, s4, s7
	s_mul_hi_u32 s3, s4, s6
	s_mul_i32 s0, s4, s6
	s_add_i32 s1, s3, s1
	s_lshl_b64 s[0:1], s[0:1], 3
	s_add_u32 s3, s36, s0
	s_addc_u32 s4, s37, s1
	s_lshl_b64 s[0:1], s[20:21], 3
	s_add_u32 s3, s3, s0
	s_addc_u32 s20, s4, s1
	s_cmp_gt_i32 s33, 0
	s_cbranch_scc1 .LBB93_29
; %bb.28:
	v_lshl_or_b32 v4, v7, 5, v14
	v_or_b32_e32 v45, 16, v4
	s_mov_b64 s[4:5], 0
	v_mov_b64_e32 v[28:29], s[4:5]
	v_mov_b64_e32 v[26:27], s[4:5]
	s_cbranch_execz .LBB93_30
	s_branch .LBB93_57
.LBB93_29:
                                        ; implicit-def: $sgpr4_sgpr5
                                        ; implicit-def: $vgpr4
                                        ; implicit-def: $vgpr45
	v_mov_b64_e32 v[28:29], s[4:5]
	v_mov_b64_e32 v[26:27], s[4:5]
.LBB93_30:
	v_mad_u64_u32 v[4:5], s[0:1], v14, s24, 0
	v_mov_b32_e32 v10, v5
	v_mad_u64_u32 v[10:11], s[0:1], v14, s25, v[10:11]
	s_mul_i32 s0, s14, s25
	s_mul_hi_u32 s1, s14, s24
	s_add_i32 s0, s1, s0
	s_mul_i32 s1, s15, s24
	s_add_i32 s1, s0, s1
	s_mul_i32 s0, s14, s24
	s_lshl_b64 s[0:1], s[0:1], 3
	s_add_u32 s0, s28, s0
	v_mov_b32_e32 v5, v10
	s_addc_u32 s1, s29, s1
	v_lshl_add_u64 v[4:5], v[4:5], 3, s[0:1]
	global_load_dwordx2 v[18:19], v[4:5], off
	s_mul_i32 s0, s14, s23
	s_mul_hi_u32 s1, s14, s22
	s_add_i32 s0, s1, s0
	s_mul_i32 s1, s15, s22
	s_add_i32 s1, s0, s1
	s_mul_i32 s0, s14, s22
	v_mad_u64_u32 v[16:17], s[14:15], v44, s22, 0
	s_lshl_b64 s[0:1], s[0:1], 3
	v_mov_b32_e32 v4, v17
	s_add_u32 s36, s3, s0
	v_mad_u64_u32 v[4:5], s[14:15], v44, s23, v[4:5]
	s_addc_u32 s37, s20, s1
	s_lshl_b64 s[4:5], s[24:25], 8
	s_lshl_b64 s[14:15], s[22:23], 8
	s_add_u32 s12, s12, s30
	s_addc_u32 s13, s13, s31
	s_add_u32 s12, s12, s34
	s_addc_u32 s13, s13, s35
	v_mov_b32_e32 v17, v4
	v_mov_b32_e32 v4, 0x2000
	;; [unrolled: 1-line block ×3, first 2 shown]
	s_add_u32 s12, s12, s18
	v_lshl_add_u32 v47, v8, 3, v4
	v_and_b32_e32 v4, 0xfff0, v6
	v_mov_b32_e32 v5, v21
	s_addc_u32 s13, s13, s19
	v_cmp_le_i32_e64 s[0:1], s40, v7
	v_cmp_eq_u32_e64 s[6:7], s40, v7
	v_lshl_add_u64 v[4:5], s[26:27], 3, v[4:5]
	v_mov_b64_e32 v[6:7], s[12:13]
	v_mad_u64_u32 v[22:23], s[12:13], s16, v4, v[6:7]
	v_mul_lo_u32 v8, s16, v5
	v_mul_lo_u32 v9, s17, v4
	v_lshl_add_u64 v[4:5], v[4:5], 0, 8
	v_lshlrev_b32_e32 v20, 3, v14
	v_mad_u64_u32 v[24:25], s[12:13], s16, v4, v[6:7]
	v_mul_lo_u32 v5, s16, v5
	v_mul_lo_u32 v4, s17, v4
	v_add3_u32 v25, v4, v25, v5
	v_lshl_add_u64 v[4:5], s[30:31], 0, v[20:21]
	s_mov_b64 s[12:13], 0x80
	v_lshl_add_u64 v[6:7], v[4:5], 0, s[12:13]
	v_mad_u64_u32 v[30:31], s[12:13], s24, v6, 0
	s_mov_b64 s[12:13], 0x100
	s_nop 0
	v_lshl_add_u64 v[4:5], v[4:5], 0, s[12:13]
	v_add3_u32 v23, v9, v23, v8
	v_mul_lo_u32 v8, s25, v6
	v_mul_lo_u32 v7, s24, v7
	;; [unrolled: 1-line block ×4, first 2 shown]
	v_mad_u64_u32 v[32:33], s[16:17], s24, v4, 0
	v_mov_b64_e32 v[26:27], 0
	v_lshlrev_b32_e32 v46, 3, v15
	v_or_b32_e32 v45, 16, v15
	v_lshlrev_b32_e32 v48, 3, v44
	v_add3_u32 v31, v31, v7, v8
	v_add3_u32 v33, v33, v5, v6
	v_mov_b64_e32 v[34:35], s[36:37]
	v_mov_b64_e32 v[28:29], v[26:27]
	;; [unrolled: 1-line block ×4, first 2 shown]
	v_lshl_add_u64 v[8:9], s[28:29], 0, v[30:31]
	global_load_dwordx2 v[36:37], v[8:9], off
	s_and_b64 vcc, exec, s[8:9]
	s_cbranch_vccnz .LBB93_32
.LBB93_31:
	v_lshl_add_u64 v[8:9], v[22:23], 0, v[20:21]
	global_load_dwordx2 v[38:39], v[8:9], off offset:128
	v_lshl_add_u64 v[8:9], v[24:25], 0, v[20:21]
	global_load_dwordx2 v[40:41], v[8:9], off offset:128
	s_cbranch_execz .LBB93_33
	s_branch .LBB93_40
.LBB93_32:
                                        ; implicit-def: $vgpr40_vgpr41
                                        ; implicit-def: $vgpr38_vgpr39
.LBB93_33:
	s_and_saveexec_b64 s[16:17], s[0:1]
	s_xor_b64 s[16:17], exec, s[16:17]
	s_cbranch_execz .LBB93_37
; %bb.34:
	s_and_saveexec_b64 s[18:19], s[6:7]
	s_cbranch_execz .LBB93_36
; %bb.35:
	v_lshl_add_u64 v[4:5], v[22:23], 0, v[20:21]
	global_load_dwordx2 v[4:5], v[4:5], off offset:128
.LBB93_36:
	s_or_b64 exec, exec, s[18:19]
.LBB93_37:
	s_andn2_saveexec_b64 s[16:17], s[16:17]
	s_cbranch_execz .LBB93_39
; %bb.38:
	s_waitcnt vmcnt(0)
	v_lshl_add_u64 v[4:5], v[22:23], 0, v[20:21]
	v_lshl_add_u64 v[6:7], v[24:25], 0, v[20:21]
	global_load_dwordx2 v[4:5], v[4:5], off offset:128
	s_nop 0
	global_load_dwordx2 v[6:7], v[6:7], off offset:128
.LBB93_39:
	s_or_b64 exec, exec, s[16:17]
	s_waitcnt vmcnt(0)
	v_mov_b64_e32 v[38:39], v[4:5]
	v_mov_b64_e32 v[40:41], v[6:7]
.LBB93_40:
	ds_read_b128 v[8:11], v47
	s_waitcnt vmcnt(2)
	v_mov_b64_e32 v[6:7], v[2:3]
	s_cmp_eq_u32 s33, 1
	s_waitcnt vmcnt(1)
	v_mov_b64_e32 v[42:43], v[18:19]
	v_mov_b64_e32 v[4:5], v[0:1]
	s_cbranch_scc1 .LBB93_52
; %bb.41:
	s_and_b64 vcc, exec, s[8:9]
	s_cbranch_vccnz .LBB93_43
; %bb.42:
	v_lshl_add_u64 v[4:5], v[22:23], 0, v[20:21]
	v_lshl_add_u64 v[6:7], v[24:25], 0, v[20:21]
	global_load_dwordx2 v[4:5], v[4:5], off offset:256
	s_nop 0
	global_load_dwordx2 v[6:7], v[6:7], off offset:256
	s_cbranch_execz .LBB93_44
	s_branch .LBB93_51
.LBB93_43:
                                        ; implicit-def: $vgpr4_vgpr5_vgpr6_vgpr7
.LBB93_44:
                                        ; implicit-def: $vgpr4_vgpr5_vgpr6_vgpr7
	s_and_saveexec_b64 s[16:17], s[0:1]
	s_xor_b64 s[16:17], exec, s[16:17]
	s_cbranch_execz .LBB93_48
; %bb.45:
	s_waitcnt vmcnt(0)
	v_mov_b64_e32 v[6:7], v[2:3]
	v_mov_b64_e32 v[4:5], v[0:1]
	s_and_saveexec_b64 s[18:19], s[6:7]
	s_cbranch_execz .LBB93_47
; %bb.46:
	v_lshl_add_u64 v[4:5], v[22:23], 0, v[20:21]
	global_load_dwordx2 v[42:43], v[4:5], off offset:256
	v_mov_b64_e32 v[6:7], v[2:3]
	v_mov_b64_e32 v[4:5], v[0:1]
	s_waitcnt vmcnt(0)
	v_mov_b32_e32 v4, v42
	v_mov_b32_e32 v5, v43
.LBB93_47:
	s_or_b64 exec, exec, s[18:19]
.LBB93_48:
	s_andn2_saveexec_b64 s[16:17], s[16:17]
	s_cbranch_execz .LBB93_50
; %bb.49:
	s_waitcnt vmcnt(1)
	v_lshl_add_u64 v[4:5], v[22:23], 0, v[20:21]
	s_waitcnt vmcnt(0)
	v_lshl_add_u64 v[6:7], v[24:25], 0, v[20:21]
	global_load_dwordx2 v[4:5], v[4:5], off offset:256
	s_nop 0
	global_load_dwordx2 v[6:7], v[6:7], off offset:256
.LBB93_50:
	s_or_b64 exec, exec, s[16:17]
.LBB93_51:
	v_lshl_add_u64 v[42:43], s[28:29], 0, v[32:33]
	global_load_dwordx2 v[42:43], v[42:43], off
.LBB93_52:
	s_waitcnt lgkmcnt(0)
	v_fma_f64 v[50:51], v[0:1], v[8:9], 0
	s_waitcnt vmcnt(1)
	v_fma_f64 v[8:9], v[38:39], v[8:9], 0
	v_fmac_f64_e32 v[50:51], v[2:3], v[10:11]
	s_waitcnt vmcnt(0)
	v_fmac_f64_e32 v[8:9], v[40:41], v[10:11]
	s_barrier
	ds_write2_b64 v46, v[50:51], v[8:9] offset1:16
	s_waitcnt lgkmcnt(0)
	s_barrier
	s_and_saveexec_b64 s[16:17], s[10:11]
	s_cbranch_execz .LBB93_54
; %bb.53:
	ds_read2_b64 v[8:11], v48 offset1:32
	ds_read2_b64 v[50:53], v48 offset0:64 offset1:96
	ds_read2_b64 v[54:57], v48 offset0:128 offset1:160
	;; [unrolled: 1-line block ×3, first 2 shown]
	v_add_u32_e32 v49, 0x800, v48
	s_waitcnt lgkmcnt(3)
	v_add_f64 v[8:9], v[8:9], 0
	v_add_f64 v[8:9], v[8:9], v[10:11]
	s_waitcnt lgkmcnt(2)
	v_add_f64 v[8:9], v[8:9], v[50:51]
	v_add_f64 v[8:9], v[8:9], v[52:53]
	s_waitcnt lgkmcnt(1)
	v_add_f64 v[50:51], v[8:9], v[54:55]
	ds_read2_b64 v[8:11], v49 offset1:32
	v_add_f64 v[50:51], v[50:51], v[56:57]
	s_waitcnt lgkmcnt(1)
	v_add_f64 v[50:51], v[50:51], v[58:59]
	v_add_f64 v[54:55], v[50:51], v[60:61]
	ds_read2_b64 v[50:53], v49 offset0:64 offset1:96
	s_waitcnt lgkmcnt(1)
	v_add_f64 v[8:9], v[54:55], v[8:9]
	ds_read2_b64 v[54:57], v49 offset0:128 offset1:160
	v_add_f64 v[58:59], v[8:9], v[10:11]
	ds_read2_b64 v[8:11], v49 offset0:192 offset1:224
	s_waitcnt lgkmcnt(2)
	v_add_f64 v[50:51], v[58:59], v[50:51]
	v_add_f64 v[50:51], v[50:51], v[52:53]
	s_waitcnt lgkmcnt(1)
	v_add_f64 v[50:51], v[50:51], v[54:55]
	v_add_f64 v[50:51], v[50:51], v[56:57]
	;; [unrolled: 3-line block ×3, first 2 shown]
	v_lshl_add_u64 v[10:11], v[16:17], 3, v[34:35]
	v_mul_f64 v[8:9], v[12:13], v[8:9]
	global_atomic_add_f64 v[10:11], v[8:9], off
	v_lshl_add_u64 v[34:35], v[34:35], 0, s[14:15]
.LBB93_54:
	s_or_b64 exec, exec, s[16:17]
	s_add_i32 s33, s33, -1
	s_add_u32 s28, s28, s4
	v_fmac_f64_e32 v[26:27], v[18:19], v[0:1]
	v_fmac_f64_e32 v[28:29], v[18:19], v[2:3]
	s_addc_u32 s29, s29, s5
	v_fmac_f64_e32 v[26:27], v[36:37], v[38:39]
	v_fmac_f64_e32 v[28:29], v[36:37], v[40:41]
	v_lshl_add_u64 v[22:23], v[22:23], 0, s[12:13]
	s_cmp_eq_u32 s33, 0
	v_lshl_add_u64 v[24:25], v[24:25], 0, s[12:13]
	s_cbranch_scc1 .LBB93_56
; %bb.55:
	v_mov_b64_e32 v[0:1], v[4:5]
	v_mov_b64_e32 v[18:19], v[42:43]
	;; [unrolled: 1-line block ×5, first 2 shown]
	v_lshl_add_u64 v[8:9], s[28:29], 0, v[30:31]
	global_load_dwordx2 v[36:37], v[8:9], off
	s_and_b64 vcc, exec, s[8:9]
	s_cbranch_vccnz .LBB93_32
	s_branch .LBB93_31
.LBB93_56:
	v_mov_b32_e32 v4, v15
.LBB93_57:
	s_waitcnt vmcnt(0)
	v_lshlrev_b32_e32 v0, 3, v4
	ds_write_b64 v0, v[26:27] offset:4096
	v_lshlrev_b32_e32 v0, 3, v45
	ds_write_b64 v0, v[28:29] offset:4096
	s_waitcnt lgkmcnt(0)
	s_barrier
	s_and_b64 exec, exec, s[10:11]
	s_cbranch_execz .LBB93_60
; %bb.58:
	s_cmp_lt_u32 s2, s38
	v_cmp_gt_i32_e32 vcc, s39, v44
	s_cselect_b64 s[0:1], -1, 0
	s_or_b64 s[0:1], vcc, s[0:1]
	s_and_b64 exec, exec, s[0:1]
	s_cbranch_execz .LBB93_60
; %bb.59:
	v_lshlrev_b32_e32 v15, 4, v44
	v_add_u32_e32 v1, 1, v44
	v_and_or_b32 v1, v1, 15, v15
	v_lshlrev_b32_e32 v2, 3, v1
	v_add_u32_e32 v1, 2, v44
	v_or_b32_e32 v14, v14, v15
	v_and_or_b32 v1, v1, 15, v15
	v_lshlrev_b32_e32 v0, 3, v14
	v_lshlrev_b32_e32 v4, 3, v1
	v_add_u32_e32 v1, 3, v44
	v_and_or_b32 v6, v1, 15, v15
	ds_read_b64 v[0:1], v0 offset:4096
	ds_read_b64 v[2:3], v2 offset:4096
	;; [unrolled: 1-line block ×3, first 2 shown]
	v_lshlrev_b32_e32 v6, 3, v6
	ds_read_b64 v[6:7], v6 offset:4096
	s_waitcnt lgkmcnt(3)
	v_add_f64 v[0:1], v[0:1], 0
	s_waitcnt lgkmcnt(2)
	v_add_f64 v[0:1], v[0:1], v[2:3]
	v_add_u32_e32 v3, 5, v44
	v_and_or_b32 v3, v3, 15, v15
	s_waitcnt lgkmcnt(1)
	v_add_f64 v[0:1], v[0:1], v[4:5]
	v_lshlrev_b32_e32 v4, 3, v3
	v_add_u32_e32 v3, 6, v44
	v_and_or_b32 v3, v3, 15, v15
	v_add_u32_e32 v2, 4, v44
	v_lshlrev_b32_e32 v8, 3, v3
	v_add_u32_e32 v3, 7, v44
	v_and_or_b32 v2, v2, 15, v15
	v_and_or_b32 v3, v3, 15, v15
	v_lshlrev_b32_e32 v2, 3, v2
	v_lshlrev_b32_e32 v10, 3, v3
	ds_read_b64 v[2:3], v2 offset:4096
	ds_read_b64 v[4:5], v4 offset:4096
	;; [unrolled: 1-line block ×4, first 2 shown]
	s_waitcnt lgkmcnt(4)
	v_add_f64 v[0:1], v[0:1], v[6:7]
	s_waitcnt lgkmcnt(3)
	v_add_f64 v[0:1], v[0:1], v[2:3]
	v_add_u32_e32 v3, 9, v44
	v_and_or_b32 v3, v3, 15, v15
	s_waitcnt lgkmcnt(2)
	v_add_f64 v[0:1], v[0:1], v[4:5]
	v_lshlrev_b32_e32 v4, 3, v3
	v_add_u32_e32 v3, 10, v44
	v_xor_b32_e32 v2, 8, v14
	v_and_or_b32 v3, v3, 15, v15
	v_lshlrev_b32_e32 v2, 3, v2
	v_lshlrev_b32_e32 v6, 3, v3
	v_add_u32_e32 v3, 11, v44
	s_waitcnt lgkmcnt(1)
	v_add_f64 v[0:1], v[0:1], v[8:9]
	v_and_or_b32 v8, v3, 15, v15
	ds_read_b64 v[2:3], v2 offset:4096
	ds_read_b64 v[4:5], v4 offset:4096
	;; [unrolled: 1-line block ×3, first 2 shown]
	s_waitcnt lgkmcnt(3)
	v_add_f64 v[0:1], v[0:1], v[10:11]
	v_lshlrev_b32_e32 v8, 3, v8
	s_waitcnt lgkmcnt(2)
	v_add_f64 v[0:1], v[0:1], v[2:3]
	v_add_u32_e32 v3, 13, v44
	v_and_or_b32 v3, v3, 15, v15
	s_waitcnt lgkmcnt(1)
	v_add_f64 v[0:1], v[0:1], v[4:5]
	v_lshlrev_b32_e32 v4, 3, v3
	v_add_u32_e32 v3, 14, v44
	ds_read_b64 v[8:9], v8 offset:4096
	v_and_or_b32 v3, v3, 15, v15
	s_waitcnt lgkmcnt(1)
	v_add_f64 v[0:1], v[0:1], v[6:7]
	v_add_u32_e32 v2, 12, v44
	v_lshlrev_b32_e32 v6, 3, v3
	v_add_u32_e32 v3, -1, v44
	s_mul_i32 s0, s26, s23
	s_mul_hi_u32 s1, s26, s22
	v_and_or_b32 v2, v2, 15, v15
	v_and_or_b32 v3, v3, 15, v15
	s_add_i32 s0, s1, s0
	s_mul_i32 s1, s27, s22
	v_lshlrev_b32_e32 v2, 3, v2
	v_lshlrev_b32_e32 v10, 3, v3
	s_add_i32 s1, s0, s1
	s_mul_i32 s0, s26, s22
	ds_read_b64 v[2:3], v2 offset:4096
	ds_read_b64 v[4:5], v4 offset:4096
	;; [unrolled: 1-line block ×4, first 2 shown]
	s_lshl_b64 s[0:1], s[0:1], 3
	s_waitcnt lgkmcnt(4)
	v_add_f64 v[0:1], v[0:1], v[8:9]
	s_add_u32 s0, s3, s0
	s_waitcnt lgkmcnt(3)
	v_add_f64 v[0:1], v[0:1], v[2:3]
	v_mad_u64_u32 v[2:3], s[2:3], v44, s22, 0
	s_waitcnt lgkmcnt(2)
	v_add_f64 v[0:1], v[0:1], v[4:5]
	v_mov_b32_e32 v4, v3
	s_waitcnt lgkmcnt(1)
	v_add_f64 v[0:1], v[0:1], v[6:7]
	v_mad_u64_u32 v[4:5], s[2:3], v44, s23, v[4:5]
	s_addc_u32 s1, s20, s1
	s_waitcnt lgkmcnt(0)
	v_add_f64 v[0:1], v[0:1], v[10:11]
	v_mov_b32_e32 v3, v4
	v_lshl_add_u64 v[2:3], v[2:3], 3, s[0:1]
	v_mul_f64 v[0:1], v[12:13], v[0:1]
	global_atomic_add_f64 v[2:3], v[0:1], off
.LBB93_60:
	s_endpgm
	.section	.rodata,"a",@progbits
	.p2align	6, 0x0
	.amdhsa_kernel _ZL62rocblas_symv_kernel_upper_double_buffered_non_diagonal_genericILi32ELi8ELi2ELi1E24rocblas_internal_val_ptrIdEPKdPdEvbiT3_lT4_lllS6_lllT5_lllii
		.amdhsa_group_segment_fixed_size 8448
		.amdhsa_private_segment_fixed_size 0
		.amdhsa_kernarg_size 384
		.amdhsa_user_sgpr_count 2
		.amdhsa_user_sgpr_dispatch_ptr 0
		.amdhsa_user_sgpr_queue_ptr 0
		.amdhsa_user_sgpr_kernarg_segment_ptr 1
		.amdhsa_user_sgpr_dispatch_id 0
		.amdhsa_user_sgpr_kernarg_preload_length 0
		.amdhsa_user_sgpr_kernarg_preload_offset 0
		.amdhsa_user_sgpr_private_segment_size 0
		.amdhsa_uses_dynamic_stack 0
		.amdhsa_enable_private_segment 0
		.amdhsa_system_sgpr_workgroup_id_x 1
		.amdhsa_system_sgpr_workgroup_id_y 1
		.amdhsa_system_sgpr_workgroup_id_z 1
		.amdhsa_system_sgpr_workgroup_info 0
		.amdhsa_system_vgpr_workitem_id 1
		.amdhsa_next_free_vgpr 62
		.amdhsa_next_free_sgpr 48
		.amdhsa_accum_offset 64
		.amdhsa_reserve_vcc 1
		.amdhsa_float_round_mode_32 0
		.amdhsa_float_round_mode_16_64 0
		.amdhsa_float_denorm_mode_32 3
		.amdhsa_float_denorm_mode_16_64 3
		.amdhsa_dx10_clamp 1
		.amdhsa_ieee_mode 1
		.amdhsa_fp16_overflow 0
		.amdhsa_tg_split 0
		.amdhsa_exception_fp_ieee_invalid_op 0
		.amdhsa_exception_fp_denorm_src 0
		.amdhsa_exception_fp_ieee_div_zero 0
		.amdhsa_exception_fp_ieee_overflow 0
		.amdhsa_exception_fp_ieee_underflow 0
		.amdhsa_exception_fp_ieee_inexact 0
		.amdhsa_exception_int_div_zero 0
	.end_amdhsa_kernel
	.section	.text._ZL62rocblas_symv_kernel_upper_double_buffered_non_diagonal_genericILi32ELi8ELi2ELi1E24rocblas_internal_val_ptrIdEPKdPdEvbiT3_lT4_lllS6_lllT5_lllii,"axG",@progbits,_ZL62rocblas_symv_kernel_upper_double_buffered_non_diagonal_genericILi32ELi8ELi2ELi1E24rocblas_internal_val_ptrIdEPKdPdEvbiT3_lT4_lllS6_lllT5_lllii,comdat
.Lfunc_end93:
	.size	_ZL62rocblas_symv_kernel_upper_double_buffered_non_diagonal_genericILi32ELi8ELi2ELi1E24rocblas_internal_val_ptrIdEPKdPdEvbiT3_lT4_lllS6_lllT5_lllii, .Lfunc_end93-_ZL62rocblas_symv_kernel_upper_double_buffered_non_diagonal_genericILi32ELi8ELi2ELi1E24rocblas_internal_val_ptrIdEPKdPdEvbiT3_lT4_lllS6_lllT5_lllii
                                        ; -- End function
	.section	.AMDGPU.csdata,"",@progbits
; Kernel info:
; codeLenInByte = 3136
; NumSgprs: 54
; NumVgprs: 62
; NumAgprs: 0
; TotalNumVgprs: 62
; ScratchSize: 0
; MemoryBound: 1
; FloatMode: 240
; IeeeMode: 1
; LDSByteSize: 8448 bytes/workgroup (compile time only)
; SGPRBlocks: 6
; VGPRBlocks: 7
; NumSGPRsForWavesPerEU: 54
; NumVGPRsForWavesPerEU: 62
; AccumOffset: 64
; Occupancy: 7
; WaveLimiterHint : 0
; COMPUTE_PGM_RSRC2:SCRATCH_EN: 0
; COMPUTE_PGM_RSRC2:USER_SGPR: 2
; COMPUTE_PGM_RSRC2:TRAP_HANDLER: 0
; COMPUTE_PGM_RSRC2:TGID_X_EN: 1
; COMPUTE_PGM_RSRC2:TGID_Y_EN: 1
; COMPUTE_PGM_RSRC2:TGID_Z_EN: 1
; COMPUTE_PGM_RSRC2:TIDIG_COMP_CNT: 1
; COMPUTE_PGM_RSRC3_GFX90A:ACCUM_OFFSET: 15
; COMPUTE_PGM_RSRC3_GFX90A:TG_SPLIT: 0
	.section	.text._ZL26rocblas_hemvn_kernel_upperILb0ELi64ELi4ELi33ELi32ELi16ElPKdS1_PdEviT6_lT7_lT5_lS4_lS5_lS3_lT8_i,"axG",@progbits,_ZL26rocblas_hemvn_kernel_upperILb0ELi64ELi4ELi33ELi32ELi16ElPKdS1_PdEviT6_lT7_lT5_lS4_lS5_lS3_lT8_i,comdat
	.globl	_ZL26rocblas_hemvn_kernel_upperILb0ELi64ELi4ELi33ELi32ELi16ElPKdS1_PdEviT6_lT7_lT5_lS4_lS5_lS3_lT8_i ; -- Begin function _ZL26rocblas_hemvn_kernel_upperILb0ELi64ELi4ELi33ELi32ELi16ElPKdS1_PdEviT6_lT7_lT5_lS4_lS5_lS3_lT8_i
	.p2align	8
	.type	_ZL26rocblas_hemvn_kernel_upperILb0ELi64ELi4ELi33ELi32ELi16ElPKdS1_PdEviT6_lT7_lT5_lS4_lS5_lS3_lT8_i,@function
_ZL26rocblas_hemvn_kernel_upperILb0ELi64ELi4ELi33ELi32ELi16ElPKdS1_PdEviT6_lT7_lT5_lS4_lS5_lS3_lT8_i: ; @_ZL26rocblas_hemvn_kernel_upperILb0ELi64ELi4ELi33ELi32ELi16ElPKdS1_PdEviT6_lT7_lT5_lS4_lS5_lS3_lT8_i
; %bb.0:
	s_load_dwordx2 s[6:7], s[0:1], 0x84
	s_add_u32 s4, s0, 0x78
	s_addc_u32 s5, s1, 0
	s_waitcnt lgkmcnt(0)
	s_lshr_b32 s8, s6, 16
	s_and_b32 s6, s6, 0xffff
	s_and_b32 s7, s7, 0xffff
	s_mul_i32 s6, s8, s6
	s_mul_i32 s6, s6, s7
	s_cmpk_lg_i32 s6, 0x100
	s_cbranch_scc1 .LBB94_126
; %bb.1:
	s_load_dwordx16 s[8:23], s[0:1], 0x8
	s_load_dwordx8 s[24:31], s[0:1], 0x48
	s_waitcnt lgkmcnt(0)
	s_mul_i32 s7, s3, s11
	s_mul_hi_u32 s11, s3, s10
	s_mul_i32 s6, s3, s10
	s_add_i32 s7, s11, s7
	s_lshl_b64 s[6:7], s[6:7], 3
	s_mul_i32 s10, s3, s31
	s_add_u32 s6, s8, s6
	s_mul_hi_u32 s8, s3, s30
	s_addc_u32 s7, s9, s7
	s_add_i32 s9, s8, s10
	s_mul_i32 s8, s3, s30
	s_lshl_b64 s[8:9], s[8:9], 3
	s_add_u32 s8, s28, s8
	s_addc_u32 s9, s29, s9
	s_load_dwordx2 s[6:7], s[6:7], 0x0
	s_waitcnt lgkmcnt(0)
	v_cmp_eq_f64_e64 s[6:7], s[6:7], 0
	s_load_dwordx2 s[8:9], s[8:9], 0x0
	s_waitcnt lgkmcnt(0)
	v_cmp_eq_f64_e64 s[8:9], s[8:9], 1.0
	s_and_b64 s[8:9], s[6:7], s[8:9]
	s_and_b64 vcc, exec, s[8:9]
	s_cbranch_vccnz .LBB94_126
; %bb.2:
	s_and_b64 vcc, exec, s[6:7]
	s_cbranch_vccnz .LBB94_126
; %bb.3:
	s_load_dword s33, s[4:5], 0x0
	s_load_dwordx2 s[28:29], s[0:1], 0x68
	s_load_dword s35, s[0:1], 0x0
	s_mul_i32 s0, s3, s27
	s_mul_hi_u32 s1, s3, s26
	s_add_i32 s1, s1, s0
	s_mul_i32 s0, s3, s26
	s_lshl_b64 s[0:1], s[0:1], 3
	s_add_u32 s4, s20, s0
	s_addc_u32 s5, s21, s1
	s_lshl_b64 s[0:1], s[22:23], 3
	s_add_u32 s0, s4, s0
	s_addc_u32 s1, s5, s1
	s_waitcnt lgkmcnt(0)
	s_ashr_i32 s36, s35, 31
	s_lshr_b32 s5, s36, 26
	v_and_b32_e32 v122, 0x3ff, v0
	s_lshl_b32 s22, s2, 6
	s_add_i32 s5, s35, s5
	s_andn2_b32 s5, s5, 63
	v_add_u32_e32 v24, s22, v122
	s_add_i32 s4, s33, -1
	s_sub_i32 s34, s35, s5
	v_ashrrev_i32_e32 v25, 31, v24
	v_bfe_u32 v123, v0, 10, 10
	s_cmp_eq_u32 s2, s4
	v_mul_lo_u32 v2, v25, s24
	v_mul_lo_u32 v3, v24, s25
	v_mad_u64_u32 v[0:1], s[4:5], v24, s24, 0
	v_add3_u32 v1, v1, v3, v2
	s_cselect_b32 s20, s34, 0
	v_lshl_add_u64 v[12:13], v[0:1], 3, s[0:1]
	v_cmp_eq_u32_e64 s[0:1], 0, v123
	s_and_saveexec_b64 s[4:5], s[0:1]
	s_cbranch_execz .LBB94_7
; %bb.4:
	s_cmp_eq_u32 s20, 0
	s_cselect_b64 s[6:7], -1, 0
	v_cmp_gt_i32_e32 vcc, s20, v122
	s_or_b64 s[8:9], s[6:7], vcc
	v_mov_b64_e32 v[0:1], 0
	s_and_saveexec_b64 s[6:7], s[8:9]
	s_cbranch_execz .LBB94_6
; %bb.5:
	global_load_dwordx2 v[0:1], v[12:13], off
.LBB94_6:
	s_or_b64 exec, exec, s[6:7]
	v_lshlrev_b32_e32 v2, 3, v122
	s_waitcnt vmcnt(0)
	ds_write_b64 v2, v[0:1] offset:9088
.LBB94_7:
	s_or_b64 exec, exec, s[4:5]
	s_mul_i32 s4, s3, s19
	s_mul_hi_u32 s5, s3, s18
	s_add_i32 s5, s5, s4
	s_mul_i32 s4, s3, s18
	s_lshl_b64 s[4:5], s[4:5], 3
	s_add_u32 s6, s12, s4
	s_addc_u32 s7, s13, s5
	s_lshl_b64 s[4:5], s[14:15], 3
	s_add_u32 s6, s6, s4
	s_addc_u32 s7, s7, s5
	s_ashr_i32 s23, s22, 31
	v_lshl_add_u32 v22, v123, 6, v122
	s_lshl_b64 s[4:5], s[22:23], 3
	v_and_b32_e32 v0, 31, v122
	v_lshrrev_b32_e32 v18, 5, v22
	s_add_u32 s6, s6, s4
	v_mov_b32_e32 v1, 0
	s_addc_u32 s7, s7, s5
	v_mad_u64_u32 v[14:15], s[4:5], v18, s16, v[0:1]
	v_mov_b32_e32 v2, v15
	v_mad_u64_u32 v[2:3], s[4:5], v18, s17, v[2:3]
	s_mul_i32 s4, s22, s17
	s_mul_hi_u32 s5, s22, s16
	s_add_i32 s4, s5, s4
	s_mul_i32 s5, s23, s16
	s_add_i32 s5, s4, s5
	s_mul_i32 s4, s22, s16
	s_lshl_b64 s[4:5], s[4:5], 3
	s_add_u32 s4, s4, s6
	s_addc_u32 s5, s5, s7
	s_cmp_eq_u32 s20, 0
	s_cselect_b64 s[18:19], -1, 0
	s_cmp_lg_u32 s20, 0
	v_mov_b32_e32 v15, v2
	s_cselect_b64 s[26:27], -1, 0
	v_lshl_add_u64 v[6:7], v[14:15], 3, s[4:5]
	s_and_b64 vcc, exec, s[26:27]
	v_cmp_gt_i32_e64 s[4:5], s20, v0
	v_lshlrev_b32_e32 v2, 3, v0
	s_mul_i32 s37, s17, 0xc0
	s_cbranch_vccz .LBB94_17
; %bb.8:
	v_sub_co_u32_e32 v4, vcc, v6, v2
	s_ashr_i32 s21, s20, 31
	s_nop 0
	v_subbrev_co_u32_e32 v5, vcc, 0, v7, vcc
	v_lshl_add_u64 v[4:5], s[20:21], 3, v[4:5]
	v_lshl_add_u64 v[4:5], v[4:5], 0, -8
	v_mov_b64_e32 v[8:9], 0
	v_cndmask_b32_e64 v5, v5, v7, s[4:5]
	v_cndmask_b32_e64 v4, v4, v6, s[4:5]
	v_cmp_gt_i32_e32 vcc, s20, v18
	v_mov_b64_e32 v[10:11], v[8:9]
	s_and_saveexec_b64 s[6:7], vcc
	s_cbranch_execz .LBB94_10
; %bb.9:
	global_load_dwordx2 v[10:11], v[4:5], off
.LBB94_10:
	s_or_b64 exec, exec, s[6:7]
	v_mul_u32_u24_e32 v1, 33, v18
	v_add_u32_e32 v3, 8, v18
	v_add_lshl_u32 v1, v1, v0, 3
	v_cmp_gt_i32_e32 vcc, s20, v3
	s_waitcnt vmcnt(0)
	ds_write_b64 v1, v[10:11]
	s_and_saveexec_b64 s[6:7], vcc
	s_cbranch_execz .LBB94_12
; %bb.11:
	s_lshl_b64 s[8:9], s[16:17], 6
	v_lshl_add_u64 v[8:9], v[4:5], 0, s[8:9]
	global_load_dwordx2 v[8:9], v[8:9], off
.LBB94_12:
	s_or_b64 exec, exec, s[6:7]
	s_waitcnt vmcnt(0)
	ds_write_b64 v1, v[8:9] offset:2112
	v_add_u32_e32 v3, 16, v18
	v_mov_b64_e32 v[8:9], 0
	v_cmp_gt_i32_e32 vcc, s20, v3
	v_mov_b64_e32 v[10:11], v[8:9]
	s_and_saveexec_b64 s[6:7], vcc
	s_cbranch_execz .LBB94_14
; %bb.13:
	s_lshl_b64 s[8:9], s[16:17], 7
	v_lshl_add_u64 v[10:11], v[4:5], 0, s[8:9]
	global_load_dwordx2 v[10:11], v[10:11], off
.LBB94_14:
	s_or_b64 exec, exec, s[6:7]
	v_add_u32_e32 v3, 24, v18
	v_cmp_gt_i32_e32 vcc, s20, v3
	s_waitcnt vmcnt(0)
	ds_write_b64 v1, v[10:11] offset:4224
	s_and_saveexec_b64 s[6:7], vcc
	s_cbranch_execz .LBB94_16
; %bb.15:
	v_mov_b32_e32 v3, 0xc0
	v_mad_u64_u32 v[8:9], s[8:9], s16, v3, v[4:5]
	v_add_u32_e32 v9, s37, v9
	global_load_dwordx2 v[8:9], v[8:9], off
.LBB94_16:
	s_or_b64 exec, exec, s[6:7]
	v_mov_b32_e32 v3, 0
	v_lshl_add_u64 v[4:5], v[4:5], 0, v[2:3]
	s_lshl_b64 s[6:7], s[20:21], 3
	s_waitcnt vmcnt(0)
	ds_write_b64 v1, v[8:9] offset:6336
	v_mov_b32_e32 v1, s7
	v_subrev_co_u32_e32 v4, vcc, s6, v4
	s_nop 1
	v_subb_co_u32_e32 v5, vcc, v5, v1, vcc
	v_lshl_add_u64 v[4:5], v[4:5], 0, 8
	v_cndmask_b32_e64 v5, v5, v7, s[4:5]
	v_cndmask_b32_e64 v4, v4, v6, s[4:5]
	v_mul_u32_u24_e32 v1, 33, v18
	s_branch .LBB94_19
.LBB94_17:
                                        ; implicit-def: $vgpr4_vgpr5
	v_mul_u32_u24_e32 v1, 33, v18
	s_cbranch_execz .LBB94_19
; %bb.18:
	s_lshl_b64 s[4:5], s[16:17], 6
	v_lshl_add_u64 v[4:5], v[6:7], 0, s[4:5]
	global_load_dwordx2 v[8:9], v[6:7], off
	global_load_dwordx2 v[10:11], v[4:5], off
	v_mov_b32_e32 v3, 0xc0
	v_lshl_add_u64 v[4:5], v[4:5], 0, s[4:5]
	v_mad_u64_u32 v[16:17], s[4:5], s16, v3, v[6:7]
	global_load_dwordx2 v[4:5], v[4:5], off
	v_add_u32_e32 v17, s37, v17
	global_load_dwordx2 v[16:17], v[16:17], off
	v_add_lshl_u32 v3, v1, v0, 3
	s_waitcnt vmcnt(3)
	ds_write_b64 v3, v[8:9]
	s_waitcnt vmcnt(2)
	ds_write_b64 v3, v[10:11] offset:2112
	s_waitcnt vmcnt(1)
	ds_write_b64 v3, v[4:5] offset:4224
	;; [unrolled: 2-line block ×3, first 2 shown]
	v_mov_b64_e32 v[4:5], v[6:7]
.LBB94_19:
	v_lshlrev_b32_e32 v3, 2, v18
	v_mul_u32_u24_e32 v19, 33, v0
	v_cmp_gt_u32_e64 s[4:5], v3, v0
	v_add_lshl_u32 v21, v3, v19, 3
	s_waitcnt lgkmcnt(0)
	s_barrier
	s_and_saveexec_b64 s[6:7], s[4:5]
	s_cbranch_execz .LBB94_21
; %bb.20:
	v_mul_u32_u24_e32 v6, 0x84, v18
	v_add_lshl_u32 v6, v6, v0, 3
	ds_read_b64 v[6:7], v6
	s_waitcnt lgkmcnt(0)
	ds_write_b64 v21, v[6:7]
.LBB94_21:
	s_or_b64 exec, exec, s[6:7]
	v_cmp_ge_u32_e64 s[6:7], v3, v0
	s_and_saveexec_b64 s[8:9], s[6:7]
	s_cbranch_execz .LBB94_23
; %bb.22:
	v_or_b32_e32 v6, 1, v3
	v_mul_u32_u24_e32 v6, 33, v6
	v_add_lshl_u32 v6, v6, v0, 3
	ds_read_b64 v[6:7], v6
	s_waitcnt lgkmcnt(0)
	ds_write_b64 v21, v[6:7] offset:8
.LBB94_23:
	s_or_b64 exec, exec, s[8:9]
	v_or_b32_e32 v6, 2, v3
	v_cmp_gt_u32_e64 s[8:9], v6, v0
	s_and_saveexec_b64 s[10:11], s[8:9]
	s_cbranch_execz .LBB94_25
; %bb.24:
	v_mul_u32_u24_e32 v6, 33, v6
	v_add_lshl_u32 v6, v6, v0, 3
	ds_read_b64 v[6:7], v6
	s_waitcnt lgkmcnt(0)
	ds_write_b64 v21, v[6:7] offset:16
.LBB94_25:
	s_or_b64 exec, exec, s[10:11]
	v_or_b32_e32 v6, 3, v3
	v_cmp_gt_u32_e64 s[10:11], v6, v0
	v_mad_u32_u24 v6, v6, 33, v0
	v_lshlrev_b32_e32 v29, 3, v6
	s_and_saveexec_b64 s[12:13], s[10:11]
	s_cbranch_execz .LBB94_27
; %bb.26:
	ds_read_b64 v[6:7], v29
	s_waitcnt lgkmcnt(0)
	ds_write_b64 v21, v[6:7] offset:24
.LBB94_27:
	s_or_b64 exec, exec, s[12:13]
	v_mul_u32_u24_e32 v6, 0x84, v18
	v_add_lshl_u32 v20, v6, v0, 3
	s_waitcnt lgkmcnt(0)
	s_barrier
	v_lshlrev_b32_e32 v31, 3, v3
	ds_read_b64 v[10:11], v20
	ds_read_b128 v[6:9], v31 offset:9088
	v_add_u32_e32 v30, 0xfffffdf0, v29
	ds_read2_b64 v[32:35], v30 offset1:33
	ds_read_b128 v[36:39], v31 offset:9104
	ds_read_b64 v[16:17], v29
	v_mov_b64_e32 v[26:27], 0
	v_add_lshl_u32 v28, v18, v19, 3
	s_waitcnt lgkmcnt(3)
	v_fma_f64 v[6:7], v[10:11], v[6:7], 0
	s_waitcnt lgkmcnt(2)
	v_fmac_f64_e32 v[6:7], v[32:33], v[8:9]
	s_waitcnt lgkmcnt(1)
	v_fmac_f64_e32 v[6:7], v[34:35], v[36:37]
	;; [unrolled: 2-line block ×3, first 2 shown]
	v_cmp_gt_u32_e64 s[12:13], 32, v22
	v_lshlrev_b32_e32 v23, 3, v19
	s_barrier
	ds_write_b64 v28, v[6:7]
	s_waitcnt lgkmcnt(0)
	s_barrier
	s_and_saveexec_b64 s[14:15], s[12:13]
	s_cbranch_execz .LBB94_29
; %bb.28:
	ds_read2_b64 v[6:9], v23 offset1:1
	ds_read2_b64 v[32:35], v23 offset0:2 offset1:3
	ds_read2_b64 v[36:39], v23 offset0:4 offset1:5
	s_waitcnt lgkmcnt(2)
	v_add_f64 v[10:11], v[6:7], v[8:9]
	ds_read2_b64 v[6:9], v23 offset0:6 offset1:7
	s_waitcnt lgkmcnt(2)
	v_add_f64 v[10:11], v[10:11], v[32:33]
	v_add_f64 v[10:11], v[10:11], v[34:35]
	s_waitcnt lgkmcnt(1)
	v_add_f64 v[10:11], v[10:11], v[36:37]
	v_add_f64 v[10:11], v[10:11], v[38:39]
	;; [unrolled: 3-line block ×3, first 2 shown]
.LBB94_29:
	s_or_b64 exec, exec, s[14:15]
	s_lshl_b64 s[14:15], s[16:17], 8
	v_lshl_add_u64 v[8:9], v[4:5], 0, s[14:15]
	s_mov_b64 s[14:15], 0x100
	v_lshl_add_u64 v[6:7], v[8:9], 0, s[14:15]
	s_and_b64 vcc, exec, s[26:27]
	s_barrier
	s_cbranch_vccz .LBB94_39
; %bb.30:
	v_sub_co_u32_e32 v4, vcc, v6, v2
	s_ashr_i32 s21, s20, 31
	s_nop 0
	v_subbrev_co_u32_e32 v5, vcc, 0, v7, vcc
	s_movk_i32 s14, 0xfef8
	v_or_b32_e32 v3, 32, v0
	v_lshl_add_u64 v[4:5], s[20:21], 3, v[4:5]
	s_mov_b32 s15, -1
	v_lshl_add_u64 v[4:5], v[4:5], 0, s[14:15]
	v_cmp_gt_i32_e32 vcc, s20, v3
	s_sub_i32 s38, s20, 32
	v_mov_b64_e32 v[10:11], 0
	v_cndmask_b32_e32 v5, v5, v7, vcc
	v_cndmask_b32_e32 v4, v4, v6, vcc
	v_cmp_gt_i32_e64 s[14:15], s38, v18
	v_mov_b64_e32 v[16:17], v[10:11]
	s_and_saveexec_b64 s[30:31], s[14:15]
	s_cbranch_execz .LBB94_32
; %bb.31:
	global_load_dwordx2 v[16:17], v[4:5], off
.LBB94_32:
	s_or_b64 exec, exec, s[30:31]
	v_add_lshl_u32 v3, v1, v0, 3
	s_waitcnt vmcnt(0)
	ds_write_b64 v3, v[16:17]
	v_add_u32_e32 v16, 8, v18
	v_cmp_gt_i32_e64 s[14:15], s38, v16
	s_and_saveexec_b64 s[30:31], s[14:15]
	s_cbranch_execz .LBB94_34
; %bb.33:
	s_lshl_b64 s[14:15], s[16:17], 6
	v_lshl_add_u64 v[10:11], v[4:5], 0, s[14:15]
	global_load_dwordx2 v[10:11], v[10:11], off
.LBB94_34:
	s_or_b64 exec, exec, s[30:31]
	s_waitcnt vmcnt(0)
	ds_write_b64 v3, v[10:11] offset:2112
	v_add_u32_e32 v10, 16, v18
	v_cmp_gt_i32_e64 s[14:15], s38, v10
	v_mov_b64_e32 v[10:11], 0
	v_mov_b64_e32 v[16:17], v[10:11]
	s_and_saveexec_b64 s[30:31], s[14:15]
	s_cbranch_execz .LBB94_36
; %bb.35:
	s_lshl_b64 s[14:15], s[16:17], 7
	v_lshl_add_u64 v[16:17], v[4:5], 0, s[14:15]
	global_load_dwordx2 v[16:17], v[16:17], off
.LBB94_36:
	s_or_b64 exec, exec, s[30:31]
	s_waitcnt vmcnt(0)
	ds_write_b64 v3, v[16:17] offset:4224
	v_add_u32_e32 v16, 24, v18
	v_cmp_gt_i32_e64 s[14:15], s38, v16
	s_and_saveexec_b64 s[30:31], s[14:15]
	s_cbranch_execz .LBB94_38
; %bb.37:
	v_mov_b32_e32 v10, 0xc0
	v_mad_u64_u32 v[10:11], s[14:15], s16, v10, v[4:5]
	v_add_u32_e32 v11, s37, v11
	global_load_dwordx2 v[10:11], v[10:11], off
.LBB94_38:
	s_or_b64 exec, exec, s[30:31]
	s_waitcnt vmcnt(0)
	ds_write_b64 v3, v[10:11] offset:6336
	v_mov_b32_e32 v3, 0
	v_lshl_add_u64 v[4:5], v[4:5], 0, v[2:3]
	s_lshl_b64 s[14:15], s[20:21], 3
	v_mov_b32_e32 v3, s15
	v_subrev_co_u32_e64 v4, s[14:15], s14, v4
	s_nop 1
	v_subb_co_u32_e64 v5, s[14:15], v5, v3, s[14:15]
	s_mov_b64 s[14:15], 0x108
	s_nop 0
	v_lshl_add_u64 v[4:5], v[4:5], 0, s[14:15]
	v_cndmask_b32_e32 v5, v5, v7, vcc
	v_cndmask_b32_e32 v4, v4, v6, vcc
	s_branch .LBB94_41
.LBB94_39:
                                        ; implicit-def: $vgpr4_vgpr5
	s_cbranch_execz .LBB94_41
; %bb.40:
	s_lshl_b64 s[14:15], s[16:17], 6
	v_lshl_add_u64 v[4:5], v[8:9], 0, s[14:15]
	v_mov_b32_e32 v3, 0xc0
	v_lshl_add_u64 v[10:11], v[4:5], 0, s[14:15]
	v_mad_u64_u32 v[16:17], s[14:15], s16, v3, v[8:9]
	v_add_u32_e32 v17, s37, v17
	global_load_dwordx2 v[32:33], v[8:9], off offset:256
	global_load_dwordx2 v[34:35], v[4:5], off offset:256
	;; [unrolled: 1-line block ×4, first 2 shown]
	v_add_lshl_u32 v3, v1, v0, 3
	v_mov_b64_e32 v[4:5], v[6:7]
	s_waitcnt vmcnt(3)
	ds_write_b64 v3, v[32:33]
	s_waitcnt vmcnt(2)
	ds_write_b64 v3, v[34:35] offset:2112
	s_waitcnt vmcnt(1)
	ds_write_b64 v3, v[36:37] offset:4224
	s_waitcnt vmcnt(0)
	ds_write_b64 v3, v[38:39] offset:6336
.LBB94_41:
	s_waitcnt lgkmcnt(0)
	s_barrier
	s_and_saveexec_b64 s[14:15], s[4:5]
	s_cbranch_execnz .LBB94_58
; %bb.42:
	s_or_b64 exec, exec, s[14:15]
	s_and_saveexec_b64 s[4:5], s[6:7]
	s_cbranch_execnz .LBB94_59
.LBB94_43:
	s_or_b64 exec, exec, s[4:5]
	s_and_saveexec_b64 s[4:5], s[8:9]
	s_cbranch_execnz .LBB94_60
.LBB94_44:
	s_or_b64 exec, exec, s[4:5]
	v_add_u32_e32 v31, 0x2380, v31
	s_and_saveexec_b64 s[4:5], s[10:11]
	s_cbranch_execz .LBB94_46
.LBB94_45:
	ds_read_b64 v[6:7], v29
	s_waitcnt lgkmcnt(0)
	ds_write_b64 v21, v[6:7] offset:24
.LBB94_46:
	s_or_b64 exec, exec, s[4:5]
	s_waitcnt lgkmcnt(0)
	s_barrier
	ds_read_b64 v[10:11], v20
	ds_read_b128 v[6:9], v31 offset:256
	ds_read2_b64 v[32:35], v30 offset1:33
	ds_read_b128 v[36:39], v31 offset:272
	ds_read_b64 v[16:17], v29
	v_cmp_eq_u32_e64 s[4:5], 1, v18
	s_waitcnt lgkmcnt(3)
	v_fma_f64 v[6:7], v[10:11], v[6:7], 0
	s_waitcnt lgkmcnt(2)
	v_fmac_f64_e32 v[6:7], v[32:33], v[8:9]
	s_waitcnt lgkmcnt(1)
	v_fmac_f64_e32 v[6:7], v[34:35], v[36:37]
	;; [unrolled: 2-line block ×3, first 2 shown]
	s_barrier
	ds_write_b64 v28, v[6:7]
	s_waitcnt lgkmcnt(0)
	s_barrier
	s_and_saveexec_b64 s[6:7], s[4:5]
	s_cbranch_execz .LBB94_48
; %bb.47:
	ds_read2_b64 v[6:9], v23 offset1:1
	ds_read2_b64 v[32:35], v23 offset0:2 offset1:3
	ds_read2_b64 v[36:39], v23 offset0:4 offset1:5
	s_waitcnt lgkmcnt(2)
	v_add_f64 v[10:11], v[6:7], v[8:9]
	ds_read2_b64 v[6:9], v23 offset0:6 offset1:7
	s_waitcnt lgkmcnt(2)
	v_add_f64 v[10:11], v[10:11], v[32:33]
	v_add_f64 v[10:11], v[10:11], v[34:35]
	s_waitcnt lgkmcnt(1)
	v_add_f64 v[10:11], v[10:11], v[36:37]
	v_add_f64 v[10:11], v[10:11], v[38:39]
	;; [unrolled: 3-line block ×3, first 2 shown]
.LBB94_48:
	s_or_b64 exec, exec, s[6:7]
	s_movk_i32 s6, 0xff00
	s_mov_b32 s7, -1
	v_lshl_add_u64 v[6:7], v[4:5], 0, s[6:7]
	s_and_b64 vcc, exec, s[26:27]
	s_barrier
	s_cbranch_vccz .LBB94_61
; %bb.49:
	v_sub_co_u32_e32 v8, vcc, v4, v2
	s_ashr_i32 s21, s20, 31
	s_nop 0
	v_subbrev_co_u32_e32 v9, vcc, 0, v5, vcc
	s_movk_i32 s6, 0xfef8
	v_lshl_add_u64 v[8:9], s[20:21], 3, v[8:9]
	s_mov_b32 s7, -1
	v_lshl_add_u64 v[8:9], v[8:9], 0, s[6:7]
	v_cmp_gt_i32_e32 vcc, s20, v0
	s_sub_i32 s10, s20, 32
	v_mov_b64_e32 v[10:11], 0
	v_cndmask_b32_e32 v9, v9, v7, vcc
	v_cndmask_b32_e32 v8, v8, v6, vcc
	v_cmp_gt_i32_e64 s[6:7], s10, v18
	v_mov_b64_e32 v[16:17], v[10:11]
	s_and_saveexec_b64 s[8:9], s[6:7]
	s_cbranch_execz .LBB94_51
; %bb.50:
	global_load_dwordx2 v[16:17], v[8:9], off
.LBB94_51:
	s_or_b64 exec, exec, s[8:9]
	v_add_u32_e32 v21, 8, v18
	v_add_lshl_u32 v3, v1, v0, 3
	v_cmp_gt_i32_e64 s[6:7], s10, v21
	s_waitcnt vmcnt(0)
	ds_write_b64 v3, v[16:17]
	s_and_saveexec_b64 s[8:9], s[6:7]
	s_cbranch_execz .LBB94_53
; %bb.52:
	s_lshl_b64 s[6:7], s[16:17], 6
	v_lshl_add_u64 v[10:11], v[8:9], 0, s[6:7]
	global_load_dwordx2 v[10:11], v[10:11], off
.LBB94_53:
	s_or_b64 exec, exec, s[8:9]
	s_waitcnt vmcnt(0)
	ds_write_b64 v3, v[10:11] offset:2112
	v_add_u32_e32 v32, 16, v18
	v_mov_b64_e32 v[10:11], 0
	v_cmp_gt_i32_e64 s[6:7], s10, v32
	v_mov_b64_e32 v[16:17], v[10:11]
	s_and_saveexec_b64 s[8:9], s[6:7]
	s_cbranch_execz .LBB94_55
; %bb.54:
	s_lshl_b64 s[6:7], s[16:17], 7
	v_lshl_add_u64 v[16:17], v[8:9], 0, s[6:7]
	global_load_dwordx2 v[16:17], v[16:17], off
.LBB94_55:
	s_or_b64 exec, exec, s[8:9]
	v_add_u32_e32 v33, 24, v18
	v_cmp_gt_i32_e64 s[6:7], s10, v33
	s_waitcnt vmcnt(0)
	ds_write_b64 v3, v[16:17] offset:4224
	s_and_saveexec_b64 s[8:9], s[6:7]
	s_cbranch_execz .LBB94_57
; %bb.56:
	v_mov_b32_e32 v10, 0xc0
	v_mad_u64_u32 v[10:11], s[6:7], s16, v10, v[8:9]
	v_add_u32_e32 v11, s37, v11
	global_load_dwordx2 v[10:11], v[10:11], off
.LBB94_57:
	s_or_b64 exec, exec, s[8:9]
	s_waitcnt vmcnt(0)
	ds_write_b64 v3, v[10:11] offset:6336
	v_mov_b32_e32 v3, 0
	v_lshl_add_u64 v[2:3], v[8:9], 0, v[2:3]
	s_lshl_b64 s[6:7], s[20:21], 3
	v_mov_b32_e32 v8, s7
	v_subrev_co_u32_e64 v2, s[6:7], s6, v2
	s_nop 1
	v_subb_co_u32_e64 v3, s[6:7], v3, v8, s[6:7]
	v_lshl_add_u64 v[2:3], v[2:3], 0, 8
	v_cndmask_b32_e32 v17, v3, v7, vcc
	v_cndmask_b32_e32 v16, v2, v6, vcc
	s_branch .LBB94_63
.LBB94_58:
	ds_read_b64 v[6:7], v20
	s_waitcnt lgkmcnt(0)
	ds_write_b64 v21, v[6:7]
	s_or_b64 exec, exec, s[14:15]
	s_and_saveexec_b64 s[4:5], s[6:7]
	s_cbranch_execz .LBB94_43
.LBB94_59:
	ds_read_b64 v[6:7], v30
	s_waitcnt lgkmcnt(0)
	ds_write_b64 v21, v[6:7] offset:8
	s_or_b64 exec, exec, s[4:5]
	s_and_saveexec_b64 s[4:5], s[8:9]
	s_cbranch_execz .LBB94_44
.LBB94_60:
	ds_read_b64 v[6:7], v30 offset:264
	s_waitcnt lgkmcnt(0)
	ds_write_b64 v21, v[6:7] offset:16
	s_or_b64 exec, exec, s[4:5]
	v_add_u32_e32 v31, 0x2380, v31
	s_and_saveexec_b64 s[4:5], s[10:11]
	s_cbranch_execnz .LBB94_45
	s_branch .LBB94_46
.LBB94_61:
                                        ; implicit-def: $vgpr16_vgpr17
                                        ; implicit-def: $vgpr21
                                        ; implicit-def: $vgpr32
                                        ; implicit-def: $vgpr33
	s_cbranch_execz .LBB94_63
; %bb.62:
	s_lshl_b64 s[6:7], s[16:17], 6
	v_lshl_add_u64 v[2:3], v[4:5], 0, s[6:7]
	v_lshl_add_u64 v[8:9], v[2:3], 0, s[6:7]
	global_load_dwordx2 v[10:11], v[2:3], off offset:-256
	global_load_dwordx2 v[16:17], v[8:9], off offset:-256
	v_mov_b32_e32 v8, 0xc0
	global_load_dwordx2 v[2:3], v[4:5], off offset:-256
	v_mad_u64_u32 v[4:5], s[6:7], s16, v8, v[4:5]
	v_add_u32_e32 v5, s37, v5
	global_load_dwordx2 v[4:5], v[4:5], off offset:-256
	v_add_lshl_u32 v0, v1, v0, 3
	v_add_u32_e32 v21, 8, v18
	v_add_u32_e32 v32, 16, v18
	;; [unrolled: 1-line block ×3, first 2 shown]
	s_waitcnt vmcnt(1)
	ds_write_b64 v0, v[2:3]
	ds_write_b64 v0, v[10:11] offset:2112
	ds_write_b64 v0, v[16:17] offset:4224
	s_waitcnt vmcnt(0)
	ds_write_b64 v0, v[4:5] offset:6336
	v_mov_b64_e32 v[16:17], v[6:7]
.LBB94_63:
	v_lshlrev_b32_e32 v0, 3, v18
	s_waitcnt lgkmcnt(0)
	s_barrier
	v_add_lshl_u32 v1, v21, v19, 3
	v_lshlrev_b32_e32 v2, 3, v21
	v_add_lshl_u32 v3, v32, v19, 3
	ds_read_b64 v[34:35], v0 offset:9088
	ds_read_b64 v[36:37], v1
	ds_read_b64 v[38:39], v2 offset:9088
	ds_read_b64 v[40:41], v3
	v_lshlrev_b32_e32 v18, 3, v32
	v_add_lshl_u32 v19, v33, v19, 3
	v_lshlrev_b32_e32 v44, 3, v33
	ds_read_b64 v[20:21], v20
	ds_read_b128 v[8:11], v31 offset:256
	ds_read_b64 v[32:33], v28
	ds_read_b128 v[0:3], v31 offset:272
	ds_read2_b64 v[4:7], v30 offset1:33
	ds_read_b64 v[30:31], v18 offset:9088
	ds_read_b64 v[42:43], v19
	ds_read_b64 v[44:45], v44 offset:9088
	ds_read_b64 v[18:19], v29
	s_waitcnt lgkmcnt(6)
	v_fma_f64 v[32:33], v[32:33], v[34:35], 0
	v_fmac_f64_e32 v[32:33], v[36:37], v[38:39]
	s_waitcnt lgkmcnt(3)
	v_fmac_f64_e32 v[32:33], v[40:41], v[30:31]
	s_waitcnt lgkmcnt(1)
	;; [unrolled: 2-line block ×3, first 2 shown]
	s_barrier
	ds_write_b64 v28, v[32:33]
	s_waitcnt lgkmcnt(0)
	s_barrier
	s_and_saveexec_b64 s[6:7], s[4:5]
	s_cbranch_execz .LBB94_65
; %bb.64:
	ds_read2_b64 v[30:33], v23 offset1:1
	ds_read2_b64 v[34:37], v23 offset0:2 offset1:3
	ds_read2_b64 v[38:41], v23 offset0:4 offset1:5
	s_waitcnt lgkmcnt(2)
	v_add_f64 v[26:27], v[26:27], v[30:31]
	v_add_f64 v[26:27], v[26:27], v[32:33]
	ds_read2_b64 v[30:33], v23 offset0:6 offset1:7
	s_waitcnt lgkmcnt(2)
	v_add_f64 v[26:27], v[26:27], v[34:35]
	v_add_f64 v[26:27], v[26:27], v[36:37]
	s_waitcnt lgkmcnt(1)
	v_add_f64 v[26:27], v[26:27], v[38:39]
	v_add_f64 v[26:27], v[26:27], v[40:41]
	;; [unrolled: 3-line block ×3, first 2 shown]
.LBB94_65:
	s_or_b64 exec, exec, s[6:7]
	v_fma_f64 v[8:9], v[20:21], v[8:9], 0
	v_fmac_f64_e32 v[8:9], v[4:5], v[10:11]
	v_fmac_f64_e32 v[8:9], v[6:7], v[0:1]
	;; [unrolled: 1-line block ×3, first 2 shown]
	s_barrier
	ds_write_b64 v28, v[8:9]
	s_waitcnt lgkmcnt(0)
	s_barrier
	s_and_saveexec_b64 s[4:5], s[12:13]
	s_cbranch_execz .LBB94_67
; %bb.66:
	ds_read2_b64 v[0:3], v23 offset1:1
	ds_read2_b64 v[4:7], v23 offset0:2 offset1:3
	ds_read2_b64 v[8:11], v23 offset0:4 offset1:5
	s_waitcnt lgkmcnt(2)
	v_add_f64 v[0:1], v[26:27], v[0:1]
	v_add_f64 v[18:19], v[0:1], v[2:3]
	ds_read2_b64 v[0:3], v23 offset0:6 offset1:7
	s_waitcnt lgkmcnt(2)
	v_add_f64 v[4:5], v[18:19], v[4:5]
	v_add_f64 v[4:5], v[4:5], v[6:7]
	s_waitcnt lgkmcnt(1)
	v_add_f64 v[4:5], v[4:5], v[8:9]
	v_add_f64 v[4:5], v[4:5], v[10:11]
	s_waitcnt lgkmcnt(0)
	v_add_f64 v[0:1], v[4:5], v[0:1]
	v_add_f64 v[26:27], v[0:1], v[2:3]
.LBB94_67:
	s_or_b64 exec, exec, s[4:5]
	s_mul_hi_u32 s4, s35, s3
	s_mul_i32 s36, s36, s3
	s_add_i32 s4, s4, s36
	s_mul_i32 s3, s35, s3
	s_mul_i32 s4, s4, s33
	s_mul_hi_u32 s5, s3, s33
	s_add_i32 s5, s5, s4
	s_mul_i32 s4, s3, s33
	s_lshl_b64 s[4:5], s[4:5], 3
	s_add_u32 s3, s28, s4
	s_addc_u32 s6, s29, s5
	s_mul_hi_i32 s5, s35, s2
	s_mul_i32 s4, s35, s2
	s_lshl_b64 s[4:5], s[4:5], 3
	s_add_u32 s8, s3, s4
	s_addc_u32 s9, s6, s5
	s_add_i32 s3, s2, 1
	s_cmp_ge_u32 s3, s33
	v_lshlrev_b32_e32 v28, 3, v122
	s_barrier
	s_cbranch_scc1 .LBB94_124
; %bb.68:
	s_mul_i32 s3, s22, s25
	s_mul_hi_u32 s4, s22, s24
	s_add_i32 s3, s4, s3
	s_mul_i32 s4, s23, s24
	s_add_i32 s5, s3, s4
	s_mul_i32 s4, s22, s24
	s_lshl_b64 s[4:5], s[4:5], 3
	v_mov_b32_e32 v0, s5
	v_subrev_co_u32_e32 v30, vcc, s4, v12
	v_and_b32_e32 v2, 48, v122
	s_nop 0
	v_subb_co_u32_e32 v31, vcc, v13, v0, vcc
	v_and_b32_e32 v0, 15, v122
	v_lshlrev_b32_e32 v3, 3, v2
	s_movk_i32 s4, 0x218
	v_lshrrev_b32_e32 v1, 4, v22
	v_mad_u32_u24 v127, v0, s4, v3
	v_or_b32_e32 v3, 0x78, v28
	v_mad_u32_u24 v128, v0, s4, v3
	v_lshlrev_b32_e32 v3, 5, v1
	v_lshlrev_b32_e32 v6, 5, v123
	v_mad_u32_u24 v129, v0, s4, v3
	s_movk_i32 s4, 0x860
	v_add_u32_e32 v3, 0x100, v6
	v_mad_u32_u24 v134, v123, s4, v28
	v_mul_i32_i24_e32 v7, 0xffffffe8, v1
	v_or_b32_e32 v147, v2, v0
	v_mad_u64_u32 v[0:1], s[4:5], s16, v3, 0
	v_mov_b32_e32 v2, v1
	v_mad_u64_u32 v[2:3], s[4:5], s17, v3, v[2:3]
	v_mov_b32_e32 v1, v2
	v_lshlrev_b64 v[2:3], 3, v[14:15]
	v_sub_co_u32_e32 v0, vcc, v0, v2
	v_add_u32_e32 v5, 0x110, v6
	s_nop 0
	v_subb_co_u32_e32 v1, vcc, v1, v3, vcc
	v_lshl_add_u64 v[32:33], v[16:17], 0, v[0:1]
	v_mad_u64_u32 v[0:1], s[4:5], s16, v5, 0
	v_mov_b32_e32 v4, v1
	v_mad_u64_u32 v[4:5], s[4:5], s17, v5, v[4:5]
	v_mov_b32_e32 v1, v4
	v_sub_co_u32_e32 v0, vcc, v0, v2
	v_add_u32_e32 v5, 0x108, v6
	s_nop 0
	v_subb_co_u32_e32 v1, vcc, v1, v3, vcc
	v_lshl_add_u64 v[34:35], v[16:17], 0, v[0:1]
	v_mad_u64_u32 v[0:1], s[4:5], s16, v5, 0
	v_mov_b32_e32 v4, v1
	v_mad_u64_u32 v[4:5], s[4:5], s17, v5, v[4:5]
	v_mov_b32_e32 v1, v4
	;; [unrolled: 9-line block ×15, first 2 shown]
	v_sub_co_u32_e32 v0, vcc, v0, v2
	v_lshlrev_b32_e32 v124, 2, v123
	s_nop 0
	v_subb_co_u32_e32 v1, vcc, v1, v3, vcc
	s_add_i32 s3, s33, -2
	v_add_u32_e32 v125, 0x2180, v28
	v_add_u32_e32 v126, 0x2380, v28
	v_cmp_gt_u32_e64 s[6:7], 64, v22
	v_or_b32_e32 v130, 1, v124
	v_or_b32_e32 v131, 2, v124
	;; [unrolled: 1-line block ×3, first 2 shown]
	v_add_u32_e32 v133, 0x2180, v6
	v_add_u32_e32 v135, 16, v124
	;; [unrolled: 1-line block ×13, first 2 shown]
	s_add_i32 s21, s22, 64
	v_mov_b32_e32 v29, 0
	s_lshl_b64 s[10:11], s[16:17], 9
	v_lshl_add_u64 v[62:63], v[16:17], 0, v[0:1]
	v_add_u32_e32 v148, v129, v7
	s_cmp_eq_u32 s3, s2
	s_cselect_b32 s16, s34, 0
	s_and_saveexec_b64 s[4:5], s[0:1]
	s_cbranch_execz .LBB94_72
.LBB94_69:
	s_cmp_eq_u32 s16, 0
	s_cselect_b64 s[12:13], -1, 0
	v_cmp_gt_i32_e32 vcc, s16, v122
	s_or_b64 s[14:15], s[12:13], vcc
	v_mov_b64_e32 v[0:1], 0
	s_and_saveexec_b64 s[12:13], s[14:15]
	s_cbranch_execz .LBB94_71
; %bb.70:
	s_ashr_i32 s14, s21, 31
	s_mul_i32 s15, s21, s25
	s_mul_hi_u32 s17, s21, s24
	s_add_i32 s15, s17, s15
	s_mul_i32 s14, s14, s24
	s_add_i32 s15, s15, s14
	s_mul_i32 s14, s21, s24
	v_lshl_add_u64 v[0:1], s[14:15], 3, v[30:31]
	global_load_dwordx2 v[0:1], v[0:1], off
.LBB94_71:
	s_or_b64 exec, exec, s[12:13]
	s_waitcnt vmcnt(0)
	ds_write_b64 v125, v[0:1]
.LBB94_72:                              ; =>This Inner Loop Header: Depth=1
	s_or_b64 exec, exec, s[4:5]
	s_cmp_eq_u32 s16, 0
	s_cselect_b64 s[12:13], -1, 0
	s_cmp_lg_u32 s16, 0
	s_cselect_b64 s[14:15], -1, 0
	v_lshl_add_u64 v[0:1], v[32:33], 0, v[28:29]
	s_and_b64 vcc, exec, s[14:15]
	s_waitcnt lgkmcnt(0)
	s_barrier
	s_cbranch_vccz .LBB94_120
; %bb.73:                               ;   in Loop: Header=BB94_72 Depth=1
	v_mov_b64_e32 v[64:65], 0
	v_cmp_gt_i32_e32 vcc, s16, v124
	v_mov_b64_e32 v[66:67], v[64:65]
	s_and_saveexec_b64 s[4:5], vcc
	s_cbranch_execz .LBB94_75
; %bb.74:                               ;   in Loop: Header=BB94_72 Depth=1
	global_load_dwordx2 v[66:67], v[0:1], off
.LBB94_75:                              ;   in Loop: Header=BB94_72 Depth=1
	s_or_b64 exec, exec, s[4:5]
	v_cmp_gt_i32_e32 vcc, s16, v130
	s_and_saveexec_b64 s[4:5], vcc
	s_cbranch_execz .LBB94_77
; %bb.76:                               ;   in Loop: Header=BB94_72 Depth=1
	v_lshl_add_u64 v[2:3], v[36:37], 0, v[28:29]
	global_load_dwordx2 v[64:65], v[2:3], off
.LBB94_77:                              ;   in Loop: Header=BB94_72 Depth=1
	s_or_b64 exec, exec, s[4:5]
	v_mov_b64_e32 v[68:69], 0
	v_cmp_gt_i32_e32 vcc, s16, v131
	v_mov_b64_e32 v[70:71], v[68:69]
	s_and_saveexec_b64 s[4:5], vcc
	s_cbranch_execz .LBB94_79
; %bb.78:                               ;   in Loop: Header=BB94_72 Depth=1
	v_lshl_add_u64 v[2:3], v[34:35], 0, v[28:29]
	global_load_dwordx2 v[70:71], v[2:3], off
.LBB94_79:                              ;   in Loop: Header=BB94_72 Depth=1
	s_or_b64 exec, exec, s[4:5]
	v_cmp_gt_i32_e32 vcc, s16, v132
	s_and_saveexec_b64 s[4:5], vcc
	s_cbranch_execz .LBB94_81
; %bb.80:                               ;   in Loop: Header=BB94_72 Depth=1
	v_lshl_add_u64 v[2:3], v[38:39], 0, v[28:29]
	global_load_dwordx2 v[68:69], v[2:3], off
.LBB94_81:                              ;   in Loop: Header=BB94_72 Depth=1
	s_or_b64 exec, exec, s[4:5]
	s_branch .LBB94_83
.LBB94_82:                              ;   in Loop: Header=BB94_72 Depth=1
	global_load_dwordx2 v[66:67], v[0:1], off
	v_lshl_add_u64 v[0:1], v[36:37], 0, v[28:29]
	global_load_dwordx2 v[64:65], v[0:1], off
	v_lshl_add_u64 v[0:1], v[34:35], 0, v[28:29]
	;; [unrolled: 2-line block ×3, first 2 shown]
	global_load_dwordx2 v[68:69], v[0:1], off
.LBB94_83:                              ;   in Loop: Header=BB94_72 Depth=1
	ds_read_b64 v[0:1], v126
	ds_read_b64 v[72:73], v133
	v_cndmask_b32_e64 v8, 0, 1, s[14:15]
	v_cmp_ne_u32_e64 s[4:5], 1, v8
	s_andn2_b64 vcc, exec, s[14:15]
	s_waitcnt vmcnt(0) lgkmcnt(1)
	v_mul_f64 v[2:3], v[66:67], v[0:1]
	v_mul_f64 v[4:5], v[64:65], v[0:1]
	ds_write_b64 v134, v[2:3]
	v_mul_f64 v[6:7], v[70:71], v[0:1]
	ds_read_b64 v[74:75], v133 offset:8
	ds_write_b64 v134, v[4:5] offset:536
	ds_read_b64 v[76:77], v133 offset:16
	ds_write_b64 v134, v[6:7] offset:1072
	v_mul_f64 v[0:1], v[68:69], v[0:1]
	ds_read_b64 v[78:79], v133 offset:24
	ds_write_b64 v134, v[0:1] offset:1608
	s_waitcnt lgkmcnt(0)
	s_barrier
	ds_read2_b64 v[4:7], v129 offset1:1
	ds_read2_b64 v[0:3], v129 offset0:2 offset1:3
	v_lshl_add_u64 v[8:9], v[40:41], 0, v[28:29]
	s_waitcnt lgkmcnt(0)
	s_barrier
	s_cbranch_vccnz .LBB94_121
; %bb.84:                               ;   in Loop: Header=BB94_72 Depth=1
	v_mov_b64_e32 v[80:81], 0
	v_cmp_gt_i32_e32 vcc, s16, v135
	v_mov_b64_e32 v[82:83], v[80:81]
	s_and_saveexec_b64 s[14:15], vcc
	s_cbranch_execz .LBB94_86
; %bb.85:                               ;   in Loop: Header=BB94_72 Depth=1
	global_load_dwordx2 v[82:83], v[8:9], off
.LBB94_86:                              ;   in Loop: Header=BB94_72 Depth=1
	s_or_b64 exec, exec, s[14:15]
	v_cmp_gt_i32_e32 vcc, s16, v136
	s_and_saveexec_b64 s[14:15], vcc
	s_cbranch_execz .LBB94_88
; %bb.87:                               ;   in Loop: Header=BB94_72 Depth=1
	v_lshl_add_u64 v[10:11], v[42:43], 0, v[28:29]
	global_load_dwordx2 v[80:81], v[10:11], off
.LBB94_88:                              ;   in Loop: Header=BB94_72 Depth=1
	s_or_b64 exec, exec, s[14:15]
	v_mov_b64_e32 v[84:85], 0
	v_cmp_gt_i32_e32 vcc, s16, v137
	v_mov_b64_e32 v[86:87], v[84:85]
	s_and_saveexec_b64 s[14:15], vcc
	s_cbranch_execz .LBB94_90
; %bb.89:                               ;   in Loop: Header=BB94_72 Depth=1
	v_lshl_add_u64 v[10:11], v[44:45], 0, v[28:29]
	global_load_dwordx2 v[86:87], v[10:11], off
.LBB94_90:                              ;   in Loop: Header=BB94_72 Depth=1
	s_or_b64 exec, exec, s[14:15]
	v_cmp_gt_i32_e32 vcc, s16, v138
	s_and_saveexec_b64 s[14:15], vcc
	s_cbranch_execz .LBB94_92
; %bb.91:                               ;   in Loop: Header=BB94_72 Depth=1
	v_lshl_add_u64 v[10:11], v[46:47], 0, v[28:29]
	global_load_dwordx2 v[84:85], v[10:11], off
.LBB94_92:                              ;   in Loop: Header=BB94_72 Depth=1
	s_or_b64 exec, exec, s[14:15]
	s_branch .LBB94_94
.LBB94_93:                              ;   in Loop: Header=BB94_72 Depth=1
	global_load_dwordx2 v[82:83], v[8:9], off
	v_lshl_add_u64 v[8:9], v[42:43], 0, v[28:29]
	global_load_dwordx2 v[80:81], v[8:9], off
	v_lshl_add_u64 v[8:9], v[44:45], 0, v[28:29]
	global_load_dwordx2 v[86:87], v[8:9], off
	v_lshl_add_u64 v[8:9], v[46:47], 0, v[28:29]
	global_load_dwordx2 v[84:85], v[8:9], off
.LBB94_94:                              ;   in Loop: Header=BB94_72 Depth=1
	ds_read_b64 v[8:9], v126
	ds_read_b64 v[88:89], v133 offset:128
	s_and_b64 vcc, exec, s[4:5]
	v_lshl_add_u64 v[16:17], v[48:49], 0, v[28:29]
	s_waitcnt vmcnt(0) lgkmcnt(1)
	v_mul_f64 v[10:11], v[82:83], v[8:9]
	v_mul_f64 v[12:13], v[80:81], v[8:9]
	ds_write_b64 v134, v[10:11]
	v_mul_f64 v[14:15], v[86:87], v[8:9]
	ds_read_b64 v[90:91], v133 offset:136
	ds_write_b64 v134, v[12:13] offset:536
	ds_read_b64 v[92:93], v133 offset:144
	ds_write_b64 v134, v[14:15] offset:1072
	v_mul_f64 v[8:9], v[84:85], v[8:9]
	ds_read_b64 v[94:95], v133 offset:152
	ds_write_b64 v134, v[8:9] offset:1608
	s_waitcnt lgkmcnt(0)
	s_barrier
	ds_read2_b64 v[12:15], v129 offset1:1
	ds_read2_b64 v[8:11], v129 offset0:2 offset1:3
	s_waitcnt lgkmcnt(0)
	s_barrier
	s_cbranch_vccnz .LBB94_122
; %bb.95:                               ;   in Loop: Header=BB94_72 Depth=1
	v_mov_b64_e32 v[96:97], 0
	v_cmp_gt_i32_e32 vcc, s16, v139
	v_mov_b64_e32 v[98:99], v[96:97]
	s_and_saveexec_b64 s[14:15], vcc
	s_cbranch_execz .LBB94_97
; %bb.96:                               ;   in Loop: Header=BB94_72 Depth=1
	global_load_dwordx2 v[98:99], v[16:17], off
.LBB94_97:                              ;   in Loop: Header=BB94_72 Depth=1
	s_or_b64 exec, exec, s[14:15]
	v_cmp_gt_i32_e32 vcc, s16, v140
	s_and_saveexec_b64 s[14:15], vcc
	s_cbranch_execz .LBB94_99
; %bb.98:                               ;   in Loop: Header=BB94_72 Depth=1
	v_lshl_add_u64 v[18:19], v[50:51], 0, v[28:29]
	global_load_dwordx2 v[96:97], v[18:19], off
.LBB94_99:                              ;   in Loop: Header=BB94_72 Depth=1
	s_or_b64 exec, exec, s[14:15]
	v_mov_b64_e32 v[100:101], 0
	v_cmp_gt_i32_e32 vcc, s16, v141
	v_mov_b64_e32 v[102:103], v[100:101]
	s_and_saveexec_b64 s[14:15], vcc
	s_cbranch_execz .LBB94_101
; %bb.100:                              ;   in Loop: Header=BB94_72 Depth=1
	v_lshl_add_u64 v[18:19], v[52:53], 0, v[28:29]
	global_load_dwordx2 v[102:103], v[18:19], off
.LBB94_101:                             ;   in Loop: Header=BB94_72 Depth=1
	s_or_b64 exec, exec, s[14:15]
	v_cmp_gt_i32_e32 vcc, s16, v142
	s_and_saveexec_b64 s[14:15], vcc
	s_cbranch_execz .LBB94_103
; %bb.102:                              ;   in Loop: Header=BB94_72 Depth=1
	v_lshl_add_u64 v[18:19], v[54:55], 0, v[28:29]
	global_load_dwordx2 v[100:101], v[18:19], off
.LBB94_103:                             ;   in Loop: Header=BB94_72 Depth=1
	s_or_b64 exec, exec, s[14:15]
	s_branch .LBB94_105
.LBB94_104:                             ;   in Loop: Header=BB94_72 Depth=1
	global_load_dwordx2 v[98:99], v[16:17], off
	v_lshl_add_u64 v[16:17], v[50:51], 0, v[28:29]
	global_load_dwordx2 v[96:97], v[16:17], off
	v_lshl_add_u64 v[16:17], v[52:53], 0, v[28:29]
	;; [unrolled: 2-line block ×3, first 2 shown]
	global_load_dwordx2 v[100:101], v[16:17], off
.LBB94_105:                             ;   in Loop: Header=BB94_72 Depth=1
	ds_read_b64 v[16:17], v126
	ds_read_b64 v[104:105], v133 offset:256
	s_and_b64 vcc, exec, s[4:5]
	v_lshl_add_u64 v[120:121], v[56:57], 0, v[28:29]
	s_waitcnt vmcnt(0) lgkmcnt(1)
	v_mul_f64 v[18:19], v[98:99], v[16:17]
	v_mul_f64 v[20:21], v[96:97], v[16:17]
	ds_write_b64 v134, v[18:19]
	v_mul_f64 v[22:23], v[102:103], v[16:17]
	ds_read_b64 v[106:107], v133 offset:264
	ds_write_b64 v134, v[20:21] offset:536
	ds_read_b64 v[108:109], v133 offset:272
	ds_write_b64 v134, v[22:23] offset:1072
	v_mul_f64 v[16:17], v[100:101], v[16:17]
	ds_read_b64 v[110:111], v133 offset:280
	ds_write_b64 v134, v[16:17] offset:1608
	s_waitcnt lgkmcnt(0)
	s_barrier
	ds_read2_b64 v[20:23], v129 offset1:1
	ds_read2_b64 v[16:19], v129 offset0:2 offset1:3
	s_waitcnt lgkmcnt(0)
	s_barrier
	s_cbranch_vccnz .LBB94_123
; %bb.106:                              ;   in Loop: Header=BB94_72 Depth=1
	v_mov_b64_e32 v[112:113], 0
	v_cmp_gt_i32_e32 vcc, s16, v143
	v_mov_b64_e32 v[114:115], v[112:113]
	s_and_saveexec_b64 s[4:5], vcc
	s_cbranch_execz .LBB94_108
; %bb.107:                              ;   in Loop: Header=BB94_72 Depth=1
	global_load_dwordx2 v[114:115], v[120:121], off
.LBB94_108:                             ;   in Loop: Header=BB94_72 Depth=1
	s_or_b64 exec, exec, s[4:5]
	v_cmp_gt_i32_e32 vcc, s16, v144
	s_and_saveexec_b64 s[4:5], vcc
	s_cbranch_execz .LBB94_110
; %bb.109:                              ;   in Loop: Header=BB94_72 Depth=1
	v_lshl_add_u64 v[112:113], v[58:59], 0, v[28:29]
	global_load_dwordx2 v[112:113], v[112:113], off
.LBB94_110:                             ;   in Loop: Header=BB94_72 Depth=1
	s_or_b64 exec, exec, s[4:5]
	v_mov_b64_e32 v[116:117], 0
	v_cmp_gt_i32_e32 vcc, s16, v145
	v_mov_b64_e32 v[118:119], v[116:117]
	s_and_saveexec_b64 s[4:5], vcc
	s_cbranch_execz .LBB94_112
; %bb.111:                              ;   in Loop: Header=BB94_72 Depth=1
	v_lshl_add_u64 v[118:119], v[60:61], 0, v[28:29]
	global_load_dwordx2 v[118:119], v[118:119], off
.LBB94_112:                             ;   in Loop: Header=BB94_72 Depth=1
	s_or_b64 exec, exec, s[4:5]
	v_cmp_gt_i32_e32 vcc, s16, v146
	s_and_saveexec_b64 s[4:5], vcc
	s_cbranch_execz .LBB94_114
; %bb.113:                              ;   in Loop: Header=BB94_72 Depth=1
	v_lshl_add_u64 v[116:117], v[62:63], 0, v[28:29]
	global_load_dwordx2 v[116:117], v[116:117], off
.LBB94_114:                             ;   in Loop: Header=BB94_72 Depth=1
	s_or_b64 exec, exec, s[4:5]
	s_branch .LBB94_116
.LBB94_115:                             ;   in Loop: Header=BB94_72 Depth=1
	s_waitcnt vmcnt(0)
	v_lshl_add_u64 v[116:117], v[60:61], 0, v[28:29]
	v_lshl_add_u64 v[112:113], v[58:59], 0, v[28:29]
	global_load_dwordx2 v[118:119], v[116:117], off
	v_lshl_add_u64 v[116:117], v[62:63], 0, v[28:29]
	global_load_dwordx2 v[114:115], v[120:121], off
	s_nop 0
	global_load_dwordx2 v[112:113], v[112:113], off
	s_nop 0
	global_load_dwordx2 v[116:117], v[116:117], off
.LBB94_116:                             ;   in Loop: Header=BB94_72 Depth=1
	v_add_f64 v[12:13], v[12:13], 0
	v_add_f64 v[12:13], v[12:13], v[14:15]
	ds_read_b64 v[14:15], v126
	v_add_f64 v[20:21], v[20:21], 0
	v_add_f64 v[20:21], v[20:21], v[22:23]
	;; [unrolled: 1-line block ×7, first 2 shown]
	ds_read_b64 v[4:5], v133 offset:384
	s_waitcnt vmcnt(0) lgkmcnt(1)
	v_mul_f64 v[8:9], v[114:115], v[14:15]
	ds_write_b64 v134, v[8:9]
	v_mul_f64 v[10:11], v[112:113], v[14:15]
	ds_read_b64 v[8:9], v133 offset:392
	ds_write_b64 v134, v[10:11] offset:536
	v_mul_f64 v[12:13], v[118:119], v[14:15]
	ds_read_b64 v[10:11], v133 offset:400
	ds_write_b64 v134, v[12:13] offset:1072
	;; [unrolled: 3-line block ×3, first 2 shown]
	s_waitcnt lgkmcnt(0)
	s_barrier
	ds_read2_b64 v[14:17], v129 offset1:1
	v_add_f64 v[6:7], v[18:19], v[6:7]
	ds_read2_b64 v[18:21], v129 offset0:2 offset1:3
	v_add_f64 v[0:1], v[6:7], v[0:1]
	v_add_f64 v[0:1], v[0:1], v[2:3]
	s_waitcnt lgkmcnt(1)
	v_add_f64 v[2:3], v[14:15], 0
	v_cmp_gt_i32_e32 vcc, s16, v122
	v_add_f64 v[2:3], v[2:3], v[16:17]
	s_or_b64 s[4:5], s[12:13], vcc
	s_waitcnt lgkmcnt(0)
	v_add_f64 v[2:3], v[2:3], v[18:19]
	s_and_b64 s[12:13], s[6:7], s[4:5]
	v_add_f64 v[2:3], v[2:3], v[20:21]
	s_barrier
	ds_write2_b64 v148, v[0:1], v[120:121] offset1:16
	ds_write2_b64 v148, v[22:23], v[2:3] offset0:32 offset1:48
	s_waitcnt lgkmcnt(0)
	s_barrier
	s_and_saveexec_b64 s[4:5], s[12:13]
	s_cbranch_execz .LBB94_118
; %bb.117:                              ;   in Loop: Header=BB94_72 Depth=1
	ds_read2_b64 v[0:3], v127 offset1:1
	ds_read2_b64 v[14:17], v127 offset0:2 offset1:3
	ds_read2_b64 v[18:21], v127 offset0:4 offset1:5
	;; [unrolled: 1-line block ×3, first 2 shown]
	s_waitcnt lgkmcnt(3)
	v_add_f64 v[0:1], v[0:1], v[2:3]
	s_waitcnt lgkmcnt(2)
	v_add_f64 v[0:1], v[0:1], v[14:15]
	v_add_f64 v[0:1], v[0:1], v[16:17]
	s_waitcnt lgkmcnt(1)
	v_add_f64 v[6:7], v[0:1], v[18:19]
	ds_read2_b64 v[0:3], v127 offset0:8 offset1:9
	ds_read2_b64 v[14:17], v127 offset0:10 offset1:11
	v_add_f64 v[6:7], v[6:7], v[20:21]
	s_waitcnt lgkmcnt(2)
	v_add_f64 v[6:7], v[6:7], v[150:151]
	v_add_f64 v[6:7], v[6:7], v[152:153]
	s_waitcnt lgkmcnt(1)
	v_add_f64 v[0:1], v[6:7], v[0:1]
	v_add_f64 v[6:7], v[0:1], v[2:3]
	ds_read2_b64 v[0:3], v127 offset0:12 offset1:13
	s_waitcnt lgkmcnt(1)
	v_add_f64 v[6:7], v[6:7], v[14:15]
	ds_read_b64 v[14:15], v127 offset:112
	ds_read_b64 v[18:19], v128
	v_add_f64 v[6:7], v[6:7], v[16:17]
	s_waitcnt lgkmcnt(2)
	v_add_f64 v[0:1], v[6:7], v[0:1]
	v_add_f64 v[0:1], v[0:1], v[2:3]
	v_add_u32_e32 v2, s21, v147
	s_waitcnt lgkmcnt(1)
	v_add_f64 v[0:1], v[0:1], v[14:15]
	v_ashrrev_i32_e32 v3, 31, v2
	s_waitcnt lgkmcnt(0)
	v_add_f64 v[0:1], v[0:1], v[18:19]
	v_lshl_add_u64 v[2:3], v[2:3], 3, s[8:9]
	global_store_dwordx2 v[2:3], v[0:1], off
.LBB94_118:                             ;   in Loop: Header=BB94_72 Depth=1
	s_or_b64 exec, exec, s[4:5]
	v_fmac_f64_e32 v[26:27], v[66:67], v[72:73]
	v_fmac_f64_e32 v[26:27], v[64:65], v[74:75]
	;; [unrolled: 1-line block ×15, first 2 shown]
	s_add_i32 s4, s2, 1
	s_add_i32 s21, s21, 64
	s_add_i32 s2, s2, 2
	v_fmac_f64_e32 v[26:27], v[116:117], v[12:13]
	v_lshl_add_u64 v[32:33], v[32:33], 0, s[10:11]
	v_lshl_add_u64 v[34:35], v[34:35], 0, s[10:11]
	;; [unrolled: 1-line block ×15, first 2 shown]
	s_cmp_ge_u32 s2, s33
	v_lshl_add_u64 v[62:63], v[62:63], 0, s[10:11]
	s_barrier
	s_cbranch_scc1 .LBB94_124
; %bb.119:                              ;   in Loop: Header=BB94_72 Depth=1
	s_mov_b32 s2, s4
	s_cmp_eq_u32 s3, s2
	s_cselect_b32 s16, s34, 0
	s_and_saveexec_b64 s[4:5], s[0:1]
	s_cbranch_execnz .LBB94_69
	s_branch .LBB94_72
.LBB94_120:                             ;   in Loop: Header=BB94_72 Depth=1
                                        ; implicit-def: $vgpr68_vgpr69
                                        ; implicit-def: $vgpr70_vgpr71
                                        ; implicit-def: $vgpr64_vgpr65
                                        ; implicit-def: $vgpr66_vgpr67
	s_cbranch_execnz .LBB94_82
	s_branch .LBB94_83
.LBB94_121:                             ;   in Loop: Header=BB94_72 Depth=1
                                        ; implicit-def: $vgpr84_vgpr85
                                        ; implicit-def: $vgpr86_vgpr87
                                        ; implicit-def: $vgpr80_vgpr81
                                        ; implicit-def: $vgpr82_vgpr83
	s_cbranch_execnz .LBB94_93
	s_branch .LBB94_94
.LBB94_122:                             ;   in Loop: Header=BB94_72 Depth=1
                                        ; implicit-def: $vgpr100_vgpr101
                                        ; implicit-def: $vgpr102_vgpr103
                                        ; implicit-def: $vgpr96_vgpr97
                                        ; implicit-def: $vgpr98_vgpr99
	s_cbranch_execnz .LBB94_104
	s_branch .LBB94_105
.LBB94_123:                             ;   in Loop: Header=BB94_72 Depth=1
                                        ; implicit-def: $vgpr116_vgpr117
                                        ; implicit-def: $vgpr118_vgpr119
                                        ; implicit-def: $vgpr112_vgpr113
                                        ; implicit-def: $vgpr114_vgpr115
	s_cbranch_execnz .LBB94_115
	s_branch .LBB94_116
.LBB94_124:
	s_movk_i32 s2, 0x218
	v_cmp_gt_i32_e32 vcc, s20, v122
	v_mad_u32_u24 v0, v123, s2, v28
	s_or_b64 s[2:3], s[18:19], vcc
	s_and_b64 s[0:1], s[0:1], s[2:3]
	ds_write_b64 v0, v[26:27]
	s_waitcnt lgkmcnt(0)
	s_barrier
	s_and_saveexec_b64 s[2:3], s[0:1]
	s_cbranch_execz .LBB94_126
; %bb.125:
	ds_read2_b64 v[0:3], v28 offset1:67
	ds_read2_b64 v[4:7], v28 offset0:134 offset1:201
	s_waitcnt lgkmcnt(1)
	v_add_f64 v[0:1], v[0:1], v[2:3]
	s_waitcnt lgkmcnt(0)
	v_add_f64 v[0:1], v[0:1], v[4:5]
	v_add_f64 v[0:1], v[0:1], v[6:7]
	v_lshl_add_u64 v[2:3], v[24:25], 3, s[8:9]
	global_store_dwordx2 v[2:3], v[0:1], off
.LBB94_126:
	s_endpgm
	.section	.rodata,"a",@progbits
	.p2align	6, 0x0
	.amdhsa_kernel _ZL26rocblas_hemvn_kernel_upperILb0ELi64ELi4ELi33ELi32ELi16ElPKdS1_PdEviT6_lT7_lT5_lS4_lS5_lS3_lT8_i
		.amdhsa_group_segment_fixed_size 9600
		.amdhsa_private_segment_fixed_size 0
		.amdhsa_kernarg_size 376
		.amdhsa_user_sgpr_count 2
		.amdhsa_user_sgpr_dispatch_ptr 0
		.amdhsa_user_sgpr_queue_ptr 0
		.amdhsa_user_sgpr_kernarg_segment_ptr 1
		.amdhsa_user_sgpr_dispatch_id 0
		.amdhsa_user_sgpr_kernarg_preload_length 0
		.amdhsa_user_sgpr_kernarg_preload_offset 0
		.amdhsa_user_sgpr_private_segment_size 0
		.amdhsa_uses_dynamic_stack 0
		.amdhsa_enable_private_segment 0
		.amdhsa_system_sgpr_workgroup_id_x 1
		.amdhsa_system_sgpr_workgroup_id_y 0
		.amdhsa_system_sgpr_workgroup_id_z 1
		.amdhsa_system_sgpr_workgroup_info 0
		.amdhsa_system_vgpr_workitem_id 1
		.amdhsa_next_free_vgpr 154
		.amdhsa_next_free_sgpr 39
		.amdhsa_accum_offset 156
		.amdhsa_reserve_vcc 1
		.amdhsa_float_round_mode_32 0
		.amdhsa_float_round_mode_16_64 0
		.amdhsa_float_denorm_mode_32 3
		.amdhsa_float_denorm_mode_16_64 3
		.amdhsa_dx10_clamp 1
		.amdhsa_ieee_mode 1
		.amdhsa_fp16_overflow 0
		.amdhsa_tg_split 0
		.amdhsa_exception_fp_ieee_invalid_op 0
		.amdhsa_exception_fp_denorm_src 0
		.amdhsa_exception_fp_ieee_div_zero 0
		.amdhsa_exception_fp_ieee_overflow 0
		.amdhsa_exception_fp_ieee_underflow 0
		.amdhsa_exception_fp_ieee_inexact 0
		.amdhsa_exception_int_div_zero 0
	.end_amdhsa_kernel
	.section	.text._ZL26rocblas_hemvn_kernel_upperILb0ELi64ELi4ELi33ELi32ELi16ElPKdS1_PdEviT6_lT7_lT5_lS4_lS5_lS3_lT8_i,"axG",@progbits,_ZL26rocblas_hemvn_kernel_upperILb0ELi64ELi4ELi33ELi32ELi16ElPKdS1_PdEviT6_lT7_lT5_lS4_lS5_lS3_lT8_i,comdat
.Lfunc_end94:
	.size	_ZL26rocblas_hemvn_kernel_upperILb0ELi64ELi4ELi33ELi32ELi16ElPKdS1_PdEviT6_lT7_lT5_lS4_lS5_lS3_lT8_i, .Lfunc_end94-_ZL26rocblas_hemvn_kernel_upperILb0ELi64ELi4ELi33ELi32ELi16ElPKdS1_PdEviT6_lT7_lT5_lS4_lS5_lS3_lT8_i
                                        ; -- End function
	.section	.AMDGPU.csdata,"",@progbits
; Kernel info:
; codeLenInByte = 7172
; NumSgprs: 45
; NumVgprs: 154
; NumAgprs: 0
; TotalNumVgprs: 154
; ScratchSize: 0
; MemoryBound: 0
; FloatMode: 240
; IeeeMode: 1
; LDSByteSize: 9600 bytes/workgroup (compile time only)
; SGPRBlocks: 5
; VGPRBlocks: 19
; NumSGPRsForWavesPerEU: 45
; NumVGPRsForWavesPerEU: 154
; AccumOffset: 156
; Occupancy: 3
; WaveLimiterHint : 0
; COMPUTE_PGM_RSRC2:SCRATCH_EN: 0
; COMPUTE_PGM_RSRC2:USER_SGPR: 2
; COMPUTE_PGM_RSRC2:TRAP_HANDLER: 0
; COMPUTE_PGM_RSRC2:TGID_X_EN: 1
; COMPUTE_PGM_RSRC2:TGID_Y_EN: 0
; COMPUTE_PGM_RSRC2:TGID_Z_EN: 1
; COMPUTE_PGM_RSRC2:TIDIG_COMP_CNT: 1
; COMPUTE_PGM_RSRC3_GFX90A:ACCUM_OFFSET: 38
; COMPUTE_PGM_RSRC3_GFX90A:TG_SPLIT: 0
	.section	.text._ZL36rocblas_hemvn_kernel_upper_block_sumILi64ElPKdPddEviT1_lS3_lT2_lT0_lPT3_i,"axG",@progbits,_ZL36rocblas_hemvn_kernel_upper_block_sumILi64ElPKdPddEviT1_lS3_lT2_lT0_lPT3_i,comdat
	.globl	_ZL36rocblas_hemvn_kernel_upper_block_sumILi64ElPKdPddEviT1_lS3_lT2_lT0_lPT3_i ; -- Begin function _ZL36rocblas_hemvn_kernel_upper_block_sumILi64ElPKdPddEviT1_lS3_lT2_lT0_lPT3_i
	.p2align	8
	.type	_ZL36rocblas_hemvn_kernel_upper_block_sumILi64ElPKdPddEviT1_lS3_lT2_lT0_lPT3_i,@function
_ZL36rocblas_hemvn_kernel_upper_block_sumILi64ElPKdPddEviT1_lS3_lT2_lT0_lPT3_i: ; @_ZL36rocblas_hemvn_kernel_upper_block_sumILi64ElPKdPddEviT1_lS3_lT2_lT0_lPT3_i
; %bb.0:
	s_load_dwordx8 s[4:11], s[0:1], 0x8
	s_waitcnt lgkmcnt(0)
	s_mul_i32 s7, s3, s7
	s_mul_hi_u32 s12, s3, s6
	s_add_i32 s7, s12, s7
	s_mul_i32 s6, s3, s6
	s_lshl_b64 s[6:7], s[6:7], 3
	s_add_u32 s4, s4, s6
	s_addc_u32 s5, s5, s7
	s_load_dwordx2 s[12:13], s[4:5], 0x0
	s_mul_i32 s4, s3, s11
	s_mul_hi_u32 s5, s3, s10
	s_add_i32 s5, s5, s4
	s_mul_i32 s4, s3, s10
	s_lshl_b64 s[4:5], s[4:5], 3
	s_add_u32 s4, s8, s4
	s_addc_u32 s5, s9, s5
	s_load_dwordx2 s[14:15], s[4:5], 0x0
	s_waitcnt lgkmcnt(0)
	v_cmp_eq_f64_e64 s[4:5], s[12:13], 0
	v_cmp_eq_f64_e64 s[6:7], s[14:15], 1.0
	s_and_b64 s[4:5], s[4:5], s[6:7]
	s_and_b64 vcc, exec, s[4:5]
	s_cbranch_vccnz .LBB95_19
; %bb.1:
	s_load_dwordx8 s[4:11], s[0:1], 0x30
	s_load_dwordx2 s[16:17], s[0:1], 0x28
	s_load_dword s18, s[0:1], 0x0
	v_lshl_or_b32 v0, s2, 6, v0
	s_waitcnt lgkmcnt(0)
	s_mul_i32 s9, s3, s9
	s_mul_hi_u32 s19, s3, s8
	s_mul_i32 s8, s3, s8
	s_add_i32 s9, s19, s9
	s_lshl_b64 s[8:9], s[8:9], 3
	s_add_u32 s8, s16, s8
	s_addc_u32 s9, s17, s9
	s_lshl_b64 s[4:5], s[4:5], 3
	s_add_u32 s8, s8, s4
	s_addc_u32 s9, s9, s5
	v_cmp_neq_f64_e64 s[4:5], s[12:13], 0
	s_mov_b64 s[16:17], 0
	s_and_b64 vcc, exec, s[4:5]
	v_cmp_gt_i32_e64 s[4:5], s18, v0
	s_cbranch_vccnz .LBB95_6
; %bb.2:
	s_mov_b64 s[20:21], 0
                                        ; implicit-def: $vgpr2_vgpr3
                                        ; implicit-def: $vgpr4_vgpr5
	s_and_saveexec_b64 s[22:23], s[4:5]
	s_cbranch_execz .LBB95_7
; %bb.3:
	v_ashrrev_i32_e32 v1, 31, v0
	v_cmp_eq_f64_e64 s[4:5], s[14:15], 0
	v_mul_lo_u32 v6, v0, s7
	v_mul_lo_u32 v1, v1, s6
	v_mad_u64_u32 v[4:5], s[16:17], v0, s6, 0
	v_mov_b64_e32 v[2:3], 0
	v_add3_u32 v5, v5, v6, v1
	s_and_b64 vcc, exec, s[4:5]
	s_cbranch_vccnz .LBB95_5
; %bb.4:
	v_lshl_add_u64 v[2:3], v[4:5], 3, s[8:9]
	global_load_dwordx2 v[2:3], v[2:3], off
	s_waitcnt vmcnt(0)
	v_mul_f64 v[2:3], s[14:15], v[2:3]
.LBB95_5:
	s_mov_b64 s[16:17], exec
	s_or_b64 exec, exec, s[22:23]
	s_and_b64 vcc, exec, s[20:21]
	s_cbranch_vccnz .LBB95_8
	s_branch .LBB95_17
.LBB95_6:
                                        ; implicit-def: $vgpr2_vgpr3
                                        ; implicit-def: $vgpr4_vgpr5
	s_cbranch_execnz .LBB95_8
	s_branch .LBB95_17
.LBB95_7:
	s_or_b64 exec, exec, s[22:23]
	s_and_b64 vcc, exec, s[20:21]
	s_cbranch_vccz .LBB95_17
.LBB95_8:
	v_cmp_gt_i32_e32 vcc, s18, v0
                                        ; implicit-def: $vgpr2_vgpr3
                                        ; implicit-def: $vgpr4_vgpr5
	s_and_saveexec_b64 s[4:5], vcc
	s_cbranch_execz .LBB95_16
; %bb.9:
	v_ashrrev_i32_e32 v1, 31, v0
	s_cmp_lt_i32 s2, 0
	v_mov_b64_e32 v[6:7], 0
	s_cbranch_scc1 .LBB95_12
; %bb.10:
	s_load_dword s0, s[0:1], 0x58
	s_ashr_i32 s19, s18, 31
	s_mul_hi_u32 s1, s18, s3
	s_mul_i32 s20, s19, s3
	s_add_i32 s1, s1, s20
	s_mul_i32 s3, s18, s3
	s_waitcnt lgkmcnt(0)
	s_mul_i32 s1, s1, s0
	s_mul_hi_u32 s20, s3, s0
	s_add_i32 s1, s20, s1
	s_mul_i32 s0, s3, s0
	s_lshl_b64 s[0:1], s[0:1], 3
	s_add_u32 s0, s10, s0
	s_addc_u32 s1, s11, s1
	v_lshl_add_u64 v[2:3], v[0:1], 3, s[0:1]
	s_add_i32 s2, s2, 1
	s_lshl_b64 s[0:1], s[18:19], 3
	v_mov_b64_e32 v[6:7], 0
.LBB95_11:                              ; =>This Inner Loop Header: Depth=1
	global_load_dwordx2 v[4:5], v[2:3], off
	s_add_i32 s2, s2, -1
	v_lshl_add_u64 v[2:3], v[2:3], 0, s[0:1]
	s_cmp_eq_u32 s2, 0
	s_waitcnt vmcnt(0)
	v_add_f64 v[6:7], v[6:7], v[4:5]
	s_cbranch_scc0 .LBB95_11
.LBB95_12:
	v_cmp_eq_f64_e64 s[2:3], s[14:15], 0
	s_mov_b64 s[0:1], 0
	s_and_b64 vcc, exec, s[2:3]
	v_mul_lo_u32 v1, v1, s6
	v_mul_lo_u32 v8, v0, s7
	s_cbranch_vccz .LBB95_20
; %bb.13:
	v_mad_u64_u32 v[4:5], s[2:3], v0, s6, 0
	v_mul_f64 v[2:3], s[12:13], v[6:7]
	v_add3_u32 v5, v5, v8, v1
	s_andn2_b64 vcc, exec, s[0:1]
	s_cbranch_vccnz .LBB95_15
.LBB95_14:
	v_mad_u64_u32 v[4:5], s[0:1], v0, s6, 0
	v_add3_u32 v5, v5, v8, v1
	v_lshl_add_u64 v[0:1], v[4:5], 3, s[8:9]
	global_load_dwordx2 v[0:1], v[0:1], off
	s_waitcnt vmcnt(0)
	v_mul_f64 v[2:3], s[14:15], v[0:1]
	v_fmac_f64_e32 v[2:3], s[12:13], v[6:7]
.LBB95_15:
	s_or_b64 s[16:17], s[16:17], exec
.LBB95_16:
	s_or_b64 exec, exec, s[4:5]
.LBB95_17:
	s_and_saveexec_b64 s[0:1], s[16:17]
	s_cbranch_execz .LBB95_19
; %bb.18:
	v_lshl_add_u64 v[0:1], v[4:5], 3, s[8:9]
	global_store_dwordx2 v[0:1], v[2:3], off
.LBB95_19:
	s_endpgm
.LBB95_20:
                                        ; implicit-def: $vgpr2_vgpr3
                                        ; implicit-def: $vgpr4_vgpr5
	s_branch .LBB95_14
	.section	.rodata,"a",@progbits
	.p2align	6, 0x0
	.amdhsa_kernel _ZL36rocblas_hemvn_kernel_upper_block_sumILi64ElPKdPddEviT1_lS3_lT2_lT0_lPT3_i
		.amdhsa_group_segment_fixed_size 0
		.amdhsa_private_segment_fixed_size 0
		.amdhsa_kernarg_size 344
		.amdhsa_user_sgpr_count 2
		.amdhsa_user_sgpr_dispatch_ptr 0
		.amdhsa_user_sgpr_queue_ptr 0
		.amdhsa_user_sgpr_kernarg_segment_ptr 1
		.amdhsa_user_sgpr_dispatch_id 0
		.amdhsa_user_sgpr_kernarg_preload_length 0
		.amdhsa_user_sgpr_kernarg_preload_offset 0
		.amdhsa_user_sgpr_private_segment_size 0
		.amdhsa_uses_dynamic_stack 0
		.amdhsa_enable_private_segment 0
		.amdhsa_system_sgpr_workgroup_id_x 1
		.amdhsa_system_sgpr_workgroup_id_y 0
		.amdhsa_system_sgpr_workgroup_id_z 1
		.amdhsa_system_sgpr_workgroup_info 0
		.amdhsa_system_vgpr_workitem_id 0
		.amdhsa_next_free_vgpr 9
		.amdhsa_next_free_sgpr 24
		.amdhsa_accum_offset 12
		.amdhsa_reserve_vcc 1
		.amdhsa_float_round_mode_32 0
		.amdhsa_float_round_mode_16_64 0
		.amdhsa_float_denorm_mode_32 3
		.amdhsa_float_denorm_mode_16_64 3
		.amdhsa_dx10_clamp 1
		.amdhsa_ieee_mode 1
		.amdhsa_fp16_overflow 0
		.amdhsa_tg_split 0
		.amdhsa_exception_fp_ieee_invalid_op 0
		.amdhsa_exception_fp_denorm_src 0
		.amdhsa_exception_fp_ieee_div_zero 0
		.amdhsa_exception_fp_ieee_overflow 0
		.amdhsa_exception_fp_ieee_underflow 0
		.amdhsa_exception_fp_ieee_inexact 0
		.amdhsa_exception_int_div_zero 0
	.end_amdhsa_kernel
	.section	.text._ZL36rocblas_hemvn_kernel_upper_block_sumILi64ElPKdPddEviT1_lS3_lT2_lT0_lPT3_i,"axG",@progbits,_ZL36rocblas_hemvn_kernel_upper_block_sumILi64ElPKdPddEviT1_lS3_lT2_lT0_lPT3_i,comdat
.Lfunc_end95:
	.size	_ZL36rocblas_hemvn_kernel_upper_block_sumILi64ElPKdPddEviT1_lS3_lT2_lT0_lPT3_i, .Lfunc_end95-_ZL36rocblas_hemvn_kernel_upper_block_sumILi64ElPKdPddEviT1_lS3_lT2_lT0_lPT3_i
                                        ; -- End function
	.section	.AMDGPU.csdata,"",@progbits
; Kernel info:
; codeLenInByte = 660
; NumSgprs: 30
; NumVgprs: 9
; NumAgprs: 0
; TotalNumVgprs: 9
; ScratchSize: 0
; MemoryBound: 0
; FloatMode: 240
; IeeeMode: 1
; LDSByteSize: 0 bytes/workgroup (compile time only)
; SGPRBlocks: 3
; VGPRBlocks: 1
; NumSGPRsForWavesPerEU: 30
; NumVGPRsForWavesPerEU: 9
; AccumOffset: 12
; Occupancy: 8
; WaveLimiterHint : 0
; COMPUTE_PGM_RSRC2:SCRATCH_EN: 0
; COMPUTE_PGM_RSRC2:USER_SGPR: 2
; COMPUTE_PGM_RSRC2:TRAP_HANDLER: 0
; COMPUTE_PGM_RSRC2:TGID_X_EN: 1
; COMPUTE_PGM_RSRC2:TGID_Y_EN: 0
; COMPUTE_PGM_RSRC2:TGID_Z_EN: 1
; COMPUTE_PGM_RSRC2:TIDIG_COMP_CNT: 0
; COMPUTE_PGM_RSRC3_GFX90A:ACCUM_OFFSET: 2
; COMPUTE_PGM_RSRC3_GFX90A:TG_SPLIT: 0
	.section	.text._ZL26rocblas_hemvn_kernel_upperILb0ELi64ELi4ELi33ELi32ELi16EiPKdS1_PdEviT6_lT7_lT5_lS4_lS5_lS3_lT8_i,"axG",@progbits,_ZL26rocblas_hemvn_kernel_upperILb0ELi64ELi4ELi33ELi32ELi16EiPKdS1_PdEviT6_lT7_lT5_lS4_lS5_lS3_lT8_i,comdat
	.globl	_ZL26rocblas_hemvn_kernel_upperILb0ELi64ELi4ELi33ELi32ELi16EiPKdS1_PdEviT6_lT7_lT5_lS4_lS5_lS3_lT8_i ; -- Begin function _ZL26rocblas_hemvn_kernel_upperILb0ELi64ELi4ELi33ELi32ELi16EiPKdS1_PdEviT6_lT7_lT5_lS4_lS5_lS3_lT8_i
	.p2align	8
	.type	_ZL26rocblas_hemvn_kernel_upperILb0ELi64ELi4ELi33ELi32ELi16EiPKdS1_PdEviT6_lT7_lT5_lS4_lS5_lS3_lT8_i,@function
_ZL26rocblas_hemvn_kernel_upperILb0ELi64ELi4ELi33ELi32ELi16EiPKdS1_PdEviT6_lT7_lT5_lS4_lS5_lS3_lT8_i: ; @_ZL26rocblas_hemvn_kernel_upperILb0ELi64ELi4ELi33ELi32ELi16EiPKdS1_PdEviT6_lT7_lT5_lS4_lS5_lS3_lT8_i
; %bb.0:
	s_load_dwordx2 s[4:5], s[0:1], 0x84
	s_add_u32 s20, s0, 0x78
	s_addc_u32 s21, s1, 0
	s_waitcnt lgkmcnt(0)
	s_lshr_b32 s6, s4, 16
	s_and_b32 s4, s4, 0xffff
	s_and_b32 s5, s5, 0xffff
	s_mul_i32 s4, s6, s4
	s_mul_i32 s4, s4, s5
	s_cmpk_lg_i32 s4, 0x100
	s_cbranch_scc1 .LBB96_126
; %bb.1:
	s_load_dwordx8 s[4:11], s[0:1], 0x8
	s_load_dwordx8 s[12:19], s[0:1], 0x50
	s_waitcnt lgkmcnt(0)
	s_mul_i32 s7, s3, s7
	s_mul_hi_u32 s22, s3, s6
	s_mul_i32 s6, s3, s6
	s_add_i32 s7, s22, s7
	s_lshl_b64 s[6:7], s[6:7], 3
	s_mul_i32 s17, s3, s17
	s_add_u32 s4, s4, s6
	s_mul_hi_u32 s6, s3, s16
	s_addc_u32 s5, s5, s7
	s_add_i32 s7, s6, s17
	s_mul_i32 s6, s3, s16
	s_lshl_b64 s[6:7], s[6:7], 3
	s_add_u32 s6, s14, s6
	s_addc_u32 s7, s15, s7
	s_load_dwordx2 s[4:5], s[4:5], 0x0
	s_waitcnt lgkmcnt(0)
	v_cmp_eq_f64_e64 s[4:5], s[4:5], 0
	s_load_dwordx2 s[6:7], s[6:7], 0x0
	s_waitcnt lgkmcnt(0)
	v_cmp_eq_f64_e64 s[6:7], s[6:7], 1.0
	s_and_b64 s[6:7], s[4:5], s[6:7]
	s_and_b64 vcc, exec, s[6:7]
	s_cbranch_vccnz .LBB96_126
; %bb.2:
	s_and_b64 vcc, exec, s[4:5]
	s_cbranch_vccnz .LBB96_126
; %bb.3:
	s_load_dword s33, s[20:21], 0x0
	s_load_dword s36, s[0:1], 0x0
	s_load_dwordx4 s[4:7], s[0:1], 0x30
	s_load_dwordx2 s[14:15], s[0:1], 0x40
	s_load_dword s35, s[0:1], 0x48
	s_mul_i32 s13, s3, s13
	s_mul_hi_u32 s16, s3, s12
	s_add_i32 s13, s16, s13
	s_mul_i32 s12, s3, s12
	s_lshl_b64 s[12:13], s[12:13], 3
	s_waitcnt lgkmcnt(0)
	s_add_u32 s12, s6, s12
	s_addc_u32 s13, s7, s13
	s_lshl_b64 s[6:7], s[14:15], 3
	s_add_u32 s6, s12, s6
	s_addc_u32 s7, s13, s7
	s_ashr_i32 s37, s36, 31
	s_lshr_b32 s13, s37, 26
	v_and_b32_e32 v26, 0x3ff, v0
	s_lshl_b32 s24, s2, 6
	s_add_i32 s13, s36, s13
	s_andn2_b32 s13, s13, 63
	v_add_u32_e32 v24, s24, v26
	v_bfe_u32 v25, v0, 10, 10
	s_add_i32 s12, s33, -1
	s_sub_i32 s34, s36, s13
	v_mul_lo_u32 v0, v24, s35
	s_cmp_eq_u32 s2, s12
	v_ashrrev_i32_e32 v1, 31, v0
	s_cselect_b32 s16, s34, 0
	v_lshl_add_u64 v[14:15], v[0:1], 3, s[6:7]
	v_cmp_eq_u32_e64 s[12:13], 0, v25
	s_and_saveexec_b64 s[6:7], s[12:13]
	s_cbranch_execz .LBB96_7
; %bb.4:
	s_cmp_eq_u32 s16, 0
	s_cselect_b64 s[14:15], -1, 0
	v_cmp_gt_i32_e32 vcc, s16, v26
	s_or_b64 s[20:21], s[14:15], vcc
	v_mov_b64_e32 v[0:1], 0
	s_and_saveexec_b64 s[14:15], s[20:21]
	s_cbranch_execz .LBB96_6
; %bb.5:
	global_load_dwordx2 v[0:1], v[14:15], off
.LBB96_6:
	s_or_b64 exec, exec, s[14:15]
	v_lshlrev_b32_e32 v2, 3, v26
	s_waitcnt vmcnt(0)
	ds_write_b64 v2, v[0:1] offset:9088
.LBB96_7:
	s_or_b64 exec, exec, s[6:7]
	s_mul_i32 s5, s3, s5
	s_mul_hi_u32 s6, s3, s4
	s_add_i32 s5, s6, s5
	s_mul_i32 s4, s3, s4
	s_lshl_b64 s[4:5], s[4:5], 3
	s_add_u32 s6, s8, s4
	s_addc_u32 s7, s9, s5
	s_lshl_b64 s[4:5], s[10:11], 3
	s_load_dword s22, s[0:1], 0x28
	s_add_u32 s4, s6, s4
	s_addc_u32 s5, s7, s5
	s_ashr_i32 s25, s24, 31
	v_lshl_add_u32 v22, v25, 6, v26
	s_lshl_b64 s[0:1], s[24:25], 3
	v_and_b32_e32 v0, 31, v26
	v_lshrrev_b32_e32 v1, 5, v22
	s_add_u32 s4, s4, s0
	s_addc_u32 s5, s5, s1
	s_waitcnt lgkmcnt(0)
	v_mad_u64_u32 v[12:13], s[0:1], v1, s22, v[0:1]
	s_mul_i32 s0, s24, s22
	s_ashr_i32 s1, s0, 31
	s_lshl_b64 s[0:1], s[0:1], 3
	s_add_u32 s0, s0, s4
	s_addc_u32 s1, s1, s5
	s_cmp_eq_u32 s16, 0
	s_cselect_b64 s[20:21], -1, 0
	s_cmp_lg_u32 s16, 0
	v_ashrrev_i32_e32 v13, 31, v12
	s_cselect_b64 s[28:29], -1, 0
	v_lshl_add_u64 v[6:7], v[12:13], 3, s[0:1]
	s_and_b64 vcc, exec, s[28:29]
	v_cmp_gt_i32_e64 s[0:1], s16, v0
	v_lshlrev_b32_e32 v2, 3, v0
	s_cbranch_vccz .LBB96_17
; %bb.8:
	v_sub_co_u32_e32 v4, vcc, v6, v2
	s_ashr_i32 s17, s16, 31
	s_nop 0
	v_subbrev_co_u32_e32 v5, vcc, 0, v7, vcc
	v_lshl_add_u64 v[4:5], s[16:17], 3, v[4:5]
	v_lshl_add_u64 v[4:5], v[4:5], 0, -8
	v_mov_b64_e32 v[8:9], 0
	v_cndmask_b32_e64 v5, v5, v7, s[0:1]
	v_cndmask_b32_e64 v4, v4, v6, s[0:1]
	v_cmp_gt_i32_e32 vcc, s16, v1
	v_mov_b64_e32 v[10:11], v[8:9]
	s_and_saveexec_b64 s[4:5], vcc
	s_cbranch_execz .LBB96_10
; %bb.9:
	global_load_dwordx2 v[10:11], v[4:5], off
.LBB96_10:
	s_or_b64 exec, exec, s[4:5]
	v_mul_u32_u24_e32 v3, 33, v1
	v_add_lshl_u32 v3, v3, v0, 3
	s_waitcnt vmcnt(0)
	ds_write_b64 v3, v[10:11]
	v_add_u32_e32 v10, 8, v1
	v_cmp_gt_i32_e32 vcc, s16, v10
	s_and_saveexec_b64 s[4:5], vcc
	s_cbranch_execz .LBB96_12
; %bb.11:
	s_lshl_b32 s6, s22, 3
	s_ashr_i32 s7, s6, 31
	v_lshl_add_u64 v[8:9], s[6:7], 3, v[4:5]
	global_load_dwordx2 v[8:9], v[8:9], off
.LBB96_12:
	s_or_b64 exec, exec, s[4:5]
	s_waitcnt vmcnt(0)
	ds_write_b64 v3, v[8:9] offset:2112
	v_add_u32_e32 v8, 16, v1
	v_cmp_gt_i32_e32 vcc, s16, v8
	v_mov_b64_e32 v[8:9], 0
	v_mov_b64_e32 v[10:11], v[8:9]
	s_and_saveexec_b64 s[4:5], vcc
	s_cbranch_execz .LBB96_14
; %bb.13:
	s_lshl_b32 s6, s22, 4
	s_ashr_i32 s7, s6, 31
	v_lshl_add_u64 v[10:11], s[6:7], 3, v[4:5]
	global_load_dwordx2 v[10:11], v[10:11], off
.LBB96_14:
	s_or_b64 exec, exec, s[4:5]
	s_waitcnt vmcnt(0)
	ds_write_b64 v3, v[10:11] offset:4224
	v_add_u32_e32 v10, 24, v1
	v_cmp_gt_i32_e32 vcc, s16, v10
	s_and_saveexec_b64 s[4:5], vcc
	s_cbranch_execz .LBB96_16
; %bb.15:
	s_mul_i32 s6, s22, 24
	s_ashr_i32 s7, s6, 31
	v_lshl_add_u64 v[8:9], s[6:7], 3, v[4:5]
	global_load_dwordx2 v[8:9], v[8:9], off
.LBB96_16:
	s_or_b64 exec, exec, s[4:5]
	s_waitcnt vmcnt(0)
	ds_write_b64 v3, v[8:9] offset:6336
	v_mov_b32_e32 v3, 0
	v_lshl_add_u64 v[4:5], v[4:5], 0, v[2:3]
	s_lshl_b64 s[4:5], s[16:17], 3
	v_mov_b32_e32 v3, s5
	v_subrev_co_u32_e32 v4, vcc, s4, v4
	s_nop 1
	v_subb_co_u32_e32 v5, vcc, v5, v3, vcc
	v_lshl_add_u64 v[4:5], v[4:5], 0, 8
	v_cndmask_b32_e64 v5, v5, v7, s[0:1]
	v_cndmask_b32_e64 v4, v4, v6, s[0:1]
	v_mul_u32_u24_e32 v18, 33, v1
	s_branch .LBB96_19
.LBB96_17:
                                        ; implicit-def: $vgpr4_vgpr5
	v_mul_u32_u24_e32 v18, 33, v1
	s_cbranch_execz .LBB96_19
; %bb.18:
	s_lshl_b32 s0, s22, 3
	s_ashr_i32 s1, s0, 31
	s_ashr_i32 s23, s22, 31
	v_lshl_add_u64 v[4:5], s[0:1], 3, v[6:7]
	global_load_dwordx2 v[8:9], v[6:7], off
	global_load_dwordx2 v[10:11], v[4:5], off
	s_lshl_b64 s[0:1], s[22:23], 6
	v_lshl_add_u64 v[4:5], v[4:5], 0, s[0:1]
	global_load_dwordx2 v[16:17], v[4:5], off
	v_lshl_add_u64 v[4:5], v[4:5], 0, s[0:1]
	global_load_dwordx2 v[4:5], v[4:5], off
	v_add_lshl_u32 v3, v18, v0, 3
	s_waitcnt vmcnt(3)
	ds_write_b64 v3, v[8:9]
	s_waitcnt vmcnt(2)
	ds_write_b64 v3, v[10:11] offset:2112
	s_waitcnt vmcnt(1)
	ds_write_b64 v3, v[16:17] offset:4224
	;; [unrolled: 2-line block ×3, first 2 shown]
	v_mov_b64_e32 v[4:5], v[6:7]
.LBB96_19:
	v_lshlrev_b32_e32 v3, 2, v1
	v_mul_u32_u24_e32 v19, 33, v0
	v_cmp_gt_u32_e64 s[4:5], v3, v0
	v_add_lshl_u32 v21, v3, v19, 3
	s_waitcnt lgkmcnt(0)
	s_barrier
	s_and_saveexec_b64 s[0:1], s[4:5]
	s_cbranch_execz .LBB96_21
; %bb.20:
	v_mul_u32_u24_e32 v6, 0x84, v1
	v_add_lshl_u32 v6, v6, v0, 3
	ds_read_b64 v[6:7], v6
	s_waitcnt lgkmcnt(0)
	ds_write_b64 v21, v[6:7]
.LBB96_21:
	s_or_b64 exec, exec, s[0:1]
	v_cmp_ge_u32_e64 s[6:7], v3, v0
	s_and_saveexec_b64 s[0:1], s[6:7]
	s_cbranch_execz .LBB96_23
; %bb.22:
	v_or_b32_e32 v6, 1, v3
	v_mul_u32_u24_e32 v6, 33, v6
	v_add_lshl_u32 v6, v6, v0, 3
	ds_read_b64 v[6:7], v6
	s_waitcnt lgkmcnt(0)
	ds_write_b64 v21, v[6:7] offset:8
.LBB96_23:
	s_or_b64 exec, exec, s[0:1]
	v_or_b32_e32 v6, 2, v3
	v_cmp_gt_u32_e64 s[8:9], v6, v0
	s_and_saveexec_b64 s[0:1], s[8:9]
	s_cbranch_execz .LBB96_25
; %bb.24:
	v_mul_u32_u24_e32 v6, 33, v6
	v_add_lshl_u32 v6, v6, v0, 3
	ds_read_b64 v[6:7], v6
	s_waitcnt lgkmcnt(0)
	ds_write_b64 v21, v[6:7] offset:16
.LBB96_25:
	s_or_b64 exec, exec, s[0:1]
	v_or_b32_e32 v6, 3, v3
	v_cmp_gt_u32_e64 s[10:11], v6, v0
	v_mad_u32_u24 v6, v6, 33, v0
	v_lshlrev_b32_e32 v30, 3, v6
	s_and_saveexec_b64 s[0:1], s[10:11]
	s_cbranch_execz .LBB96_27
; %bb.26:
	ds_read_b64 v[6:7], v30
	s_waitcnt lgkmcnt(0)
	ds_write_b64 v21, v[6:7] offset:24
.LBB96_27:
	s_or_b64 exec, exec, s[0:1]
	v_mul_u32_u24_e32 v6, 0x84, v1
	v_add_lshl_u32 v20, v6, v0, 3
	s_waitcnt lgkmcnt(0)
	s_barrier
	v_lshlrev_b32_e32 v32, 3, v3
	ds_read_b64 v[10:11], v20
	ds_read_b128 v[6:9], v32 offset:9088
	v_add_u32_e32 v31, 0xfffffdf0, v30
	ds_read2_b64 v[34:37], v31 offset1:33
	ds_read_b128 v[38:41], v32 offset:9104
	ds_read_b64 v[16:17], v30
	v_mov_b64_e32 v[28:29], 0
	v_add_lshl_u32 v27, v1, v19, 3
	s_waitcnt lgkmcnt(3)
	v_fma_f64 v[6:7], v[10:11], v[6:7], 0
	s_waitcnt lgkmcnt(2)
	v_fmac_f64_e32 v[6:7], v[34:35], v[8:9]
	s_waitcnt lgkmcnt(1)
	v_fmac_f64_e32 v[6:7], v[36:37], v[38:39]
	;; [unrolled: 2-line block ×3, first 2 shown]
	v_cmp_gt_u32_e64 s[0:1], 32, v22
	v_lshlrev_b32_e32 v23, 3, v19
	s_barrier
	ds_write_b64 v27, v[6:7]
	s_waitcnt lgkmcnt(0)
	s_barrier
	s_and_saveexec_b64 s[14:15], s[0:1]
	s_cbranch_execz .LBB96_29
; %bb.28:
	ds_read2_b64 v[6:9], v23 offset1:1
	ds_read2_b64 v[34:37], v23 offset0:2 offset1:3
	ds_read2_b64 v[38:41], v23 offset0:4 offset1:5
	s_waitcnt lgkmcnt(2)
	v_add_f64 v[10:11], v[6:7], v[8:9]
	ds_read2_b64 v[6:9], v23 offset0:6 offset1:7
	s_waitcnt lgkmcnt(2)
	v_add_f64 v[10:11], v[10:11], v[34:35]
	v_add_f64 v[10:11], v[10:11], v[36:37]
	s_waitcnt lgkmcnt(1)
	v_add_f64 v[10:11], v[10:11], v[38:39]
	v_add_f64 v[10:11], v[10:11], v[40:41]
	s_waitcnt lgkmcnt(0)
	v_add_f64 v[6:7], v[10:11], v[6:7]
	v_add_f64 v[28:29], v[6:7], v[8:9]
.LBB96_29:
	s_or_b64 exec, exec, s[14:15]
	s_lshl_b32 s26, s22, 5
	s_ashr_i32 s27, s26, 31
	v_lshl_add_u64 v[8:9], s[26:27], 3, v[4:5]
	s_mov_b64 s[14:15], 0x100
	v_lshl_add_u64 v[6:7], v[8:9], 0, s[14:15]
	s_and_b64 vcc, exec, s[28:29]
	s_barrier
	s_cbranch_vccz .LBB96_39
; %bb.30:
	v_sub_co_u32_e32 v4, vcc, v6, v2
	s_ashr_i32 s17, s16, 31
	s_nop 0
	v_subbrev_co_u32_e32 v5, vcc, 0, v7, vcc
	s_movk_i32 s14, 0xfef8
	v_or_b32_e32 v3, 32, v0
	v_lshl_add_u64 v[4:5], s[16:17], 3, v[4:5]
	s_mov_b32 s15, -1
	v_lshl_add_u64 v[4:5], v[4:5], 0, s[14:15]
	v_cmp_gt_i32_e32 vcc, s16, v3
	s_sub_i32 s23, s16, 32
	v_mov_b64_e32 v[10:11], 0
	v_cndmask_b32_e32 v5, v5, v7, vcc
	v_cndmask_b32_e32 v4, v4, v6, vcc
	v_cmp_gt_i32_e64 s[14:15], s23, v1
	v_mov_b64_e32 v[16:17], v[10:11]
	s_and_saveexec_b64 s[30:31], s[14:15]
	s_cbranch_execz .LBB96_32
; %bb.31:
	global_load_dwordx2 v[16:17], v[4:5], off
.LBB96_32:
	s_or_b64 exec, exec, s[30:31]
	v_add_lshl_u32 v3, v18, v0, 3
	s_waitcnt vmcnt(0)
	ds_write_b64 v3, v[16:17]
	v_add_u32_e32 v16, 8, v1
	v_cmp_gt_i32_e64 s[14:15], s23, v16
	s_and_saveexec_b64 s[30:31], s[14:15]
	s_cbranch_execz .LBB96_34
; %bb.33:
	s_lshl_b32 s14, s22, 3
	s_ashr_i32 s15, s14, 31
	v_lshl_add_u64 v[10:11], s[14:15], 3, v[4:5]
	global_load_dwordx2 v[10:11], v[10:11], off
.LBB96_34:
	s_or_b64 exec, exec, s[30:31]
	s_waitcnt vmcnt(0)
	ds_write_b64 v3, v[10:11] offset:2112
	v_add_u32_e32 v10, 16, v1
	v_cmp_gt_i32_e64 s[14:15], s23, v10
	v_mov_b64_e32 v[10:11], 0
	v_mov_b64_e32 v[16:17], v[10:11]
	s_and_saveexec_b64 s[30:31], s[14:15]
	s_cbranch_execz .LBB96_36
; %bb.35:
	s_lshl_b32 s14, s22, 4
	s_ashr_i32 s15, s14, 31
	v_lshl_add_u64 v[16:17], s[14:15], 3, v[4:5]
	global_load_dwordx2 v[16:17], v[16:17], off
.LBB96_36:
	s_or_b64 exec, exec, s[30:31]
	s_waitcnt vmcnt(0)
	ds_write_b64 v3, v[16:17] offset:4224
	v_add_u32_e32 v16, 24, v1
	v_cmp_gt_i32_e64 s[14:15], s23, v16
	s_and_saveexec_b64 s[30:31], s[14:15]
	s_cbranch_execz .LBB96_38
; %bb.37:
	s_mul_i32 s14, s22, 24
	s_ashr_i32 s15, s14, 31
	v_lshl_add_u64 v[10:11], s[14:15], 3, v[4:5]
	global_load_dwordx2 v[10:11], v[10:11], off
.LBB96_38:
	s_or_b64 exec, exec, s[30:31]
	s_waitcnt vmcnt(0)
	ds_write_b64 v3, v[10:11] offset:6336
	v_mov_b32_e32 v3, 0
	v_lshl_add_u64 v[4:5], v[4:5], 0, v[2:3]
	s_lshl_b64 s[14:15], s[16:17], 3
	v_mov_b32_e32 v3, s15
	v_subrev_co_u32_e64 v4, s[14:15], s14, v4
	s_nop 1
	v_subb_co_u32_e64 v5, s[14:15], v5, v3, s[14:15]
	s_mov_b64 s[14:15], 0x108
	s_nop 0
	v_lshl_add_u64 v[4:5], v[4:5], 0, s[14:15]
	v_cndmask_b32_e32 v5, v5, v7, vcc
	v_cndmask_b32_e32 v4, v4, v6, vcc
	s_branch .LBB96_41
.LBB96_39:
                                        ; implicit-def: $vgpr4_vgpr5
	s_cbranch_execz .LBB96_41
; %bb.40:
	s_lshl_b32 s14, s22, 3
	s_ashr_i32 s15, s14, 31
	s_ashr_i32 s23, s22, 31
	v_lshl_add_u64 v[4:5], s[14:15], 3, v[8:9]
	s_lshl_b64 s[14:15], s[22:23], 6
	v_lshl_add_u64 v[10:11], v[4:5], 0, s[14:15]
	v_lshl_add_u64 v[16:17], v[10:11], 0, s[14:15]
	global_load_dwordx2 v[34:35], v[8:9], off offset:256
	global_load_dwordx2 v[36:37], v[4:5], off offset:256
	;; [unrolled: 1-line block ×4, first 2 shown]
	v_add_lshl_u32 v3, v18, v0, 3
	v_mov_b64_e32 v[4:5], v[6:7]
	s_waitcnt vmcnt(3)
	ds_write_b64 v3, v[34:35]
	s_waitcnt vmcnt(2)
	ds_write_b64 v3, v[36:37] offset:2112
	s_waitcnt vmcnt(1)
	ds_write_b64 v3, v[38:39] offset:4224
	;; [unrolled: 2-line block ×3, first 2 shown]
.LBB96_41:
	s_waitcnt lgkmcnt(0)
	s_barrier
	s_and_saveexec_b64 s[14:15], s[4:5]
	s_cbranch_execnz .LBB96_58
; %bb.42:
	s_or_b64 exec, exec, s[14:15]
	s_and_saveexec_b64 s[4:5], s[6:7]
	s_cbranch_execnz .LBB96_59
.LBB96_43:
	s_or_b64 exec, exec, s[4:5]
	s_and_saveexec_b64 s[4:5], s[8:9]
	s_cbranch_execnz .LBB96_60
.LBB96_44:
	s_or_b64 exec, exec, s[4:5]
	v_add_u32_e32 v32, 0x2380, v32
	s_and_saveexec_b64 s[4:5], s[10:11]
	s_cbranch_execz .LBB96_46
.LBB96_45:
	ds_read_b64 v[6:7], v30
	s_waitcnt lgkmcnt(0)
	ds_write_b64 v21, v[6:7] offset:24
.LBB96_46:
	s_or_b64 exec, exec, s[4:5]
	s_waitcnt lgkmcnt(0)
	s_barrier
	ds_read_b64 v[10:11], v20
	ds_read_b128 v[6:9], v32 offset:256
	ds_read2_b64 v[34:37], v31 offset1:33
	ds_read_b128 v[38:41], v32 offset:272
	ds_read_b64 v[16:17], v30
	v_cmp_eq_u32_e64 s[4:5], 1, v1
	s_waitcnt lgkmcnt(3)
	v_fma_f64 v[6:7], v[10:11], v[6:7], 0
	s_waitcnt lgkmcnt(2)
	v_fmac_f64_e32 v[6:7], v[34:35], v[8:9]
	s_waitcnt lgkmcnt(1)
	v_fmac_f64_e32 v[6:7], v[36:37], v[38:39]
	;; [unrolled: 2-line block ×3, first 2 shown]
	s_barrier
	ds_write_b64 v27, v[6:7]
	s_waitcnt lgkmcnt(0)
	s_barrier
	s_and_saveexec_b64 s[6:7], s[4:5]
	s_cbranch_execz .LBB96_48
; %bb.47:
	ds_read2_b64 v[6:9], v23 offset1:1
	ds_read2_b64 v[34:37], v23 offset0:2 offset1:3
	ds_read2_b64 v[38:41], v23 offset0:4 offset1:5
	s_waitcnt lgkmcnt(2)
	v_add_f64 v[10:11], v[6:7], v[8:9]
	ds_read2_b64 v[6:9], v23 offset0:6 offset1:7
	s_waitcnt lgkmcnt(2)
	v_add_f64 v[10:11], v[10:11], v[34:35]
	v_add_f64 v[10:11], v[10:11], v[36:37]
	s_waitcnt lgkmcnt(1)
	v_add_f64 v[10:11], v[10:11], v[38:39]
	v_add_f64 v[10:11], v[10:11], v[40:41]
	;; [unrolled: 3-line block ×3, first 2 shown]
.LBB96_48:
	s_or_b64 exec, exec, s[6:7]
	s_movk_i32 s6, 0xff00
	s_mov_b32 s7, -1
	v_lshl_add_u64 v[6:7], v[4:5], 0, s[6:7]
	s_and_b64 vcc, exec, s[28:29]
	s_barrier
	s_cbranch_vccz .LBB96_61
; %bb.49:
	v_sub_co_u32_e32 v8, vcc, v4, v2
	s_ashr_i32 s17, s16, 31
	s_nop 0
	v_subbrev_co_u32_e32 v9, vcc, 0, v5, vcc
	s_movk_i32 s6, 0xfef8
	v_lshl_add_u64 v[8:9], s[16:17], 3, v[8:9]
	s_mov_b32 s7, -1
	v_lshl_add_u64 v[8:9], v[8:9], 0, s[6:7]
	v_cmp_gt_i32_e32 vcc, s16, v0
	s_sub_i32 s10, s16, 32
	v_mov_b64_e32 v[10:11], 0
	v_cndmask_b32_e32 v9, v9, v7, vcc
	v_cndmask_b32_e32 v8, v8, v6, vcc
	v_cmp_gt_i32_e64 s[6:7], s10, v1
	v_mov_b64_e32 v[16:17], v[10:11]
	s_and_saveexec_b64 s[8:9], s[6:7]
	s_cbranch_execz .LBB96_51
; %bb.50:
	global_load_dwordx2 v[16:17], v[8:9], off
.LBB96_51:
	s_or_b64 exec, exec, s[8:9]
	v_add_u32_e32 v21, 8, v1
	v_add_lshl_u32 v3, v18, v0, 3
	v_cmp_gt_i32_e64 s[6:7], s10, v21
	s_waitcnt vmcnt(0)
	ds_write_b64 v3, v[16:17]
	s_and_saveexec_b64 s[8:9], s[6:7]
	s_cbranch_execz .LBB96_53
; %bb.52:
	s_lshl_b32 s6, s22, 3
	s_ashr_i32 s7, s6, 31
	v_lshl_add_u64 v[10:11], s[6:7], 3, v[8:9]
	global_load_dwordx2 v[10:11], v[10:11], off
.LBB96_53:
	s_or_b64 exec, exec, s[8:9]
	s_waitcnt vmcnt(0)
	ds_write_b64 v3, v[10:11] offset:2112
	v_add_u32_e32 v33, 16, v1
	v_mov_b64_e32 v[10:11], 0
	v_cmp_gt_i32_e64 s[6:7], s10, v33
	v_mov_b64_e32 v[16:17], v[10:11]
	s_and_saveexec_b64 s[8:9], s[6:7]
	s_cbranch_execz .LBB96_55
; %bb.54:
	s_lshl_b32 s6, s22, 4
	s_ashr_i32 s7, s6, 31
	v_lshl_add_u64 v[16:17], s[6:7], 3, v[8:9]
	global_load_dwordx2 v[16:17], v[16:17], off
.LBB96_55:
	s_or_b64 exec, exec, s[8:9]
	v_add_u32_e32 v34, 24, v1
	v_cmp_gt_i32_e64 s[6:7], s10, v34
	s_waitcnt vmcnt(0)
	ds_write_b64 v3, v[16:17] offset:4224
	s_and_saveexec_b64 s[8:9], s[6:7]
	s_cbranch_execz .LBB96_57
; %bb.56:
	s_mul_i32 s6, s22, 24
	s_ashr_i32 s7, s6, 31
	v_lshl_add_u64 v[10:11], s[6:7], 3, v[8:9]
	global_load_dwordx2 v[10:11], v[10:11], off
.LBB96_57:
	s_or_b64 exec, exec, s[8:9]
	s_waitcnt vmcnt(0)
	ds_write_b64 v3, v[10:11] offset:6336
	v_mov_b32_e32 v3, 0
	v_lshl_add_u64 v[2:3], v[8:9], 0, v[2:3]
	s_lshl_b64 s[6:7], s[16:17], 3
	v_mov_b32_e32 v8, s7
	v_subrev_co_u32_e64 v2, s[6:7], s6, v2
	s_nop 1
	v_subb_co_u32_e64 v3, s[6:7], v3, v8, s[6:7]
	v_lshl_add_u64 v[2:3], v[2:3], 0, 8
	v_cndmask_b32_e32 v17, v3, v7, vcc
	v_cndmask_b32_e32 v16, v2, v6, vcc
	s_branch .LBB96_63
.LBB96_58:
	ds_read_b64 v[6:7], v20
	s_waitcnt lgkmcnt(0)
	ds_write_b64 v21, v[6:7]
	s_or_b64 exec, exec, s[14:15]
	s_and_saveexec_b64 s[4:5], s[6:7]
	s_cbranch_execz .LBB96_43
.LBB96_59:
	ds_read_b64 v[6:7], v31
	s_waitcnt lgkmcnt(0)
	ds_write_b64 v21, v[6:7] offset:8
	s_or_b64 exec, exec, s[4:5]
	s_and_saveexec_b64 s[4:5], s[8:9]
	s_cbranch_execz .LBB96_44
.LBB96_60:
	ds_read_b64 v[6:7], v31 offset:264
	s_waitcnt lgkmcnt(0)
	ds_write_b64 v21, v[6:7] offset:16
	s_or_b64 exec, exec, s[4:5]
	v_add_u32_e32 v32, 0x2380, v32
	s_and_saveexec_b64 s[4:5], s[10:11]
	s_cbranch_execnz .LBB96_45
	s_branch .LBB96_46
.LBB96_61:
                                        ; implicit-def: $vgpr16_vgpr17
                                        ; implicit-def: $vgpr21
                                        ; implicit-def: $vgpr33
                                        ; implicit-def: $vgpr34
	s_cbranch_execz .LBB96_63
; %bb.62:
	s_lshl_b32 s6, s22, 3
	s_ashr_i32 s7, s6, 31
	s_ashr_i32 s23, s22, 31
	global_load_dwordx2 v[2:3], v[4:5], off offset:-256
	v_lshl_add_u64 v[4:5], s[6:7], 3, v[4:5]
	s_lshl_b64 s[6:7], s[22:23], 6
	v_lshl_add_u64 v[8:9], v[4:5], 0, s[6:7]
	global_load_dwordx2 v[10:11], v[4:5], off offset:-256
	global_load_dwordx2 v[16:17], v[8:9], off offset:-256
	v_lshl_add_u64 v[4:5], v[8:9], 0, s[6:7]
	global_load_dwordx2 v[4:5], v[4:5], off offset:-256
	v_add_lshl_u32 v0, v18, v0, 3
	v_add_u32_e32 v21, 8, v1
	v_add_u32_e32 v33, 16, v1
	;; [unrolled: 1-line block ×3, first 2 shown]
	s_waitcnt vmcnt(3)
	ds_write_b64 v0, v[2:3]
	s_waitcnt vmcnt(2)
	ds_write_b64 v0, v[10:11] offset:2112
	s_waitcnt vmcnt(1)
	ds_write_b64 v0, v[16:17] offset:4224
	;; [unrolled: 2-line block ×3, first 2 shown]
	v_mov_b64_e32 v[16:17], v[6:7]
.LBB96_63:
	v_lshlrev_b32_e32 v0, 3, v1
	s_waitcnt lgkmcnt(0)
	s_barrier
	v_add_lshl_u32 v1, v21, v19, 3
	v_lshlrev_b32_e32 v2, 3, v21
	v_add_lshl_u32 v3, v33, v19, 3
	ds_read_b64 v[36:37], v0 offset:9088
	ds_read_b64 v[38:39], v1
	ds_read_b64 v[40:41], v2 offset:9088
	ds_read_b64 v[42:43], v3
	v_lshlrev_b32_e32 v18, 3, v33
	v_add_lshl_u32 v19, v34, v19, 3
	v_lshlrev_b32_e32 v46, 3, v34
	ds_read_b64 v[20:21], v20
	ds_read_b128 v[8:11], v32 offset:256
	ds_read_b64 v[34:35], v27
	ds_read_b128 v[0:3], v32 offset:272
	ds_read2_b64 v[4:7], v31 offset1:33
	ds_read_b64 v[32:33], v18 offset:9088
	ds_read_b64 v[44:45], v19
	ds_read_b64 v[46:47], v46 offset:9088
	ds_read_b64 v[18:19], v30
	s_waitcnt lgkmcnt(6)
	v_fma_f64 v[30:31], v[34:35], v[36:37], 0
	v_fmac_f64_e32 v[30:31], v[38:39], v[40:41]
	s_waitcnt lgkmcnt(3)
	v_fmac_f64_e32 v[30:31], v[42:43], v[32:33]
	s_waitcnt lgkmcnt(1)
	;; [unrolled: 2-line block ×3, first 2 shown]
	s_barrier
	ds_write_b64 v27, v[30:31]
	s_waitcnt lgkmcnt(0)
	s_barrier
	s_and_saveexec_b64 s[6:7], s[4:5]
	s_cbranch_execz .LBB96_65
; %bb.64:
	ds_read2_b64 v[30:33], v23 offset1:1
	ds_read2_b64 v[34:37], v23 offset0:2 offset1:3
	s_waitcnt lgkmcnt(1)
	v_add_f64 v[38:39], v[28:29], v[30:31]
	ds_read2_b64 v[28:31], v23 offset0:4 offset1:5
	v_add_f64 v[32:33], v[38:39], v[32:33]
	ds_read2_b64 v[38:41], v23 offset0:6 offset1:7
	s_waitcnt lgkmcnt(2)
	v_add_f64 v[32:33], v[32:33], v[34:35]
	v_add_f64 v[32:33], v[32:33], v[36:37]
	s_waitcnt lgkmcnt(1)
	v_add_f64 v[28:29], v[32:33], v[28:29]
	v_add_f64 v[28:29], v[28:29], v[30:31]
	;; [unrolled: 3-line block ×3, first 2 shown]
.LBB96_65:
	s_or_b64 exec, exec, s[6:7]
	v_fma_f64 v[8:9], v[20:21], v[8:9], 0
	v_fmac_f64_e32 v[8:9], v[4:5], v[10:11]
	v_fmac_f64_e32 v[8:9], v[6:7], v[0:1]
	;; [unrolled: 1-line block ×3, first 2 shown]
	s_barrier
	ds_write_b64 v27, v[8:9]
	s_waitcnt lgkmcnt(0)
	s_barrier
	s_and_saveexec_b64 s[4:5], s[0:1]
	s_cbranch_execz .LBB96_67
; %bb.66:
	ds_read2_b64 v[0:3], v23 offset1:1
	ds_read2_b64 v[4:7], v23 offset0:2 offset1:3
	ds_read2_b64 v[8:11], v23 offset0:4 offset1:5
	s_waitcnt lgkmcnt(2)
	v_add_f64 v[0:1], v[28:29], v[0:1]
	v_add_f64 v[18:19], v[0:1], v[2:3]
	ds_read2_b64 v[0:3], v23 offset0:6 offset1:7
	s_waitcnt lgkmcnt(2)
	v_add_f64 v[4:5], v[18:19], v[4:5]
	v_add_f64 v[4:5], v[4:5], v[6:7]
	s_waitcnt lgkmcnt(1)
	v_add_f64 v[4:5], v[4:5], v[8:9]
	v_add_f64 v[4:5], v[4:5], v[10:11]
	;; [unrolled: 3-line block ×3, first 2 shown]
.LBB96_67:
	s_or_b64 exec, exec, s[4:5]
	s_mul_hi_u32 s0, s36, s3
	s_mul_i32 s37, s37, s3
	s_add_i32 s0, s0, s37
	s_mul_i32 s3, s36, s3
	s_mul_i32 s0, s0, s33
	s_mul_hi_u32 s1, s3, s33
	s_add_i32 s1, s1, s0
	s_mul_i32 s0, s3, s33
	s_lshl_b64 s[0:1], s[0:1], 3
	s_add_u32 s3, s18, s0
	s_addc_u32 s4, s19, s1
	s_mul_hi_i32 s1, s36, s2
	s_mul_i32 s0, s36, s2
	s_lshl_b64 s[0:1], s[0:1], 3
	s_add_u32 s6, s3, s0
	s_addc_u32 s7, s4, s1
	s_add_i32 s8, s2, 1
	s_cmp_ge_u32 s8, s33
	v_lshlrev_b32_e32 v27, 3, v26
	s_barrier
	s_cbranch_scc1 .LBB96_124
; %bb.68:
	s_mul_i32 s0, s24, s35
	s_ashr_i32 s1, s0, 31
	s_lshl_b64 s[0:1], s[0:1], 3
	v_and_b32_e32 v4, 48, v26
	v_lshlrev_b32_e32 v144, 2, v25
	v_mov_b32_e32 v0, s1
	v_subrev_co_u32_e32 v30, vcc, s0, v14
	v_and_b32_e32 v2, 15, v26
	v_lshlrev_b32_e32 v5, 3, v4
	s_movk_i32 s9, 0x218
	v_subb_co_u32_e32 v31, vcc, v15, v0, vcc
	v_lshrrev_b32_e32 v3, 4, v22
	v_mad_u64_u32 v[0:1], s[0:1], v144, s22, v[26:27]
	v_mad_u32_u24 v147, v2, s9, v5
	v_or_b32_e32 v5, 0x78, v27
	v_ashrrev_i32_e32 v1, 31, v0
	v_mad_u32_u24 v148, v2, s9, v5
	v_lshlrev_b32_e32 v5, 5, v3
	v_mul_i32_i24_e32 v8, 0xffffffe8, v3
	v_add_u32_e32 v3, s24, v4
	s_lshl_b32 s4, s22, 4
	v_mad_u32_u24 v149, v2, s9, v5
	v_add3_u32 v34, v3, v2, 64
	v_lshlrev_b64 v[2:3], 3, v[0:1]
	s_lshl_b32 s17, s35, 6
	s_ashr_i32 s5, s4, 31
	s_ashr_i32 s23, s22, 31
	s_lshl_b32 s28, s22, 1
	s_mul_i32 s30, s22, 3
	v_mov_b32_e32 v5, 0x2180
	s_mul_i32 s35, s35, s8
	v_mad_i64_i32 v[38:39], s[24:25], v12, -8, v[2:3]
	s_lshl_b64 s[14:15], s[26:27], 3
	s_add_i32 s3, s33, -2
	s_ashr_i32 s29, s28, 31
	s_ashr_i32 s31, s30, 31
	v_lshl_add_u32 v153, v25, 5, v5
	s_lshl_b64 s[18:19], s[22:23], 3
	s_lshl_b32 s8, s35, 6
	v_lshlrev_b64 v[4:5], 3, v[12:13]
	s_lshl_b64 s[10:11], s[4:5], 5
	s_lshl_b64 s[24:25], s[22:23], 4
	v_lshl_add_u64 v[2:3], s[26:27], 0, v[0:1]
	v_sub_co_u32_e32 v36, vcc, 0, v4
	s_add_u32 s36, s24, s14
	v_lshlrev_b64 v[2:3], 3, v[2:3]
	v_subb_co_u32_e32 v37, vcc, 0, v5, vcc
	s_addc_u32 s37, s25, s15
	v_mad_i64_i32 v[4:5], s[38:39], s22, 24, v[2:3]
	s_add_u32 s38, s18, s14
	s_addc_u32 s39, s19, s15
	s_lshl_b64 s[28:29], s[28:29], 3
	s_add_u32 s40, s14, s28
	s_addc_u32 s41, s15, s29
	s_lshl_b64 s[30:31], s[30:31], 3
	v_lshl_add_u64 v[46:47], v[16:17], 0, s[40:41]
	s_add_u32 s40, s14, s30
	s_addc_u32 s41, s15, s31
	v_lshl_add_u64 v[48:49], v[16:17], 0, s[40:41]
	s_lshl_b64 s[40:41], s[4:5], 3
	s_add_u32 s42, s14, s40
	s_addc_u32 s43, s15, s41
	v_lshl_add_u64 v[44:45], v[16:17], 0, s[38:39]
	s_add_u32 s38, s38, s40
	s_addc_u32 s39, s39, s41
	v_lshl_add_u64 v[52:53], v[16:17], 0, s[38:39]
	;; [unrolled: 3-line block ×4, first 2 shown]
	s_add_u32 s38, s36, s40
	s_addc_u32 s39, s37, s41
	s_add_u32 s26, s26, s4
	s_addc_u32 s27, s27, s5
	v_lshl_add_u64 v[0:1], s[26:27], 0, v[0:1]
	v_lshlrev_b64 v[0:1], 3, v[0:1]
	v_mad_i64_i32 v[0:1], s[26:27], s22, 24, v[0:1]
	s_lshl_b64 s[26:27], s[4:5], 4
	v_lshl_add_u64 v[32:33], v[16:17], 0, s[14:15]
	s_add_u32 s14, s26, s14
	s_addc_u32 s15, s27, s15
	v_lshl_add_u64 v[58:59], v[16:17], 0, s[38:39]
	s_add_u32 s38, s14, s18
	s_addc_u32 s39, s15, s19
	;; [unrolled: 3-line block ×4, first 2 shown]
	v_lshl_add_u64 v[68:69], v[16:17], 0, s[14:15]
	s_add_u32 s14, s36, s26
	s_movk_i32 s9, 0x860
	s_mul_i32 s35, s22, 24
	s_addc_u32 s15, s37, s27
	v_mad_u32_u24 v154, v25, s9, v27
	s_mul_hi_i32 s9, s22, 24
	s_add_u32 s26, s35, s26
	s_addc_u32 s27, s9, s27
	v_lshl_add_u64 v[60:61], v[16:17], 0, v[0:1]
	v_lshl_add_u64 v[0:1], s[26:27], 0, v[2:3]
	;; [unrolled: 1-line block ×3, first 2 shown]
	s_mul_i32 s9, s22, 0x180
	v_mad_i64_i32 v[0:1], s[26:27], s4, 24, v[2:3]
	v_lshl_add_u64 v[42:43], v[16:17], 0, v[4:5]
	s_mul_hi_i32 s35, s4, 24
	v_lshl_add_u64 v[4:5], v[0:1], 0, s[18:19]
	s_add_u32 s18, s9, s24
	s_addc_u32 s19, s35, s25
	s_add_u32 s4, s22, s4
	v_lshl_add_u64 v[74:75], v[16:17], 0, v[4:5]
	s_addc_u32 s9, s23, s5
	v_mad_u64_u32 v[4:5], s[4:5], s4, 24, v[2:3]
	v_mov_b32_e32 v6, v5
	v_mad_u64_u32 v[6:7], s[4:5], s9, 24, v[6:7]
	v_lshl_add_u64 v[72:73], v[16:17], 0, v[0:1]
	v_mov_b32_e32 v5, v6
	v_lshl_add_u64 v[6:7], v[0:1], 0, s[28:29]
	v_lshl_add_u64 v[0:1], v[0:1], 0, s[30:31]
	;; [unrolled: 1-line block ×4, first 2 shown]
	v_add_u32_e32 v145, 0x2180, v27
	v_add_u32_e32 v146, 0x2380, v27
	v_cmp_gt_u32_e64 s[0:1], 64, v22
	v_or_b32_e32 v150, 1, v144
	v_or_b32_e32 v151, 2, v144
	;; [unrolled: 1-line block ×3, first 2 shown]
	v_add_u32_e32 v155, 16, v144
	v_add_u32_e32 v156, 17, v144
	;; [unrolled: 1-line block ×4, first 2 shown]
	v_lshl_add_u64 v[40:41], v[16:17], 0, s[36:37]
	v_lshl_add_u64 v[50:51], v[16:17], 0, s[42:43]
	;; [unrolled: 1-line block ×7, first 2 shown]
	v_add_u32_e32 v159, v149, v8
	v_add_u32_e32 v160, 32, v144
	;; [unrolled: 1-line block ×9, first 2 shown]
	s_cmp_eq_u32 s3, s2
	s_cselect_b32 s22, s34, 0
	s_and_saveexec_b64 s[4:5], s[12:13]
	s_cbranch_execz .LBB96_72
.LBB96_69:
	s_cmp_eq_u32 s22, 0
	s_cselect_b64 s[14:15], -1, 0
	v_cmp_gt_i32_e32 vcc, s22, v26
	s_or_b64 s[18:19], s[14:15], vcc
	v_mov_b64_e32 v[0:1], 0
	s_and_saveexec_b64 s[14:15], s[18:19]
	s_cbranch_execz .LBB96_71
; %bb.70:
	s_ashr_i32 s9, s8, 31
	v_lshl_add_u64 v[0:1], s[8:9], 3, v[30:31]
	global_load_dwordx2 v[0:1], v[0:1], off
.LBB96_71:
	s_or_b64 exec, exec, s[14:15]
	s_waitcnt vmcnt(0)
	ds_write_b64 v145, v[0:1]
.LBB96_72:                              ; =>This Inner Loop Header: Depth=1
	s_or_b64 exec, exec, s[4:5]
	s_cmp_eq_u32 s22, 0
	s_cselect_b64 s[14:15], -1, 0
	s_cmp_lg_u32 s22, 0
	s_cselect_b64 s[18:19], -1, 0
	v_lshl_add_u64 v[0:1], v[32:33], 0, v[38:39]
	s_and_b64 vcc, exec, s[18:19]
	s_waitcnt lgkmcnt(0)
	s_barrier
	s_cbranch_vccz .LBB96_120
; %bb.73:                               ;   in Loop: Header=BB96_72 Depth=1
	v_mov_b64_e32 v[86:87], 0
	v_cmp_gt_i32_e32 vcc, s22, v144
	v_mov_b64_e32 v[88:89], v[86:87]
	s_and_saveexec_b64 s[4:5], vcc
	s_cbranch_execz .LBB96_75
; %bb.74:                               ;   in Loop: Header=BB96_72 Depth=1
	global_load_dwordx2 v[88:89], v[0:1], off
.LBB96_75:                              ;   in Loop: Header=BB96_72 Depth=1
	s_or_b64 exec, exec, s[4:5]
	v_cmp_gt_i32_e32 vcc, s22, v150
	s_and_saveexec_b64 s[4:5], vcc
	s_cbranch_execz .LBB96_77
; %bb.76:                               ;   in Loop: Header=BB96_72 Depth=1
	v_lshl_add_u64 v[2:3], v[44:45], 0, v[38:39]
	global_load_dwordx2 v[86:87], v[2:3], off
.LBB96_77:                              ;   in Loop: Header=BB96_72 Depth=1
	s_or_b64 exec, exec, s[4:5]
	v_mov_b64_e32 v[90:91], 0
	v_cmp_gt_i32_e32 vcc, s22, v151
	v_mov_b64_e32 v[92:93], v[90:91]
	s_and_saveexec_b64 s[4:5], vcc
	s_cbranch_execz .LBB96_79
; %bb.78:                               ;   in Loop: Header=BB96_72 Depth=1
	v_lshl_add_u64 v[2:3], v[46:47], 0, v[38:39]
	global_load_dwordx2 v[92:93], v[2:3], off
.LBB96_79:                              ;   in Loop: Header=BB96_72 Depth=1
	s_or_b64 exec, exec, s[4:5]
	v_cmp_gt_i32_e32 vcc, s22, v152
	s_and_saveexec_b64 s[4:5], vcc
	s_cbranch_execz .LBB96_81
; %bb.80:                               ;   in Loop: Header=BB96_72 Depth=1
	v_lshl_add_u64 v[2:3], v[48:49], 0, v[38:39]
	global_load_dwordx2 v[90:91], v[2:3], off
.LBB96_81:                              ;   in Loop: Header=BB96_72 Depth=1
	s_or_b64 exec, exec, s[4:5]
	s_branch .LBB96_83
.LBB96_82:                              ;   in Loop: Header=BB96_72 Depth=1
	global_load_dwordx2 v[88:89], v[0:1], off
	v_lshl_add_u64 v[0:1], v[44:45], 0, v[38:39]
	global_load_dwordx2 v[86:87], v[0:1], off
	v_lshl_add_u64 v[0:1], v[40:41], 0, v[38:39]
	;; [unrolled: 2-line block ×3, first 2 shown]
	global_load_dwordx2 v[90:91], v[0:1], off
.LBB96_83:                              ;   in Loop: Header=BB96_72 Depth=1
	ds_read_b64 v[0:1], v146
	ds_read_b64 v[94:95], v153
	v_cndmask_b32_e64 v8, 0, 1, s[18:19]
	v_cmp_ne_u32_e64 s[4:5], 1, v8
	s_andn2_b64 vcc, exec, s[18:19]
	s_waitcnt vmcnt(0) lgkmcnt(1)
	v_mul_f64 v[2:3], v[88:89], v[0:1]
	v_mul_f64 v[4:5], v[86:87], v[0:1]
	ds_write_b64 v154, v[2:3]
	v_mul_f64 v[6:7], v[92:93], v[0:1]
	ds_read_b64 v[96:97], v153 offset:8
	ds_write_b64 v154, v[4:5] offset:536
	ds_read_b64 v[98:99], v153 offset:16
	ds_write_b64 v154, v[6:7] offset:1072
	v_mul_f64 v[0:1], v[90:91], v[0:1]
	ds_read_b64 v[100:101], v153 offset:24
	ds_write_b64 v154, v[0:1] offset:1608
	s_waitcnt lgkmcnt(0)
	s_barrier
	ds_read2_b64 v[4:7], v149 offset1:1
	ds_read2_b64 v[0:3], v149 offset0:2 offset1:3
	v_lshl_add_u64 v[8:9], v[50:51], 0, v[38:39]
	s_waitcnt lgkmcnt(0)
	s_barrier
	s_cbranch_vccnz .LBB96_121
; %bb.84:                               ;   in Loop: Header=BB96_72 Depth=1
	v_mov_b64_e32 v[102:103], 0
	v_cmp_gt_i32_e32 vcc, s22, v155
	v_mov_b64_e32 v[104:105], v[102:103]
	s_and_saveexec_b64 s[18:19], vcc
	s_cbranch_execz .LBB96_86
; %bb.85:                               ;   in Loop: Header=BB96_72 Depth=1
	global_load_dwordx2 v[104:105], v[8:9], off
.LBB96_86:                              ;   in Loop: Header=BB96_72 Depth=1
	s_or_b64 exec, exec, s[18:19]
	v_cmp_gt_i32_e32 vcc, s22, v156
	s_and_saveexec_b64 s[18:19], vcc
	s_cbranch_execz .LBB96_88
; %bb.87:                               ;   in Loop: Header=BB96_72 Depth=1
	v_lshl_add_u64 v[10:11], v[52:53], 0, v[38:39]
	global_load_dwordx2 v[102:103], v[10:11], off
.LBB96_88:                              ;   in Loop: Header=BB96_72 Depth=1
	s_or_b64 exec, exec, s[18:19]
	v_mov_b64_e32 v[106:107], 0
	v_cmp_gt_i32_e32 vcc, s22, v157
	v_mov_b64_e32 v[108:109], v[106:107]
	s_and_saveexec_b64 s[18:19], vcc
	s_cbranch_execz .LBB96_90
; %bb.89:                               ;   in Loop: Header=BB96_72 Depth=1
	v_lshl_add_u64 v[10:11], v[54:55], 0, v[38:39]
	global_load_dwordx2 v[108:109], v[10:11], off
.LBB96_90:                              ;   in Loop: Header=BB96_72 Depth=1
	s_or_b64 exec, exec, s[18:19]
	v_cmp_gt_i32_e32 vcc, s22, v158
	s_and_saveexec_b64 s[18:19], vcc
	s_cbranch_execz .LBB96_92
; %bb.91:                               ;   in Loop: Header=BB96_72 Depth=1
	v_lshl_add_u64 v[10:11], v[56:57], 0, v[38:39]
	global_load_dwordx2 v[106:107], v[10:11], off
.LBB96_92:                              ;   in Loop: Header=BB96_72 Depth=1
	s_or_b64 exec, exec, s[18:19]
	s_branch .LBB96_94
.LBB96_93:                              ;   in Loop: Header=BB96_72 Depth=1
	global_load_dwordx2 v[104:105], v[8:9], off
	v_lshl_add_u64 v[8:9], v[52:53], 0, v[38:39]
	global_load_dwordx2 v[102:103], v[8:9], off
	v_lshl_add_u64 v[8:9], v[58:59], 0, v[38:39]
	;; [unrolled: 2-line block ×3, first 2 shown]
	global_load_dwordx2 v[106:107], v[8:9], off
.LBB96_94:                              ;   in Loop: Header=BB96_72 Depth=1
	ds_read_b64 v[8:9], v146
	ds_read_b64 v[110:111], v153 offset:128
	s_and_b64 vcc, exec, s[4:5]
	v_lshl_add_u64 v[16:17], v[62:63], 0, v[38:39]
	s_waitcnt vmcnt(0) lgkmcnt(1)
	v_mul_f64 v[10:11], v[104:105], v[8:9]
	v_mul_f64 v[12:13], v[102:103], v[8:9]
	ds_write_b64 v154, v[10:11]
	v_mul_f64 v[14:15], v[108:109], v[8:9]
	ds_read_b64 v[112:113], v153 offset:136
	ds_write_b64 v154, v[12:13] offset:536
	ds_read_b64 v[114:115], v153 offset:144
	ds_write_b64 v154, v[14:15] offset:1072
	v_mul_f64 v[8:9], v[106:107], v[8:9]
	ds_read_b64 v[116:117], v153 offset:152
	ds_write_b64 v154, v[8:9] offset:1608
	s_waitcnt lgkmcnt(0)
	s_barrier
	ds_read2_b64 v[12:15], v149 offset1:1
	ds_read2_b64 v[8:11], v149 offset0:2 offset1:3
	s_waitcnt lgkmcnt(0)
	s_barrier
	s_cbranch_vccnz .LBB96_122
; %bb.95:                               ;   in Loop: Header=BB96_72 Depth=1
	v_mov_b64_e32 v[118:119], 0
	v_cmp_gt_i32_e32 vcc, s22, v160
	v_mov_b64_e32 v[120:121], v[118:119]
	s_and_saveexec_b64 s[18:19], vcc
	s_cbranch_execz .LBB96_97
; %bb.96:                               ;   in Loop: Header=BB96_72 Depth=1
	global_load_dwordx2 v[120:121], v[16:17], off
.LBB96_97:                              ;   in Loop: Header=BB96_72 Depth=1
	s_or_b64 exec, exec, s[18:19]
	v_cmp_gt_i32_e32 vcc, s22, v161
	s_and_saveexec_b64 s[18:19], vcc
	s_cbranch_execz .LBB96_99
; %bb.98:                               ;   in Loop: Header=BB96_72 Depth=1
	v_lshl_add_u64 v[18:19], v[64:65], 0, v[38:39]
	global_load_dwordx2 v[118:119], v[18:19], off
.LBB96_99:                              ;   in Loop: Header=BB96_72 Depth=1
	s_or_b64 exec, exec, s[18:19]
	v_mov_b64_e32 v[122:123], 0
	v_cmp_gt_i32_e32 vcc, s22, v162
	v_mov_b64_e32 v[124:125], v[122:123]
	s_and_saveexec_b64 s[18:19], vcc
	s_cbranch_execz .LBB96_101
; %bb.100:                              ;   in Loop: Header=BB96_72 Depth=1
	v_lshl_add_u64 v[18:19], v[66:67], 0, v[38:39]
	global_load_dwordx2 v[124:125], v[18:19], off
.LBB96_101:                             ;   in Loop: Header=BB96_72 Depth=1
	s_or_b64 exec, exec, s[18:19]
	v_cmp_gt_i32_e32 vcc, s22, v163
	s_and_saveexec_b64 s[18:19], vcc
	s_cbranch_execz .LBB96_103
; %bb.102:                              ;   in Loop: Header=BB96_72 Depth=1
	v_lshl_add_u64 v[18:19], v[68:69], 0, v[38:39]
	global_load_dwordx2 v[122:123], v[18:19], off
.LBB96_103:                             ;   in Loop: Header=BB96_72 Depth=1
	s_or_b64 exec, exec, s[18:19]
	s_branch .LBB96_105
.LBB96_104:                             ;   in Loop: Header=BB96_72 Depth=1
	global_load_dwordx2 v[120:121], v[16:17], off
	v_lshl_add_u64 v[16:17], v[64:65], 0, v[38:39]
	global_load_dwordx2 v[118:119], v[16:17], off
	v_lshl_add_u64 v[16:17], v[84:85], 0, v[38:39]
	;; [unrolled: 2-line block ×3, first 2 shown]
	global_load_dwordx2 v[122:123], v[16:17], off
.LBB96_105:                             ;   in Loop: Header=BB96_72 Depth=1
	ds_read_b64 v[16:17], v146
	ds_read_b64 v[126:127], v153 offset:256
	s_and_b64 vcc, exec, s[4:5]
	v_lshl_add_u64 v[142:143], v[72:73], 0, v[36:37]
	s_waitcnt vmcnt(0) lgkmcnt(1)
	v_mul_f64 v[18:19], v[120:121], v[16:17]
	v_mul_f64 v[20:21], v[118:119], v[16:17]
	ds_write_b64 v154, v[18:19]
	v_mul_f64 v[22:23], v[124:125], v[16:17]
	ds_read_b64 v[128:129], v153 offset:264
	ds_write_b64 v154, v[20:21] offset:536
	ds_read_b64 v[130:131], v153 offset:272
	ds_write_b64 v154, v[22:23] offset:1072
	v_mul_f64 v[16:17], v[122:123], v[16:17]
	ds_read_b64 v[132:133], v153 offset:280
	ds_write_b64 v154, v[16:17] offset:1608
	s_waitcnt lgkmcnt(0)
	s_barrier
	ds_read2_b64 v[20:23], v149 offset1:1
	ds_read2_b64 v[16:19], v149 offset0:2 offset1:3
	s_waitcnt lgkmcnt(0)
	s_barrier
	s_cbranch_vccnz .LBB96_123
; %bb.106:                              ;   in Loop: Header=BB96_72 Depth=1
	v_mov_b64_e32 v[134:135], 0
	v_cmp_gt_i32_e32 vcc, s22, v164
	v_mov_b64_e32 v[136:137], v[134:135]
	s_and_saveexec_b64 s[4:5], vcc
	s_cbranch_execz .LBB96_108
; %bb.107:                              ;   in Loop: Header=BB96_72 Depth=1
	global_load_dwordx2 v[136:137], v[142:143], off
.LBB96_108:                             ;   in Loop: Header=BB96_72 Depth=1
	s_or_b64 exec, exec, s[4:5]
	v_cmp_gt_i32_e32 vcc, s22, v165
	s_and_saveexec_b64 s[4:5], vcc
	s_cbranch_execz .LBB96_110
; %bb.109:                              ;   in Loop: Header=BB96_72 Depth=1
	v_lshl_add_u64 v[134:135], v[74:75], 0, v[36:37]
	global_load_dwordx2 v[134:135], v[134:135], off
.LBB96_110:                             ;   in Loop: Header=BB96_72 Depth=1
	s_or_b64 exec, exec, s[4:5]
	v_mov_b64_e32 v[138:139], 0
	v_cmp_gt_i32_e32 vcc, s22, v166
	v_mov_b64_e32 v[140:141], v[138:139]
	s_and_saveexec_b64 s[4:5], vcc
	s_cbranch_execz .LBB96_112
; %bb.111:                              ;   in Loop: Header=BB96_72 Depth=1
	v_lshl_add_u64 v[140:141], v[76:77], 0, v[36:37]
	global_load_dwordx2 v[140:141], v[140:141], off
.LBB96_112:                             ;   in Loop: Header=BB96_72 Depth=1
	s_or_b64 exec, exec, s[4:5]
	v_cmp_gt_i32_e32 vcc, s22, v167
	s_and_saveexec_b64 s[4:5], vcc
	s_cbranch_execz .LBB96_114
; %bb.113:                              ;   in Loop: Header=BB96_72 Depth=1
	v_lshl_add_u64 v[138:139], v[78:79], 0, v[36:37]
	global_load_dwordx2 v[138:139], v[138:139], off
.LBB96_114:                             ;   in Loop: Header=BB96_72 Depth=1
	s_or_b64 exec, exec, s[4:5]
	s_branch .LBB96_116
.LBB96_115:                             ;   in Loop: Header=BB96_72 Depth=1
	s_waitcnt vmcnt(0)
	v_lshl_add_u64 v[138:139], v[80:81], 0, v[36:37]
	v_lshl_add_u64 v[134:135], v[74:75], 0, v[36:37]
	global_load_dwordx2 v[140:141], v[138:139], off
	v_lshl_add_u64 v[138:139], v[82:83], 0, v[36:37]
	global_load_dwordx2 v[136:137], v[142:143], off
	s_nop 0
	global_load_dwordx2 v[134:135], v[134:135], off
	s_nop 0
	global_load_dwordx2 v[138:139], v[138:139], off
.LBB96_116:                             ;   in Loop: Header=BB96_72 Depth=1
	v_add_f64 v[12:13], v[12:13], 0
	v_add_f64 v[12:13], v[12:13], v[14:15]
	ds_read_b64 v[14:15], v146
	v_add_f64 v[20:21], v[20:21], 0
	v_add_f64 v[20:21], v[20:21], v[22:23]
	;; [unrolled: 1-line block ×7, first 2 shown]
	ds_read_b64 v[4:5], v153 offset:384
	s_waitcnt vmcnt(0) lgkmcnt(1)
	v_mul_f64 v[8:9], v[136:137], v[14:15]
	ds_write_b64 v154, v[8:9]
	v_mul_f64 v[10:11], v[134:135], v[14:15]
	ds_read_b64 v[8:9], v153 offset:392
	ds_write_b64 v154, v[10:11] offset:536
	v_mul_f64 v[12:13], v[140:141], v[14:15]
	ds_read_b64 v[10:11], v153 offset:400
	ds_write_b64 v154, v[12:13] offset:1072
	;; [unrolled: 3-line block ×3, first 2 shown]
	s_waitcnt lgkmcnt(0)
	s_barrier
	ds_read2_b64 v[14:17], v149 offset1:1
	v_add_f64 v[6:7], v[18:19], v[6:7]
	ds_read2_b64 v[18:21], v149 offset0:2 offset1:3
	v_add_f64 v[0:1], v[6:7], v[0:1]
	v_add_f64 v[0:1], v[0:1], v[2:3]
	s_waitcnt lgkmcnt(1)
	v_add_f64 v[2:3], v[14:15], 0
	v_cmp_gt_i32_e32 vcc, s22, v26
	v_add_f64 v[2:3], v[2:3], v[16:17]
	s_or_b64 s[4:5], s[14:15], vcc
	s_waitcnt lgkmcnt(0)
	v_add_f64 v[2:3], v[2:3], v[18:19]
	s_and_b64 s[14:15], s[0:1], s[4:5]
	v_add_f64 v[2:3], v[2:3], v[20:21]
	s_barrier
	ds_write2_b64 v159, v[0:1], v[142:143] offset1:16
	ds_write2_b64 v159, v[22:23], v[2:3] offset0:32 offset1:48
	s_waitcnt lgkmcnt(0)
	s_barrier
	s_and_saveexec_b64 s[4:5], s[14:15]
	s_cbranch_execz .LBB96_118
; %bb.117:                              ;   in Loop: Header=BB96_72 Depth=1
	ds_read2_b64 v[0:3], v147 offset1:1
	ds_read2_b64 v[14:17], v147 offset0:2 offset1:3
	ds_read2_b64 v[18:21], v147 offset0:4 offset1:5
	;; [unrolled: 1-line block ×3, first 2 shown]
	v_ashrrev_i32_e32 v35, 31, v34
	s_waitcnt lgkmcnt(3)
	v_add_f64 v[0:1], v[0:1], v[2:3]
	s_waitcnt lgkmcnt(2)
	v_add_f64 v[0:1], v[0:1], v[14:15]
	v_add_f64 v[0:1], v[0:1], v[16:17]
	s_waitcnt lgkmcnt(1)
	v_add_f64 v[6:7], v[0:1], v[18:19]
	ds_read2_b64 v[0:3], v147 offset0:8 offset1:9
	ds_read2_b64 v[14:17], v147 offset0:10 offset1:11
	v_add_f64 v[6:7], v[6:7], v[20:21]
	s_waitcnt lgkmcnt(2)
	v_add_f64 v[6:7], v[6:7], v[168:169]
	v_add_f64 v[6:7], v[6:7], v[170:171]
	s_waitcnt lgkmcnt(1)
	v_add_f64 v[0:1], v[6:7], v[0:1]
	v_add_f64 v[6:7], v[0:1], v[2:3]
	ds_read2_b64 v[0:3], v147 offset0:12 offset1:13
	s_waitcnt lgkmcnt(1)
	v_add_f64 v[6:7], v[6:7], v[14:15]
	ds_read_b64 v[14:15], v147 offset:112
	ds_read_b64 v[18:19], v148
	v_add_f64 v[6:7], v[6:7], v[16:17]
	s_waitcnt lgkmcnt(2)
	v_add_f64 v[0:1], v[6:7], v[0:1]
	v_add_f64 v[0:1], v[0:1], v[2:3]
	s_waitcnt lgkmcnt(1)
	v_add_f64 v[0:1], v[0:1], v[14:15]
	s_waitcnt lgkmcnt(0)
	v_add_f64 v[0:1], v[0:1], v[18:19]
	v_lshl_add_u64 v[2:3], v[34:35], 3, s[6:7]
	global_store_dwordx2 v[2:3], v[0:1], off
.LBB96_118:                             ;   in Loop: Header=BB96_72 Depth=1
	s_or_b64 exec, exec, s[4:5]
	v_fmac_f64_e32 v[28:29], v[88:89], v[94:95]
	v_fmac_f64_e32 v[28:29], v[86:87], v[96:97]
	;; [unrolled: 1-line block ×15, first 2 shown]
	s_add_i32 s4, s2, 1
	s_add_i32 s8, s8, s17
	;; [unrolled: 1-line block ×3, first 2 shown]
	v_fmac_f64_e32 v[28:29], v[138:139], v[12:13]
	v_add_u32_e32 v34, 64, v34
	v_lshl_add_u64 v[32:33], v[32:33], 0, s[10:11]
	v_lshl_add_u64 v[40:41], v[40:41], 0, s[10:11]
	;; [unrolled: 1-line block ×23, first 2 shown]
	s_cmp_ge_u32 s2, s33
	v_lshl_add_u64 v[82:83], v[82:83], 0, s[10:11]
	s_barrier
	s_cbranch_scc1 .LBB96_124
; %bb.119:                              ;   in Loop: Header=BB96_72 Depth=1
	s_mov_b32 s2, s4
	s_cmp_eq_u32 s3, s2
	s_cselect_b32 s22, s34, 0
	s_and_saveexec_b64 s[4:5], s[12:13]
	s_cbranch_execnz .LBB96_69
	s_branch .LBB96_72
.LBB96_120:                             ;   in Loop: Header=BB96_72 Depth=1
                                        ; implicit-def: $vgpr90_vgpr91
                                        ; implicit-def: $vgpr92_vgpr93
                                        ; implicit-def: $vgpr86_vgpr87
                                        ; implicit-def: $vgpr88_vgpr89
	s_cbranch_execnz .LBB96_82
	s_branch .LBB96_83
.LBB96_121:                             ;   in Loop: Header=BB96_72 Depth=1
                                        ; implicit-def: $vgpr106_vgpr107
                                        ; implicit-def: $vgpr108_vgpr109
                                        ; implicit-def: $vgpr102_vgpr103
                                        ; implicit-def: $vgpr104_vgpr105
	s_cbranch_execnz .LBB96_93
	s_branch .LBB96_94
.LBB96_122:                             ;   in Loop: Header=BB96_72 Depth=1
                                        ; implicit-def: $vgpr122_vgpr123
                                        ; implicit-def: $vgpr124_vgpr125
                                        ; implicit-def: $vgpr118_vgpr119
                                        ; implicit-def: $vgpr120_vgpr121
	s_cbranch_execnz .LBB96_104
	s_branch .LBB96_105
.LBB96_123:                             ;   in Loop: Header=BB96_72 Depth=1
                                        ; implicit-def: $vgpr138_vgpr139
                                        ; implicit-def: $vgpr140_vgpr141
                                        ; implicit-def: $vgpr134_vgpr135
                                        ; implicit-def: $vgpr136_vgpr137
	s_cbranch_execnz .LBB96_115
	s_branch .LBB96_116
.LBB96_124:
	s_movk_i32 s0, 0x218
	v_cmp_gt_i32_e32 vcc, s16, v26
	v_mad_u32_u24 v0, v25, s0, v27
	s_or_b64 s[0:1], s[20:21], vcc
	s_and_b64 s[0:1], s[12:13], s[0:1]
	ds_write_b64 v0, v[28:29]
	s_waitcnt lgkmcnt(0)
	s_barrier
	s_and_saveexec_b64 s[2:3], s[0:1]
	s_cbranch_execz .LBB96_126
; %bb.125:
	ds_read2_b64 v[0:3], v27 offset1:67
	ds_read2_b64 v[4:7], v27 offset0:134 offset1:201
	v_ashrrev_i32_e32 v25, 31, v24
	s_waitcnt lgkmcnt(1)
	v_add_f64 v[0:1], v[0:1], v[2:3]
	s_waitcnt lgkmcnt(0)
	v_add_f64 v[0:1], v[0:1], v[4:5]
	v_add_f64 v[0:1], v[0:1], v[6:7]
	v_lshl_add_u64 v[2:3], v[24:25], 3, s[6:7]
	global_store_dwordx2 v[2:3], v[0:1], off
.LBB96_126:
	s_endpgm
	.section	.rodata,"a",@progbits
	.p2align	6, 0x0
	.amdhsa_kernel _ZL26rocblas_hemvn_kernel_upperILb0ELi64ELi4ELi33ELi32ELi16EiPKdS1_PdEviT6_lT7_lT5_lS4_lS5_lS3_lT8_i
		.amdhsa_group_segment_fixed_size 9600
		.amdhsa_private_segment_fixed_size 0
		.amdhsa_kernarg_size 376
		.amdhsa_user_sgpr_count 2
		.amdhsa_user_sgpr_dispatch_ptr 0
		.amdhsa_user_sgpr_queue_ptr 0
		.amdhsa_user_sgpr_kernarg_segment_ptr 1
		.amdhsa_user_sgpr_dispatch_id 0
		.amdhsa_user_sgpr_kernarg_preload_length 0
		.amdhsa_user_sgpr_kernarg_preload_offset 0
		.amdhsa_user_sgpr_private_segment_size 0
		.amdhsa_uses_dynamic_stack 0
		.amdhsa_enable_private_segment 0
		.amdhsa_system_sgpr_workgroup_id_x 1
		.amdhsa_system_sgpr_workgroup_id_y 0
		.amdhsa_system_sgpr_workgroup_id_z 1
		.amdhsa_system_sgpr_workgroup_info 0
		.amdhsa_system_vgpr_workitem_id 1
		.amdhsa_next_free_vgpr 172
		.amdhsa_next_free_sgpr 44
		.amdhsa_accum_offset 172
		.amdhsa_reserve_vcc 1
		.amdhsa_float_round_mode_32 0
		.amdhsa_float_round_mode_16_64 0
		.amdhsa_float_denorm_mode_32 3
		.amdhsa_float_denorm_mode_16_64 3
		.amdhsa_dx10_clamp 1
		.amdhsa_ieee_mode 1
		.amdhsa_fp16_overflow 0
		.amdhsa_tg_split 0
		.amdhsa_exception_fp_ieee_invalid_op 0
		.amdhsa_exception_fp_denorm_src 0
		.amdhsa_exception_fp_ieee_div_zero 0
		.amdhsa_exception_fp_ieee_overflow 0
		.amdhsa_exception_fp_ieee_underflow 0
		.amdhsa_exception_fp_ieee_inexact 0
		.amdhsa_exception_int_div_zero 0
	.end_amdhsa_kernel
	.section	.text._ZL26rocblas_hemvn_kernel_upperILb0ELi64ELi4ELi33ELi32ELi16EiPKdS1_PdEviT6_lT7_lT5_lS4_lS5_lS3_lT8_i,"axG",@progbits,_ZL26rocblas_hemvn_kernel_upperILb0ELi64ELi4ELi33ELi32ELi16EiPKdS1_PdEviT6_lT7_lT5_lS4_lS5_lS3_lT8_i,comdat
.Lfunc_end96:
	.size	_ZL26rocblas_hemvn_kernel_upperILb0ELi64ELi4ELi33ELi32ELi16EiPKdS1_PdEviT6_lT7_lT5_lS4_lS5_lS3_lT8_i, .Lfunc_end96-_ZL26rocblas_hemvn_kernel_upperILb0ELi64ELi4ELi33ELi32ELi16EiPKdS1_PdEviT6_lT7_lT5_lS4_lS5_lS3_lT8_i
                                        ; -- End function
	.section	.AMDGPU.csdata,"",@progbits
; Kernel info:
; codeLenInByte = 6936
; NumSgprs: 50
; NumVgprs: 172
; NumAgprs: 0
; TotalNumVgprs: 172
; ScratchSize: 0
; MemoryBound: 0
; FloatMode: 240
; IeeeMode: 1
; LDSByteSize: 9600 bytes/workgroup (compile time only)
; SGPRBlocks: 6
; VGPRBlocks: 21
; NumSGPRsForWavesPerEU: 50
; NumVGPRsForWavesPerEU: 172
; AccumOffset: 172
; Occupancy: 2
; WaveLimiterHint : 1
; COMPUTE_PGM_RSRC2:SCRATCH_EN: 0
; COMPUTE_PGM_RSRC2:USER_SGPR: 2
; COMPUTE_PGM_RSRC2:TRAP_HANDLER: 0
; COMPUTE_PGM_RSRC2:TGID_X_EN: 1
; COMPUTE_PGM_RSRC2:TGID_Y_EN: 0
; COMPUTE_PGM_RSRC2:TGID_Z_EN: 1
; COMPUTE_PGM_RSRC2:TIDIG_COMP_CNT: 1
; COMPUTE_PGM_RSRC3_GFX90A:ACCUM_OFFSET: 42
; COMPUTE_PGM_RSRC3_GFX90A:TG_SPLIT: 0
	.section	.text._ZL36rocblas_hemvn_kernel_upper_block_sumILi64EiPKdPddEviT1_lS3_lT2_lT0_lPT3_i,"axG",@progbits,_ZL36rocblas_hemvn_kernel_upper_block_sumILi64EiPKdPddEviT1_lS3_lT2_lT0_lPT3_i,comdat
	.globl	_ZL36rocblas_hemvn_kernel_upper_block_sumILi64EiPKdPddEviT1_lS3_lT2_lT0_lPT3_i ; -- Begin function _ZL36rocblas_hemvn_kernel_upper_block_sumILi64EiPKdPddEviT1_lS3_lT2_lT0_lPT3_i
	.p2align	8
	.type	_ZL36rocblas_hemvn_kernel_upper_block_sumILi64EiPKdPddEviT1_lS3_lT2_lT0_lPT3_i,@function
_ZL36rocblas_hemvn_kernel_upper_block_sumILi64EiPKdPddEviT1_lS3_lT2_lT0_lPT3_i: ; @_ZL36rocblas_hemvn_kernel_upper_block_sumILi64EiPKdPddEviT1_lS3_lT2_lT0_lPT3_i
; %bb.0:
	s_load_dwordx8 s[8:15], s[0:1], 0x8
	s_waitcnt lgkmcnt(0)
	s_mul_i32 s4, s3, s11
	s_mul_hi_u32 s5, s3, s10
	s_add_i32 s5, s5, s4
	s_mul_i32 s4, s3, s10
	s_lshl_b64 s[4:5], s[4:5], 3
	s_add_u32 s4, s8, s4
	s_addc_u32 s5, s9, s5
	s_load_dwordx2 s[8:9], s[4:5], 0x0
	s_mul_i32 s4, s3, s15
	s_mul_hi_u32 s5, s3, s14
	s_add_i32 s5, s5, s4
	s_mul_i32 s4, s3, s14
	s_lshl_b64 s[4:5], s[4:5], 3
	s_add_u32 s4, s12, s4
	s_addc_u32 s5, s13, s5
	s_load_dwordx2 s[12:13], s[4:5], 0x0
	s_waitcnt lgkmcnt(0)
	v_cmp_eq_f64_e64 s[4:5], s[8:9], 0
	v_cmp_eq_f64_e64 s[6:7], s[12:13], 1.0
	s_and_b64 s[4:5], s[4:5], s[6:7]
	s_and_b64 vcc, exec, s[4:5]
	s_cbranch_vccnz .LBB97_19
; %bb.1:
	s_load_dwordx4 s[4:7], s[0:1], 0x40
	s_load_dword s22, s[0:1], 0x38
	s_load_dwordx4 s[24:27], s[0:1], 0x28
	s_load_dword s16, s[0:1], 0x0
	v_lshl_or_b32 v0, s2, 6, v0
	s_waitcnt lgkmcnt(0)
	s_mul_i32 s5, s3, s5
	s_mul_hi_u32 s10, s3, s4
	s_add_i32 s5, s10, s5
	s_mul_i32 s4, s3, s4
	s_lshl_b64 s[4:5], s[4:5], 3
	s_add_u32 s10, s24, s4
	s_addc_u32 s11, s25, s5
	s_lshl_b64 s[4:5], s[26:27], 3
	s_add_u32 s10, s10, s4
	s_addc_u32 s11, s11, s5
	v_cmp_neq_f64_e64 s[4:5], s[8:9], 0
	s_mov_b64 s[14:15], 0
	s_and_b64 vcc, exec, s[4:5]
	v_cmp_gt_i32_e64 s[4:5], s16, v0
	s_cbranch_vccnz .LBB97_6
; %bb.2:
	s_mov_b64 s[18:19], 0
                                        ; implicit-def: $vgpr4_vgpr5
                                        ; implicit-def: $vgpr2_vgpr3
	s_and_saveexec_b64 s[20:21], s[4:5]
	s_cbranch_execz .LBB97_7
; %bb.3:
	v_cmp_eq_f64_e64 s[4:5], s[12:13], 0
	v_mul_lo_u32 v2, v0, s22
	v_mov_b64_e32 v[4:5], 0
	v_ashrrev_i32_e32 v3, 31, v2
	s_and_b64 vcc, exec, s[4:5]
	s_cbranch_vccnz .LBB97_5
; %bb.4:
	v_lshl_add_u64 v[4:5], v[2:3], 3, s[10:11]
	global_load_dwordx2 v[4:5], v[4:5], off
	s_waitcnt vmcnt(0)
	v_mul_f64 v[4:5], s[12:13], v[4:5]
.LBB97_5:
	s_mov_b64 s[14:15], exec
	s_or_b64 exec, exec, s[20:21]
	s_and_b64 vcc, exec, s[18:19]
	s_cbranch_vccnz .LBB97_8
	s_branch .LBB97_17
.LBB97_6:
                                        ; implicit-def: $vgpr4_vgpr5
                                        ; implicit-def: $vgpr2_vgpr3
	s_cbranch_execnz .LBB97_8
	s_branch .LBB97_17
.LBB97_7:
	s_or_b64 exec, exec, s[20:21]
	s_and_b64 vcc, exec, s[18:19]
	s_cbranch_vccz .LBB97_17
.LBB97_8:
	v_cmp_gt_i32_e32 vcc, s16, v0
                                        ; implicit-def: $vgpr4_vgpr5
                                        ; implicit-def: $vgpr2_vgpr3
	s_and_saveexec_b64 s[4:5], vcc
	s_cbranch_execz .LBB97_16
; %bb.9:
	s_cmp_lt_i32 s2, 0
	v_mov_b64_e32 v[6:7], 0
	s_cbranch_scc1 .LBB97_12
; %bb.10:
	s_load_dword s0, s[0:1], 0x58
	s_ashr_i32 s17, s16, 31
	s_mul_hi_u32 s1, s16, s3
	s_mul_i32 s18, s17, s3
	s_add_i32 s1, s1, s18
	s_mul_i32 s3, s16, s3
	s_waitcnt lgkmcnt(0)
	s_mul_i32 s1, s1, s0
	s_mul_hi_u32 s18, s3, s0
	s_add_i32 s1, s18, s1
	s_mul_i32 s0, s3, s0
	s_lshl_b64 s[0:1], s[0:1], 3
	s_add_u32 s0, s6, s0
	s_addc_u32 s1, s7, s1
	v_mov_b32_e32 v1, 0
	v_lshl_add_u64 v[2:3], v[0:1], 3, s[0:1]
	s_add_i32 s2, s2, 1
	s_lshl_b64 s[0:1], s[16:17], 3
	v_mov_b64_e32 v[6:7], 0
.LBB97_11:                              ; =>This Inner Loop Header: Depth=1
	global_load_dwordx2 v[4:5], v[2:3], off
	s_add_i32 s2, s2, -1
	v_lshl_add_u64 v[2:3], v[2:3], 0, s[0:1]
	s_cmp_eq_u32 s2, 0
	s_waitcnt vmcnt(0)
	v_add_f64 v[6:7], v[6:7], v[4:5]
	s_cbranch_scc0 .LBB97_11
.LBB97_12:
	v_cmp_eq_f64_e64 s[2:3], s[12:13], 0
	v_mul_lo_u32 v2, v0, s22
	s_mov_b64 s[0:1], 0
	s_and_b64 vcc, exec, s[2:3]
	v_ashrrev_i32_e32 v3, 31, v2
	s_cbranch_vccz .LBB97_20
; %bb.13:
	v_mul_f64 v[4:5], s[8:9], v[6:7]
	s_andn2_b64 vcc, exec, s[0:1]
	s_cbranch_vccnz .LBB97_15
.LBB97_14:
	v_lshl_add_u64 v[0:1], v[2:3], 3, s[10:11]
	global_load_dwordx2 v[0:1], v[0:1], off
	s_waitcnt vmcnt(0)
	v_mul_f64 v[4:5], s[12:13], v[0:1]
	v_fmac_f64_e32 v[4:5], s[8:9], v[6:7]
.LBB97_15:
	s_or_b64 s[14:15], s[14:15], exec
.LBB97_16:
	s_or_b64 exec, exec, s[4:5]
.LBB97_17:
	s_and_saveexec_b64 s[0:1], s[14:15]
	s_cbranch_execz .LBB97_19
; %bb.18:
	v_lshl_add_u64 v[0:1], v[2:3], 3, s[10:11]
	global_store_dwordx2 v[0:1], v[4:5], off
.LBB97_19:
	s_endpgm
.LBB97_20:
                                        ; implicit-def: $vgpr4_vgpr5
	s_branch .LBB97_14
	.section	.rodata,"a",@progbits
	.p2align	6, 0x0
	.amdhsa_kernel _ZL36rocblas_hemvn_kernel_upper_block_sumILi64EiPKdPddEviT1_lS3_lT2_lT0_lPT3_i
		.amdhsa_group_segment_fixed_size 0
		.amdhsa_private_segment_fixed_size 0
		.amdhsa_kernarg_size 344
		.amdhsa_user_sgpr_count 2
		.amdhsa_user_sgpr_dispatch_ptr 0
		.amdhsa_user_sgpr_queue_ptr 0
		.amdhsa_user_sgpr_kernarg_segment_ptr 1
		.amdhsa_user_sgpr_dispatch_id 0
		.amdhsa_user_sgpr_kernarg_preload_length 0
		.amdhsa_user_sgpr_kernarg_preload_offset 0
		.amdhsa_user_sgpr_private_segment_size 0
		.amdhsa_uses_dynamic_stack 0
		.amdhsa_enable_private_segment 0
		.amdhsa_system_sgpr_workgroup_id_x 1
		.amdhsa_system_sgpr_workgroup_id_y 0
		.amdhsa_system_sgpr_workgroup_id_z 1
		.amdhsa_system_sgpr_workgroup_info 0
		.amdhsa_system_vgpr_workitem_id 0
		.amdhsa_next_free_vgpr 8
		.amdhsa_next_free_sgpr 28
		.amdhsa_accum_offset 8
		.amdhsa_reserve_vcc 1
		.amdhsa_float_round_mode_32 0
		.amdhsa_float_round_mode_16_64 0
		.amdhsa_float_denorm_mode_32 3
		.amdhsa_float_denorm_mode_16_64 3
		.amdhsa_dx10_clamp 1
		.amdhsa_ieee_mode 1
		.amdhsa_fp16_overflow 0
		.amdhsa_tg_split 0
		.amdhsa_exception_fp_ieee_invalid_op 0
		.amdhsa_exception_fp_denorm_src 0
		.amdhsa_exception_fp_ieee_div_zero 0
		.amdhsa_exception_fp_ieee_overflow 0
		.amdhsa_exception_fp_ieee_underflow 0
		.amdhsa_exception_fp_ieee_inexact 0
		.amdhsa_exception_int_div_zero 0
	.end_amdhsa_kernel
	.section	.text._ZL36rocblas_hemvn_kernel_upper_block_sumILi64EiPKdPddEviT1_lS3_lT2_lT0_lPT3_i,"axG",@progbits,_ZL36rocblas_hemvn_kernel_upper_block_sumILi64EiPKdPddEviT1_lS3_lT2_lT0_lPT3_i,comdat
.Lfunc_end97:
	.size	_ZL36rocblas_hemvn_kernel_upper_block_sumILi64EiPKdPddEviT1_lS3_lT2_lT0_lPT3_i, .Lfunc_end97-_ZL36rocblas_hemvn_kernel_upper_block_sumILi64EiPKdPddEviT1_lS3_lT2_lT0_lPT3_i
                                        ; -- End function
	.section	.AMDGPU.csdata,"",@progbits
; Kernel info:
; codeLenInByte = 608
; NumSgprs: 34
; NumVgprs: 8
; NumAgprs: 0
; TotalNumVgprs: 8
; ScratchSize: 0
; MemoryBound: 0
; FloatMode: 240
; IeeeMode: 1
; LDSByteSize: 0 bytes/workgroup (compile time only)
; SGPRBlocks: 4
; VGPRBlocks: 0
; NumSGPRsForWavesPerEU: 34
; NumVGPRsForWavesPerEU: 8
; AccumOffset: 8
; Occupancy: 8
; WaveLimiterHint : 0
; COMPUTE_PGM_RSRC2:SCRATCH_EN: 0
; COMPUTE_PGM_RSRC2:USER_SGPR: 2
; COMPUTE_PGM_RSRC2:TRAP_HANDLER: 0
; COMPUTE_PGM_RSRC2:TGID_X_EN: 1
; COMPUTE_PGM_RSRC2:TGID_Y_EN: 0
; COMPUTE_PGM_RSRC2:TGID_Z_EN: 1
; COMPUTE_PGM_RSRC2:TIDIG_COMP_CNT: 0
; COMPUTE_PGM_RSRC3_GFX90A:ACCUM_OFFSET: 1
; COMPUTE_PGM_RSRC3_GFX90A:TG_SPLIT: 0
	.section	.text._ZL26rocblas_hemvn_kernel_upperILb0ELi64ELi4ELi33ELi32ELi16EldPKdPdEviT6_lT7_lT5_lS4_lS5_lS3_lT8_i,"axG",@progbits,_ZL26rocblas_hemvn_kernel_upperILb0ELi64ELi4ELi33ELi32ELi16EldPKdPdEviT6_lT7_lT5_lS4_lS5_lS3_lT8_i,comdat
	.globl	_ZL26rocblas_hemvn_kernel_upperILb0ELi64ELi4ELi33ELi32ELi16EldPKdPdEviT6_lT7_lT5_lS4_lS5_lS3_lT8_i ; -- Begin function _ZL26rocblas_hemvn_kernel_upperILb0ELi64ELi4ELi33ELi32ELi16EldPKdPdEviT6_lT7_lT5_lS4_lS5_lS3_lT8_i
	.p2align	8
	.type	_ZL26rocblas_hemvn_kernel_upperILb0ELi64ELi4ELi33ELi32ELi16EldPKdPdEviT6_lT7_lT5_lS4_lS5_lS3_lT8_i,@function
_ZL26rocblas_hemvn_kernel_upperILb0ELi64ELi4ELi33ELi32ELi16EldPKdPdEviT6_lT7_lT5_lS4_lS5_lS3_lT8_i: ; @_ZL26rocblas_hemvn_kernel_upperILb0ELi64ELi4ELi33ELi32ELi16EldPKdPdEviT6_lT7_lT5_lS4_lS5_lS3_lT8_i
; %bb.0:
	s_load_dwordx2 s[6:7], s[0:1], 0x84
	s_add_u32 s4, s0, 0x78
	s_addc_u32 s5, s1, 0
	s_waitcnt lgkmcnt(0)
	s_lshr_b32 s8, s6, 16
	s_and_b32 s6, s6, 0xffff
	s_and_b32 s7, s7, 0xffff
	s_mul_i32 s6, s8, s6
	s_mul_i32 s6, s6, s7
	s_cmpk_lg_i32 s6, 0x100
	s_cbranch_scc1 .LBB98_126
; %bb.1:
	s_load_dwordx2 s[6:7], s[0:1], 0x8
	s_load_dwordx2 s[8:9], s[0:1], 0x58
	s_waitcnt lgkmcnt(0)
	v_cmp_eq_f64_e64 s[6:7], s[6:7], 0
	v_cmp_eq_f64_e64 s[8:9], s[8:9], 1.0
	s_and_b64 s[8:9], s[6:7], s[8:9]
	s_and_b64 vcc, exec, s[8:9]
	s_cbranch_vccnz .LBB98_126
; %bb.2:
	s_and_b64 vcc, exec, s[6:7]
	s_cbranch_vccnz .LBB98_126
; %bb.3:
	s_load_dwordx16 s[16:31], s[0:1], 0x18
	s_load_dword s33, s[4:5], 0x0
	s_load_dword s35, s[0:1], 0x0
	v_and_b32_e32 v122, 0x3ff, v0
	v_bfe_u32 v123, v0, 10, 10
	s_waitcnt lgkmcnt(0)
	s_mul_i32 s5, s3, s31
	s_mul_hi_u32 s6, s3, s30
	s_mul_i32 s4, s3, s30
	s_add_i32 s5, s6, s5
	s_lshl_b64 s[4:5], s[4:5], 3
	s_add_u32 s6, s24, s4
	s_addc_u32 s7, s25, s5
	s_lshl_b64 s[4:5], s[26:27], 3
	s_add_u32 s4, s6, s4
	s_addc_u32 s5, s7, s5
	s_ashr_i32 s36, s35, 31
	s_lshr_b32 s7, s36, 26
	s_lshl_b32 s26, s2, 6
	s_add_i32 s7, s35, s7
	s_andn2_b32 s7, s7, 63
	v_add_u32_e32 v24, s26, v122
	s_add_i32 s6, s33, -1
	s_sub_i32 s34, s35, s7
	v_ashrrev_i32_e32 v25, 31, v24
	s_cmp_eq_u32 s2, s6
	v_mul_lo_u32 v2, v25, s28
	v_mul_lo_u32 v3, v24, s29
	v_mad_u64_u32 v[0:1], s[6:7], v24, s28, 0
	v_add3_u32 v1, v1, v3, v2
	s_cselect_b32 s24, s34, 0
	v_lshl_add_u64 v[12:13], v[0:1], 3, s[4:5]
	v_cmp_eq_u32_e64 s[14:15], 0, v123
	s_and_saveexec_b64 s[4:5], s[14:15]
	s_cbranch_execz .LBB98_7
; %bb.4:
	s_cmp_eq_u32 s24, 0
	s_cselect_b64 s[6:7], -1, 0
	v_cmp_gt_i32_e32 vcc, s24, v122
	s_or_b64 s[8:9], s[6:7], vcc
	v_mov_b64_e32 v[0:1], 0
	s_and_saveexec_b64 s[6:7], s[8:9]
	s_cbranch_execz .LBB98_6
; %bb.5:
	global_load_dwordx2 v[0:1], v[12:13], off
.LBB98_6:
	s_or_b64 exec, exec, s[6:7]
	v_lshlrev_b32_e32 v2, 3, v122
	s_waitcnt vmcnt(0)
	ds_write_b64 v2, v[0:1] offset:9088
.LBB98_7:
	s_or_b64 exec, exec, s[4:5]
	s_mul_i32 s4, s3, s23
	s_mul_hi_u32 s5, s3, s22
	s_add_i32 s5, s5, s4
	s_mul_i32 s4, s3, s22
	s_lshl_b64 s[4:5], s[4:5], 3
	s_add_u32 s6, s16, s4
	s_addc_u32 s7, s17, s5
	s_lshl_b64 s[4:5], s[18:19], 3
	s_add_u32 s6, s6, s4
	s_addc_u32 s7, s7, s5
	s_ashr_i32 s27, s26, 31
	v_lshl_add_u32 v22, v123, 6, v122
	s_lshl_b64 s[4:5], s[26:27], 3
	v_and_b32_e32 v0, 31, v122
	v_lshrrev_b32_e32 v18, 5, v22
	s_add_u32 s6, s6, s4
	v_mov_b32_e32 v1, 0
	s_addc_u32 s7, s7, s5
	v_mad_u64_u32 v[14:15], s[4:5], v18, s20, v[0:1]
	v_mov_b32_e32 v2, v15
	v_mad_u64_u32 v[2:3], s[4:5], v18, s21, v[2:3]
	s_mul_i32 s4, s26, s21
	s_mul_hi_u32 s5, s26, s20
	s_add_i32 s4, s5, s4
	s_mul_i32 s5, s27, s20
	s_add_i32 s5, s4, s5
	s_mul_i32 s4, s26, s20
	s_lshl_b64 s[4:5], s[4:5], 3
	s_add_u32 s4, s4, s6
	s_addc_u32 s5, s5, s7
	s_cmp_eq_u32 s24, 0
	s_cselect_b64 s[18:19], -1, 0
	s_cmp_lg_u32 s24, 0
	v_mov_b32_e32 v15, v2
	s_cselect_b64 s[22:23], -1, 0
	v_lshl_add_u64 v[6:7], v[14:15], 3, s[4:5]
	s_and_b64 vcc, exec, s[22:23]
	v_cmp_gt_i32_e64 s[4:5], s24, v0
	v_lshlrev_b32_e32 v2, 3, v0
	s_mul_i32 s37, s21, 0xc0
	s_cbranch_vccz .LBB98_17
; %bb.8:
	v_sub_co_u32_e32 v4, vcc, v6, v2
	s_ashr_i32 s25, s24, 31
	s_nop 0
	v_subbrev_co_u32_e32 v5, vcc, 0, v7, vcc
	v_lshl_add_u64 v[4:5], s[24:25], 3, v[4:5]
	v_lshl_add_u64 v[4:5], v[4:5], 0, -8
	v_mov_b64_e32 v[8:9], 0
	v_cndmask_b32_e64 v5, v5, v7, s[4:5]
	v_cndmask_b32_e64 v4, v4, v6, s[4:5]
	v_cmp_gt_i32_e32 vcc, s24, v18
	v_mov_b64_e32 v[10:11], v[8:9]
	s_and_saveexec_b64 s[6:7], vcc
	s_cbranch_execz .LBB98_10
; %bb.9:
	global_load_dwordx2 v[10:11], v[4:5], off
.LBB98_10:
	s_or_b64 exec, exec, s[6:7]
	v_mul_u32_u24_e32 v1, 33, v18
	v_add_u32_e32 v3, 8, v18
	v_add_lshl_u32 v1, v1, v0, 3
	v_cmp_gt_i32_e32 vcc, s24, v3
	s_waitcnt vmcnt(0)
	ds_write_b64 v1, v[10:11]
	s_and_saveexec_b64 s[6:7], vcc
	s_cbranch_execz .LBB98_12
; %bb.11:
	s_lshl_b64 s[8:9], s[20:21], 6
	v_lshl_add_u64 v[8:9], v[4:5], 0, s[8:9]
	global_load_dwordx2 v[8:9], v[8:9], off
.LBB98_12:
	s_or_b64 exec, exec, s[6:7]
	s_waitcnt vmcnt(0)
	ds_write_b64 v1, v[8:9] offset:2112
	v_add_u32_e32 v3, 16, v18
	v_mov_b64_e32 v[8:9], 0
	v_cmp_gt_i32_e32 vcc, s24, v3
	v_mov_b64_e32 v[10:11], v[8:9]
	s_and_saveexec_b64 s[6:7], vcc
	s_cbranch_execz .LBB98_14
; %bb.13:
	s_lshl_b64 s[8:9], s[20:21], 7
	v_lshl_add_u64 v[10:11], v[4:5], 0, s[8:9]
	global_load_dwordx2 v[10:11], v[10:11], off
.LBB98_14:
	s_or_b64 exec, exec, s[6:7]
	v_add_u32_e32 v3, 24, v18
	v_cmp_gt_i32_e32 vcc, s24, v3
	s_waitcnt vmcnt(0)
	ds_write_b64 v1, v[10:11] offset:4224
	s_and_saveexec_b64 s[6:7], vcc
	s_cbranch_execz .LBB98_16
; %bb.15:
	v_mov_b32_e32 v3, 0xc0
	v_mad_u64_u32 v[8:9], s[8:9], s20, v3, v[4:5]
	v_add_u32_e32 v9, s37, v9
	global_load_dwordx2 v[8:9], v[8:9], off
.LBB98_16:
	s_or_b64 exec, exec, s[6:7]
	v_mov_b32_e32 v3, 0
	v_lshl_add_u64 v[4:5], v[4:5], 0, v[2:3]
	s_lshl_b64 s[6:7], s[24:25], 3
	s_waitcnt vmcnt(0)
	ds_write_b64 v1, v[8:9] offset:6336
	v_mov_b32_e32 v1, s7
	v_subrev_co_u32_e32 v4, vcc, s6, v4
	s_nop 1
	v_subb_co_u32_e32 v5, vcc, v5, v1, vcc
	v_lshl_add_u64 v[4:5], v[4:5], 0, 8
	v_cndmask_b32_e64 v5, v5, v7, s[4:5]
	v_cndmask_b32_e64 v4, v4, v6, s[4:5]
	v_mul_u32_u24_e32 v1, 33, v18
	s_branch .LBB98_19
.LBB98_17:
                                        ; implicit-def: $vgpr4_vgpr5
	v_mul_u32_u24_e32 v1, 33, v18
	s_cbranch_execz .LBB98_19
; %bb.18:
	s_lshl_b64 s[4:5], s[20:21], 6
	v_lshl_add_u64 v[4:5], v[6:7], 0, s[4:5]
	global_load_dwordx2 v[8:9], v[6:7], off
	global_load_dwordx2 v[10:11], v[4:5], off
	v_mov_b32_e32 v3, 0xc0
	v_lshl_add_u64 v[4:5], v[4:5], 0, s[4:5]
	v_mad_u64_u32 v[16:17], s[4:5], s20, v3, v[6:7]
	global_load_dwordx2 v[4:5], v[4:5], off
	v_add_u32_e32 v17, s37, v17
	global_load_dwordx2 v[16:17], v[16:17], off
	v_add_lshl_u32 v3, v1, v0, 3
	s_waitcnt vmcnt(3)
	ds_write_b64 v3, v[8:9]
	s_waitcnt vmcnt(2)
	ds_write_b64 v3, v[10:11] offset:2112
	s_waitcnt vmcnt(1)
	ds_write_b64 v3, v[4:5] offset:4224
	;; [unrolled: 2-line block ×3, first 2 shown]
	v_mov_b64_e32 v[4:5], v[6:7]
.LBB98_19:
	v_lshlrev_b32_e32 v3, 2, v18
	v_mul_u32_u24_e32 v19, 33, v0
	v_cmp_gt_u32_e64 s[6:7], v3, v0
	v_add_lshl_u32 v21, v3, v19, 3
	s_waitcnt lgkmcnt(0)
	s_barrier
	s_and_saveexec_b64 s[4:5], s[6:7]
	s_cbranch_execz .LBB98_21
; %bb.20:
	v_mul_u32_u24_e32 v6, 0x84, v18
	v_add_lshl_u32 v6, v6, v0, 3
	ds_read_b64 v[6:7], v6
	s_waitcnt lgkmcnt(0)
	ds_write_b64 v21, v[6:7]
.LBB98_21:
	s_or_b64 exec, exec, s[4:5]
	v_cmp_ge_u32_e64 s[8:9], v3, v0
	s_and_saveexec_b64 s[4:5], s[8:9]
	s_cbranch_execz .LBB98_23
; %bb.22:
	v_or_b32_e32 v6, 1, v3
	v_mul_u32_u24_e32 v6, 33, v6
	v_add_lshl_u32 v6, v6, v0, 3
	ds_read_b64 v[6:7], v6
	s_waitcnt lgkmcnt(0)
	ds_write_b64 v21, v[6:7] offset:8
.LBB98_23:
	s_or_b64 exec, exec, s[4:5]
	v_or_b32_e32 v6, 2, v3
	v_cmp_gt_u32_e64 s[10:11], v6, v0
	s_and_saveexec_b64 s[4:5], s[10:11]
	s_cbranch_execz .LBB98_25
; %bb.24:
	v_mul_u32_u24_e32 v6, 33, v6
	v_add_lshl_u32 v6, v6, v0, 3
	ds_read_b64 v[6:7], v6
	s_waitcnt lgkmcnt(0)
	ds_write_b64 v21, v[6:7] offset:16
.LBB98_25:
	s_or_b64 exec, exec, s[4:5]
	v_or_b32_e32 v6, 3, v3
	v_cmp_gt_u32_e64 s[12:13], v6, v0
	v_mad_u32_u24 v6, v6, 33, v0
	v_lshlrev_b32_e32 v29, 3, v6
	s_and_saveexec_b64 s[4:5], s[12:13]
	s_cbranch_execz .LBB98_27
; %bb.26:
	ds_read_b64 v[6:7], v29
	s_waitcnt lgkmcnt(0)
	ds_write_b64 v21, v[6:7] offset:24
.LBB98_27:
	s_or_b64 exec, exec, s[4:5]
	v_mul_u32_u24_e32 v6, 0x84, v18
	v_add_lshl_u32 v20, v6, v0, 3
	s_waitcnt lgkmcnt(0)
	s_barrier
	v_lshlrev_b32_e32 v31, 3, v3
	ds_read_b64 v[10:11], v20
	ds_read_b128 v[6:9], v31 offset:9088
	v_add_u32_e32 v30, 0xfffffdf0, v29
	ds_read2_b64 v[32:35], v30 offset1:33
	ds_read_b128 v[36:39], v31 offset:9104
	ds_read_b64 v[16:17], v29
	v_mov_b64_e32 v[26:27], 0
	v_add_lshl_u32 v28, v18, v19, 3
	s_waitcnt lgkmcnt(3)
	v_fma_f64 v[6:7], v[10:11], v[6:7], 0
	s_waitcnt lgkmcnt(2)
	v_fmac_f64_e32 v[6:7], v[32:33], v[8:9]
	s_waitcnt lgkmcnt(1)
	v_fmac_f64_e32 v[6:7], v[34:35], v[36:37]
	s_waitcnt lgkmcnt(0)
	v_fmac_f64_e32 v[6:7], v[16:17], v[38:39]
	v_cmp_gt_u32_e64 s[4:5], 32, v22
	v_lshlrev_b32_e32 v23, 3, v19
	s_barrier
	ds_write_b64 v28, v[6:7]
	s_waitcnt lgkmcnt(0)
	s_barrier
	s_and_saveexec_b64 s[16:17], s[4:5]
	s_cbranch_execz .LBB98_29
; %bb.28:
	ds_read2_b64 v[6:9], v23 offset1:1
	ds_read2_b64 v[32:35], v23 offset0:2 offset1:3
	ds_read2_b64 v[36:39], v23 offset0:4 offset1:5
	s_waitcnt lgkmcnt(2)
	v_add_f64 v[10:11], v[6:7], v[8:9]
	ds_read2_b64 v[6:9], v23 offset0:6 offset1:7
	s_waitcnt lgkmcnt(2)
	v_add_f64 v[10:11], v[10:11], v[32:33]
	v_add_f64 v[10:11], v[10:11], v[34:35]
	s_waitcnt lgkmcnt(1)
	v_add_f64 v[10:11], v[10:11], v[36:37]
	v_add_f64 v[10:11], v[10:11], v[38:39]
	;; [unrolled: 3-line block ×3, first 2 shown]
.LBB98_29:
	s_or_b64 exec, exec, s[16:17]
	s_lshl_b64 s[16:17], s[20:21], 8
	v_lshl_add_u64 v[8:9], v[4:5], 0, s[16:17]
	s_mov_b64 s[16:17], 0x100
	v_lshl_add_u64 v[6:7], v[8:9], 0, s[16:17]
	s_and_b64 vcc, exec, s[22:23]
	s_barrier
	s_cbranch_vccz .LBB98_39
; %bb.30:
	v_sub_co_u32_e32 v4, vcc, v6, v2
	s_ashr_i32 s25, s24, 31
	s_nop 0
	v_subbrev_co_u32_e32 v5, vcc, 0, v7, vcc
	s_movk_i32 s16, 0xfef8
	v_or_b32_e32 v3, 32, v0
	v_lshl_add_u64 v[4:5], s[24:25], 3, v[4:5]
	s_mov_b32 s17, -1
	v_lshl_add_u64 v[4:5], v[4:5], 0, s[16:17]
	v_cmp_gt_i32_e32 vcc, s24, v3
	s_sub_i32 s38, s24, 32
	v_mov_b64_e32 v[10:11], 0
	v_cndmask_b32_e32 v5, v5, v7, vcc
	v_cndmask_b32_e32 v4, v4, v6, vcc
	v_cmp_gt_i32_e64 s[16:17], s38, v18
	v_mov_b64_e32 v[16:17], v[10:11]
	s_and_saveexec_b64 s[30:31], s[16:17]
	s_cbranch_execz .LBB98_32
; %bb.31:
	global_load_dwordx2 v[16:17], v[4:5], off
.LBB98_32:
	s_or_b64 exec, exec, s[30:31]
	v_add_lshl_u32 v3, v1, v0, 3
	s_waitcnt vmcnt(0)
	ds_write_b64 v3, v[16:17]
	v_add_u32_e32 v16, 8, v18
	v_cmp_gt_i32_e64 s[16:17], s38, v16
	s_and_saveexec_b64 s[30:31], s[16:17]
	s_cbranch_execz .LBB98_34
; %bb.33:
	s_lshl_b64 s[16:17], s[20:21], 6
	v_lshl_add_u64 v[10:11], v[4:5], 0, s[16:17]
	global_load_dwordx2 v[10:11], v[10:11], off
.LBB98_34:
	s_or_b64 exec, exec, s[30:31]
	s_waitcnt vmcnt(0)
	ds_write_b64 v3, v[10:11] offset:2112
	v_add_u32_e32 v10, 16, v18
	v_cmp_gt_i32_e64 s[16:17], s38, v10
	v_mov_b64_e32 v[10:11], 0
	v_mov_b64_e32 v[16:17], v[10:11]
	s_and_saveexec_b64 s[30:31], s[16:17]
	s_cbranch_execz .LBB98_36
; %bb.35:
	s_lshl_b64 s[16:17], s[20:21], 7
	v_lshl_add_u64 v[16:17], v[4:5], 0, s[16:17]
	global_load_dwordx2 v[16:17], v[16:17], off
.LBB98_36:
	s_or_b64 exec, exec, s[30:31]
	s_waitcnt vmcnt(0)
	ds_write_b64 v3, v[16:17] offset:4224
	v_add_u32_e32 v16, 24, v18
	v_cmp_gt_i32_e64 s[16:17], s38, v16
	s_and_saveexec_b64 s[30:31], s[16:17]
	s_cbranch_execz .LBB98_38
; %bb.37:
	v_mov_b32_e32 v10, 0xc0
	v_mad_u64_u32 v[10:11], s[16:17], s20, v10, v[4:5]
	v_add_u32_e32 v11, s37, v11
	global_load_dwordx2 v[10:11], v[10:11], off
.LBB98_38:
	s_or_b64 exec, exec, s[30:31]
	s_waitcnt vmcnt(0)
	ds_write_b64 v3, v[10:11] offset:6336
	v_mov_b32_e32 v3, 0
	v_lshl_add_u64 v[4:5], v[4:5], 0, v[2:3]
	s_lshl_b64 s[16:17], s[24:25], 3
	v_mov_b32_e32 v3, s17
	v_subrev_co_u32_e64 v4, s[16:17], s16, v4
	s_nop 1
	v_subb_co_u32_e64 v5, s[16:17], v5, v3, s[16:17]
	s_mov_b64 s[16:17], 0x108
	s_nop 0
	v_lshl_add_u64 v[4:5], v[4:5], 0, s[16:17]
	v_cndmask_b32_e32 v5, v5, v7, vcc
	v_cndmask_b32_e32 v4, v4, v6, vcc
	s_branch .LBB98_41
.LBB98_39:
                                        ; implicit-def: $vgpr4_vgpr5
	s_cbranch_execz .LBB98_41
; %bb.40:
	s_lshl_b64 s[16:17], s[20:21], 6
	v_lshl_add_u64 v[4:5], v[8:9], 0, s[16:17]
	v_mov_b32_e32 v3, 0xc0
	v_lshl_add_u64 v[10:11], v[4:5], 0, s[16:17]
	v_mad_u64_u32 v[16:17], s[16:17], s20, v3, v[8:9]
	v_add_u32_e32 v17, s37, v17
	global_load_dwordx2 v[32:33], v[8:9], off offset:256
	global_load_dwordx2 v[34:35], v[4:5], off offset:256
	;; [unrolled: 1-line block ×4, first 2 shown]
	v_add_lshl_u32 v3, v1, v0, 3
	v_mov_b64_e32 v[4:5], v[6:7]
	s_waitcnt vmcnt(3)
	ds_write_b64 v3, v[32:33]
	s_waitcnt vmcnt(2)
	ds_write_b64 v3, v[34:35] offset:2112
	s_waitcnt vmcnt(1)
	ds_write_b64 v3, v[36:37] offset:4224
	;; [unrolled: 2-line block ×3, first 2 shown]
.LBB98_41:
	s_waitcnt lgkmcnt(0)
	s_barrier
	s_and_saveexec_b64 s[16:17], s[6:7]
	s_cbranch_execnz .LBB98_58
; %bb.42:
	s_or_b64 exec, exec, s[16:17]
	s_and_saveexec_b64 s[6:7], s[8:9]
	s_cbranch_execnz .LBB98_59
.LBB98_43:
	s_or_b64 exec, exec, s[6:7]
	s_and_saveexec_b64 s[6:7], s[10:11]
	s_cbranch_execnz .LBB98_60
.LBB98_44:
	s_or_b64 exec, exec, s[6:7]
	v_add_u32_e32 v31, 0x2380, v31
	s_and_saveexec_b64 s[6:7], s[12:13]
	s_cbranch_execz .LBB98_46
.LBB98_45:
	ds_read_b64 v[6:7], v29
	s_waitcnt lgkmcnt(0)
	ds_write_b64 v21, v[6:7] offset:24
.LBB98_46:
	s_or_b64 exec, exec, s[6:7]
	s_waitcnt lgkmcnt(0)
	s_barrier
	ds_read_b64 v[10:11], v20
	ds_read_b128 v[6:9], v31 offset:256
	ds_read2_b64 v[32:35], v30 offset1:33
	ds_read_b128 v[36:39], v31 offset:272
	ds_read_b64 v[16:17], v29
	v_cmp_eq_u32_e64 s[6:7], 1, v18
	s_waitcnt lgkmcnt(3)
	v_fma_f64 v[6:7], v[10:11], v[6:7], 0
	s_waitcnt lgkmcnt(2)
	v_fmac_f64_e32 v[6:7], v[32:33], v[8:9]
	s_waitcnt lgkmcnt(1)
	v_fmac_f64_e32 v[6:7], v[34:35], v[36:37]
	;; [unrolled: 2-line block ×3, first 2 shown]
	s_barrier
	ds_write_b64 v28, v[6:7]
	s_waitcnt lgkmcnt(0)
	s_barrier
	s_and_saveexec_b64 s[8:9], s[6:7]
	s_cbranch_execz .LBB98_48
; %bb.47:
	ds_read2_b64 v[6:9], v23 offset1:1
	ds_read2_b64 v[32:35], v23 offset0:2 offset1:3
	ds_read2_b64 v[36:39], v23 offset0:4 offset1:5
	s_waitcnt lgkmcnt(2)
	v_add_f64 v[10:11], v[6:7], v[8:9]
	ds_read2_b64 v[6:9], v23 offset0:6 offset1:7
	s_waitcnt lgkmcnt(2)
	v_add_f64 v[10:11], v[10:11], v[32:33]
	v_add_f64 v[10:11], v[10:11], v[34:35]
	s_waitcnt lgkmcnt(1)
	v_add_f64 v[10:11], v[10:11], v[36:37]
	v_add_f64 v[10:11], v[10:11], v[38:39]
	;; [unrolled: 3-line block ×3, first 2 shown]
.LBB98_48:
	s_or_b64 exec, exec, s[8:9]
	s_movk_i32 s8, 0xff00
	s_mov_b32 s9, -1
	v_lshl_add_u64 v[6:7], v[4:5], 0, s[8:9]
	s_and_b64 vcc, exec, s[22:23]
	s_barrier
	s_cbranch_vccz .LBB98_61
; %bb.49:
	v_sub_co_u32_e32 v8, vcc, v4, v2
	s_ashr_i32 s25, s24, 31
	s_nop 0
	v_subbrev_co_u32_e32 v9, vcc, 0, v5, vcc
	s_movk_i32 s8, 0xfef8
	v_lshl_add_u64 v[8:9], s[24:25], 3, v[8:9]
	s_mov_b32 s9, -1
	v_lshl_add_u64 v[8:9], v[8:9], 0, s[8:9]
	v_cmp_gt_i32_e32 vcc, s24, v0
	s_sub_i32 s12, s24, 32
	v_mov_b64_e32 v[10:11], 0
	v_cndmask_b32_e32 v9, v9, v7, vcc
	v_cndmask_b32_e32 v8, v8, v6, vcc
	v_cmp_gt_i32_e64 s[8:9], s12, v18
	v_mov_b64_e32 v[16:17], v[10:11]
	s_and_saveexec_b64 s[10:11], s[8:9]
	s_cbranch_execz .LBB98_51
; %bb.50:
	global_load_dwordx2 v[16:17], v[8:9], off
.LBB98_51:
	s_or_b64 exec, exec, s[10:11]
	v_add_u32_e32 v21, 8, v18
	v_add_lshl_u32 v3, v1, v0, 3
	v_cmp_gt_i32_e64 s[8:9], s12, v21
	s_waitcnt vmcnt(0)
	ds_write_b64 v3, v[16:17]
	s_and_saveexec_b64 s[10:11], s[8:9]
	s_cbranch_execz .LBB98_53
; %bb.52:
	s_lshl_b64 s[8:9], s[20:21], 6
	v_lshl_add_u64 v[10:11], v[8:9], 0, s[8:9]
	global_load_dwordx2 v[10:11], v[10:11], off
.LBB98_53:
	s_or_b64 exec, exec, s[10:11]
	s_waitcnt vmcnt(0)
	ds_write_b64 v3, v[10:11] offset:2112
	v_add_u32_e32 v32, 16, v18
	v_mov_b64_e32 v[10:11], 0
	v_cmp_gt_i32_e64 s[8:9], s12, v32
	v_mov_b64_e32 v[16:17], v[10:11]
	s_and_saveexec_b64 s[10:11], s[8:9]
	s_cbranch_execz .LBB98_55
; %bb.54:
	s_lshl_b64 s[8:9], s[20:21], 7
	v_lshl_add_u64 v[16:17], v[8:9], 0, s[8:9]
	global_load_dwordx2 v[16:17], v[16:17], off
.LBB98_55:
	s_or_b64 exec, exec, s[10:11]
	v_add_u32_e32 v33, 24, v18
	v_cmp_gt_i32_e64 s[8:9], s12, v33
	s_waitcnt vmcnt(0)
	ds_write_b64 v3, v[16:17] offset:4224
	s_and_saveexec_b64 s[10:11], s[8:9]
	s_cbranch_execz .LBB98_57
; %bb.56:
	v_mov_b32_e32 v10, 0xc0
	v_mad_u64_u32 v[10:11], s[8:9], s20, v10, v[8:9]
	v_add_u32_e32 v11, s37, v11
	global_load_dwordx2 v[10:11], v[10:11], off
.LBB98_57:
	s_or_b64 exec, exec, s[10:11]
	s_waitcnt vmcnt(0)
	ds_write_b64 v3, v[10:11] offset:6336
	v_mov_b32_e32 v3, 0
	v_lshl_add_u64 v[2:3], v[8:9], 0, v[2:3]
	s_lshl_b64 s[8:9], s[24:25], 3
	v_mov_b32_e32 v8, s9
	v_subrev_co_u32_e64 v2, s[8:9], s8, v2
	s_nop 1
	v_subb_co_u32_e64 v3, s[8:9], v3, v8, s[8:9]
	v_lshl_add_u64 v[2:3], v[2:3], 0, 8
	v_cndmask_b32_e32 v17, v3, v7, vcc
	v_cndmask_b32_e32 v16, v2, v6, vcc
	s_branch .LBB98_63
.LBB98_58:
	ds_read_b64 v[6:7], v20
	s_waitcnt lgkmcnt(0)
	ds_write_b64 v21, v[6:7]
	s_or_b64 exec, exec, s[16:17]
	s_and_saveexec_b64 s[6:7], s[8:9]
	s_cbranch_execz .LBB98_43
.LBB98_59:
	ds_read_b64 v[6:7], v30
	s_waitcnt lgkmcnt(0)
	ds_write_b64 v21, v[6:7] offset:8
	s_or_b64 exec, exec, s[6:7]
	s_and_saveexec_b64 s[6:7], s[10:11]
	s_cbranch_execz .LBB98_44
.LBB98_60:
	ds_read_b64 v[6:7], v30 offset:264
	s_waitcnt lgkmcnt(0)
	ds_write_b64 v21, v[6:7] offset:16
	s_or_b64 exec, exec, s[6:7]
	v_add_u32_e32 v31, 0x2380, v31
	s_and_saveexec_b64 s[6:7], s[12:13]
	s_cbranch_execnz .LBB98_45
	s_branch .LBB98_46
.LBB98_61:
                                        ; implicit-def: $vgpr16_vgpr17
                                        ; implicit-def: $vgpr21
                                        ; implicit-def: $vgpr32
                                        ; implicit-def: $vgpr33
	s_cbranch_execz .LBB98_63
; %bb.62:
	s_lshl_b64 s[8:9], s[20:21], 6
	v_lshl_add_u64 v[2:3], v[4:5], 0, s[8:9]
	v_lshl_add_u64 v[8:9], v[2:3], 0, s[8:9]
	global_load_dwordx2 v[10:11], v[2:3], off offset:-256
	global_load_dwordx2 v[16:17], v[8:9], off offset:-256
	v_mov_b32_e32 v8, 0xc0
	global_load_dwordx2 v[2:3], v[4:5], off offset:-256
	v_mad_u64_u32 v[4:5], s[8:9], s20, v8, v[4:5]
	v_add_u32_e32 v5, s37, v5
	global_load_dwordx2 v[4:5], v[4:5], off offset:-256
	v_add_lshl_u32 v0, v1, v0, 3
	v_add_u32_e32 v21, 8, v18
	v_add_u32_e32 v32, 16, v18
	;; [unrolled: 1-line block ×3, first 2 shown]
	s_waitcnt vmcnt(1)
	ds_write_b64 v0, v[2:3]
	ds_write_b64 v0, v[10:11] offset:2112
	ds_write_b64 v0, v[16:17] offset:4224
	s_waitcnt vmcnt(0)
	ds_write_b64 v0, v[4:5] offset:6336
	v_mov_b64_e32 v[16:17], v[6:7]
.LBB98_63:
	v_lshlrev_b32_e32 v0, 3, v18
	s_waitcnt lgkmcnt(0)
	s_barrier
	v_add_lshl_u32 v1, v21, v19, 3
	v_lshlrev_b32_e32 v2, 3, v21
	v_add_lshl_u32 v3, v32, v19, 3
	ds_read_b64 v[34:35], v0 offset:9088
	ds_read_b64 v[36:37], v1
	ds_read_b64 v[38:39], v2 offset:9088
	ds_read_b64 v[40:41], v3
	v_lshlrev_b32_e32 v18, 3, v32
	v_add_lshl_u32 v19, v33, v19, 3
	v_lshlrev_b32_e32 v44, 3, v33
	ds_read_b64 v[20:21], v20
	ds_read_b128 v[8:11], v31 offset:256
	ds_read_b64 v[32:33], v28
	ds_read_b128 v[0:3], v31 offset:272
	ds_read2_b64 v[4:7], v30 offset1:33
	ds_read_b64 v[30:31], v18 offset:9088
	ds_read_b64 v[42:43], v19
	ds_read_b64 v[44:45], v44 offset:9088
	ds_read_b64 v[18:19], v29
	s_waitcnt lgkmcnt(6)
	v_fma_f64 v[32:33], v[32:33], v[34:35], 0
	v_fmac_f64_e32 v[32:33], v[36:37], v[38:39]
	s_waitcnt lgkmcnt(3)
	v_fmac_f64_e32 v[32:33], v[40:41], v[30:31]
	s_waitcnt lgkmcnt(1)
	;; [unrolled: 2-line block ×3, first 2 shown]
	s_barrier
	ds_write_b64 v28, v[32:33]
	s_waitcnt lgkmcnt(0)
	s_barrier
	s_and_saveexec_b64 s[8:9], s[6:7]
	s_cbranch_execz .LBB98_65
; %bb.64:
	ds_read2_b64 v[30:33], v23 offset1:1
	ds_read2_b64 v[34:37], v23 offset0:2 offset1:3
	ds_read2_b64 v[38:41], v23 offset0:4 offset1:5
	s_waitcnt lgkmcnt(2)
	v_add_f64 v[26:27], v[26:27], v[30:31]
	v_add_f64 v[26:27], v[26:27], v[32:33]
	ds_read2_b64 v[30:33], v23 offset0:6 offset1:7
	s_waitcnt lgkmcnt(2)
	v_add_f64 v[26:27], v[26:27], v[34:35]
	v_add_f64 v[26:27], v[26:27], v[36:37]
	s_waitcnt lgkmcnt(1)
	v_add_f64 v[26:27], v[26:27], v[38:39]
	v_add_f64 v[26:27], v[26:27], v[40:41]
	;; [unrolled: 3-line block ×3, first 2 shown]
.LBB98_65:
	s_or_b64 exec, exec, s[8:9]
	v_fma_f64 v[8:9], v[20:21], v[8:9], 0
	v_fmac_f64_e32 v[8:9], v[4:5], v[10:11]
	v_fmac_f64_e32 v[8:9], v[6:7], v[0:1]
	;; [unrolled: 1-line block ×3, first 2 shown]
	s_barrier
	ds_write_b64 v28, v[8:9]
	s_waitcnt lgkmcnt(0)
	s_barrier
	s_and_saveexec_b64 s[6:7], s[4:5]
	s_cbranch_execz .LBB98_67
; %bb.66:
	ds_read2_b64 v[0:3], v23 offset1:1
	ds_read2_b64 v[4:7], v23 offset0:2 offset1:3
	ds_read2_b64 v[8:11], v23 offset0:4 offset1:5
	s_waitcnt lgkmcnt(2)
	v_add_f64 v[0:1], v[26:27], v[0:1]
	v_add_f64 v[18:19], v[0:1], v[2:3]
	ds_read2_b64 v[0:3], v23 offset0:6 offset1:7
	s_waitcnt lgkmcnt(2)
	v_add_f64 v[4:5], v[18:19], v[4:5]
	v_add_f64 v[4:5], v[4:5], v[6:7]
	s_waitcnt lgkmcnt(1)
	v_add_f64 v[4:5], v[4:5], v[8:9]
	v_add_f64 v[4:5], v[4:5], v[10:11]
	s_waitcnt lgkmcnt(0)
	v_add_f64 v[0:1], v[4:5], v[0:1]
	v_add_f64 v[26:27], v[0:1], v[2:3]
.LBB98_67:
	s_or_b64 exec, exec, s[6:7]
	s_load_dwordx2 s[0:1], s[0:1], 0x68
	s_mul_hi_u32 s4, s35, s3
	s_mul_i32 s36, s36, s3
	s_add_i32 s4, s4, s36
	s_mul_i32 s3, s35, s3
	s_mul_i32 s4, s4, s33
	s_mul_hi_u32 s5, s3, s33
	s_add_i32 s5, s5, s4
	s_mul_i32 s4, s3, s33
	s_lshl_b64 s[4:5], s[4:5], 3
	s_waitcnt lgkmcnt(0)
	s_add_u32 s3, s0, s4
	s_addc_u32 s4, s1, s5
	s_mul_hi_i32 s1, s35, s2
	s_mul_i32 s0, s35, s2
	s_lshl_b64 s[0:1], s[0:1], 3
	s_add_u32 s6, s3, s0
	s_addc_u32 s7, s4, s1
	s_add_i32 s0, s2, 1
	s_cmp_ge_u32 s0, s33
	v_lshlrev_b32_e32 v28, 3, v122
	s_barrier
	s_cbranch_scc1 .LBB98_124
; %bb.68:
	s_mul_i32 s0, s26, s29
	s_mul_hi_u32 s1, s26, s28
	s_add_i32 s0, s1, s0
	s_mul_i32 s1, s27, s28
	s_add_i32 s1, s0, s1
	s_mul_i32 s0, s26, s28
	s_lshl_b64 s[0:1], s[0:1], 3
	v_mov_b32_e32 v0, s1
	v_subrev_co_u32_e32 v30, vcc, s0, v12
	v_and_b32_e32 v2, 48, v122
	s_nop 0
	v_subb_co_u32_e32 v31, vcc, v13, v0, vcc
	v_and_b32_e32 v0, 15, v122
	v_lshlrev_b32_e32 v3, 3, v2
	s_movk_i32 s4, 0x218
	v_lshrrev_b32_e32 v1, 4, v22
	v_mad_u32_u24 v127, v0, s4, v3
	v_or_b32_e32 v3, 0x78, v28
	v_mad_u32_u24 v128, v0, s4, v3
	v_lshlrev_b32_e32 v3, 5, v1
	v_lshlrev_b32_e32 v6, 5, v123
	v_mad_u32_u24 v129, v0, s4, v3
	s_movk_i32 s4, 0x860
	v_add_u32_e32 v3, 0x100, v6
	v_mad_u32_u24 v134, v123, s4, v28
	v_mul_i32_i24_e32 v7, 0xffffffe8, v1
	v_or_b32_e32 v147, v2, v0
	v_mad_u64_u32 v[0:1], s[4:5], s20, v3, 0
	v_mov_b32_e32 v2, v1
	v_mad_u64_u32 v[2:3], s[4:5], s21, v3, v[2:3]
	v_mov_b32_e32 v1, v2
	v_lshlrev_b64 v[2:3], 3, v[14:15]
	v_sub_co_u32_e32 v0, vcc, v0, v2
	v_add_u32_e32 v5, 0x110, v6
	s_nop 0
	v_subb_co_u32_e32 v1, vcc, v1, v3, vcc
	v_lshl_add_u64 v[32:33], v[16:17], 0, v[0:1]
	v_mad_u64_u32 v[0:1], s[4:5], s20, v5, 0
	v_mov_b32_e32 v4, v1
	v_mad_u64_u32 v[4:5], s[4:5], s21, v5, v[4:5]
	v_mov_b32_e32 v1, v4
	v_sub_co_u32_e32 v0, vcc, v0, v2
	v_add_u32_e32 v5, 0x108, v6
	s_nop 0
	v_subb_co_u32_e32 v1, vcc, v1, v3, vcc
	v_lshl_add_u64 v[34:35], v[16:17], 0, v[0:1]
	v_mad_u64_u32 v[0:1], s[4:5], s20, v5, 0
	v_mov_b32_e32 v4, v1
	v_mad_u64_u32 v[4:5], s[4:5], s21, v5, v[4:5]
	v_mov_b32_e32 v1, v4
	;; [unrolled: 9-line block ×15, first 2 shown]
	v_sub_co_u32_e32 v0, vcc, v0, v2
	v_lshlrev_b32_e32 v124, 2, v123
	s_nop 0
	v_subb_co_u32_e32 v1, vcc, v1, v3, vcc
	s_add_i32 s3, s33, -2
	v_add_u32_e32 v125, 0x2180, v28
	v_add_u32_e32 v126, 0x2380, v28
	v_cmp_gt_u32_e64 s[0:1], 64, v22
	v_or_b32_e32 v130, 1, v124
	v_or_b32_e32 v131, 2, v124
	;; [unrolled: 1-line block ×3, first 2 shown]
	v_add_u32_e32 v133, 0x2180, v6
	v_add_u32_e32 v135, 16, v124
	;; [unrolled: 1-line block ×13, first 2 shown]
	s_add_i32 s16, s26, 64
	v_mov_b32_e32 v29, 0
	s_lshl_b64 s[8:9], s[20:21], 9
	v_lshl_add_u64 v[62:63], v[16:17], 0, v[0:1]
	v_add_u32_e32 v148, v129, v7
	s_cmp_eq_u32 s3, s2
	s_cselect_b32 s17, s34, 0
	s_and_saveexec_b64 s[4:5], s[14:15]
	s_cbranch_execz .LBB98_72
.LBB98_69:
	s_cmp_eq_u32 s17, 0
	s_cselect_b64 s[10:11], -1, 0
	v_cmp_gt_i32_e32 vcc, s17, v122
	s_or_b64 s[12:13], s[10:11], vcc
	v_mov_b64_e32 v[0:1], 0
	s_and_saveexec_b64 s[10:11], s[12:13]
	s_cbranch_execz .LBB98_71
; %bb.70:
	s_ashr_i32 s12, s16, 31
	s_mul_i32 s13, s16, s29
	s_mul_hi_u32 s20, s16, s28
	s_add_i32 s13, s20, s13
	s_mul_i32 s12, s12, s28
	s_add_i32 s13, s13, s12
	s_mul_i32 s12, s16, s28
	v_lshl_add_u64 v[0:1], s[12:13], 3, v[30:31]
	global_load_dwordx2 v[0:1], v[0:1], off
.LBB98_71:
	s_or_b64 exec, exec, s[10:11]
	s_waitcnt vmcnt(0)
	ds_write_b64 v125, v[0:1]
.LBB98_72:                              ; =>This Inner Loop Header: Depth=1
	s_or_b64 exec, exec, s[4:5]
	s_cmp_eq_u32 s17, 0
	s_cselect_b64 s[10:11], -1, 0
	s_cmp_lg_u32 s17, 0
	s_cselect_b64 s[12:13], -1, 0
	v_lshl_add_u64 v[0:1], v[32:33], 0, v[28:29]
	s_and_b64 vcc, exec, s[12:13]
	s_waitcnt lgkmcnt(0)
	s_barrier
	s_cbranch_vccz .LBB98_120
; %bb.73:                               ;   in Loop: Header=BB98_72 Depth=1
	v_mov_b64_e32 v[64:65], 0
	v_cmp_gt_i32_e32 vcc, s17, v124
	v_mov_b64_e32 v[66:67], v[64:65]
	s_and_saveexec_b64 s[4:5], vcc
	s_cbranch_execz .LBB98_75
; %bb.74:                               ;   in Loop: Header=BB98_72 Depth=1
	global_load_dwordx2 v[66:67], v[0:1], off
.LBB98_75:                              ;   in Loop: Header=BB98_72 Depth=1
	s_or_b64 exec, exec, s[4:5]
	v_cmp_gt_i32_e32 vcc, s17, v130
	s_and_saveexec_b64 s[4:5], vcc
	s_cbranch_execz .LBB98_77
; %bb.76:                               ;   in Loop: Header=BB98_72 Depth=1
	v_lshl_add_u64 v[2:3], v[36:37], 0, v[28:29]
	global_load_dwordx2 v[64:65], v[2:3], off
.LBB98_77:                              ;   in Loop: Header=BB98_72 Depth=1
	s_or_b64 exec, exec, s[4:5]
	v_mov_b64_e32 v[68:69], 0
	v_cmp_gt_i32_e32 vcc, s17, v131
	v_mov_b64_e32 v[70:71], v[68:69]
	s_and_saveexec_b64 s[4:5], vcc
	s_cbranch_execz .LBB98_79
; %bb.78:                               ;   in Loop: Header=BB98_72 Depth=1
	v_lshl_add_u64 v[2:3], v[34:35], 0, v[28:29]
	global_load_dwordx2 v[70:71], v[2:3], off
.LBB98_79:                              ;   in Loop: Header=BB98_72 Depth=1
	s_or_b64 exec, exec, s[4:5]
	v_cmp_gt_i32_e32 vcc, s17, v132
	s_and_saveexec_b64 s[4:5], vcc
	s_cbranch_execz .LBB98_81
; %bb.80:                               ;   in Loop: Header=BB98_72 Depth=1
	v_lshl_add_u64 v[2:3], v[38:39], 0, v[28:29]
	global_load_dwordx2 v[68:69], v[2:3], off
.LBB98_81:                              ;   in Loop: Header=BB98_72 Depth=1
	s_or_b64 exec, exec, s[4:5]
	s_branch .LBB98_83
.LBB98_82:                              ;   in Loop: Header=BB98_72 Depth=1
	global_load_dwordx2 v[66:67], v[0:1], off
	v_lshl_add_u64 v[0:1], v[36:37], 0, v[28:29]
	global_load_dwordx2 v[64:65], v[0:1], off
	v_lshl_add_u64 v[0:1], v[34:35], 0, v[28:29]
	;; [unrolled: 2-line block ×3, first 2 shown]
	global_load_dwordx2 v[68:69], v[0:1], off
.LBB98_83:                              ;   in Loop: Header=BB98_72 Depth=1
	ds_read_b64 v[0:1], v126
	ds_read_b64 v[72:73], v133
	v_cndmask_b32_e64 v8, 0, 1, s[12:13]
	v_cmp_ne_u32_e64 s[4:5], 1, v8
	s_andn2_b64 vcc, exec, s[12:13]
	s_waitcnt vmcnt(0) lgkmcnt(1)
	v_mul_f64 v[2:3], v[66:67], v[0:1]
	v_mul_f64 v[4:5], v[64:65], v[0:1]
	ds_write_b64 v134, v[2:3]
	v_mul_f64 v[6:7], v[70:71], v[0:1]
	ds_read_b64 v[74:75], v133 offset:8
	ds_write_b64 v134, v[4:5] offset:536
	ds_read_b64 v[76:77], v133 offset:16
	ds_write_b64 v134, v[6:7] offset:1072
	v_mul_f64 v[0:1], v[68:69], v[0:1]
	ds_read_b64 v[78:79], v133 offset:24
	ds_write_b64 v134, v[0:1] offset:1608
	s_waitcnt lgkmcnt(0)
	s_barrier
	ds_read2_b64 v[4:7], v129 offset1:1
	ds_read2_b64 v[0:3], v129 offset0:2 offset1:3
	v_lshl_add_u64 v[8:9], v[40:41], 0, v[28:29]
	s_waitcnt lgkmcnt(0)
	s_barrier
	s_cbranch_vccnz .LBB98_121
; %bb.84:                               ;   in Loop: Header=BB98_72 Depth=1
	v_mov_b64_e32 v[80:81], 0
	v_cmp_gt_i32_e32 vcc, s17, v135
	v_mov_b64_e32 v[82:83], v[80:81]
	s_and_saveexec_b64 s[12:13], vcc
	s_cbranch_execz .LBB98_86
; %bb.85:                               ;   in Loop: Header=BB98_72 Depth=1
	global_load_dwordx2 v[82:83], v[8:9], off
.LBB98_86:                              ;   in Loop: Header=BB98_72 Depth=1
	s_or_b64 exec, exec, s[12:13]
	v_cmp_gt_i32_e32 vcc, s17, v136
	s_and_saveexec_b64 s[12:13], vcc
	s_cbranch_execz .LBB98_88
; %bb.87:                               ;   in Loop: Header=BB98_72 Depth=1
	v_lshl_add_u64 v[10:11], v[42:43], 0, v[28:29]
	global_load_dwordx2 v[80:81], v[10:11], off
.LBB98_88:                              ;   in Loop: Header=BB98_72 Depth=1
	s_or_b64 exec, exec, s[12:13]
	v_mov_b64_e32 v[84:85], 0
	v_cmp_gt_i32_e32 vcc, s17, v137
	v_mov_b64_e32 v[86:87], v[84:85]
	s_and_saveexec_b64 s[12:13], vcc
	s_cbranch_execz .LBB98_90
; %bb.89:                               ;   in Loop: Header=BB98_72 Depth=1
	v_lshl_add_u64 v[10:11], v[44:45], 0, v[28:29]
	global_load_dwordx2 v[86:87], v[10:11], off
.LBB98_90:                              ;   in Loop: Header=BB98_72 Depth=1
	s_or_b64 exec, exec, s[12:13]
	v_cmp_gt_i32_e32 vcc, s17, v138
	s_and_saveexec_b64 s[12:13], vcc
	s_cbranch_execz .LBB98_92
; %bb.91:                               ;   in Loop: Header=BB98_72 Depth=1
	v_lshl_add_u64 v[10:11], v[46:47], 0, v[28:29]
	global_load_dwordx2 v[84:85], v[10:11], off
.LBB98_92:                              ;   in Loop: Header=BB98_72 Depth=1
	s_or_b64 exec, exec, s[12:13]
	s_branch .LBB98_94
.LBB98_93:                              ;   in Loop: Header=BB98_72 Depth=1
	global_load_dwordx2 v[82:83], v[8:9], off
	v_lshl_add_u64 v[8:9], v[42:43], 0, v[28:29]
	global_load_dwordx2 v[80:81], v[8:9], off
	v_lshl_add_u64 v[8:9], v[44:45], 0, v[28:29]
	;; [unrolled: 2-line block ×3, first 2 shown]
	global_load_dwordx2 v[84:85], v[8:9], off
.LBB98_94:                              ;   in Loop: Header=BB98_72 Depth=1
	ds_read_b64 v[8:9], v126
	ds_read_b64 v[88:89], v133 offset:128
	s_and_b64 vcc, exec, s[4:5]
	v_lshl_add_u64 v[16:17], v[48:49], 0, v[28:29]
	s_waitcnt vmcnt(0) lgkmcnt(1)
	v_mul_f64 v[10:11], v[82:83], v[8:9]
	v_mul_f64 v[12:13], v[80:81], v[8:9]
	ds_write_b64 v134, v[10:11]
	v_mul_f64 v[14:15], v[86:87], v[8:9]
	ds_read_b64 v[90:91], v133 offset:136
	ds_write_b64 v134, v[12:13] offset:536
	ds_read_b64 v[92:93], v133 offset:144
	ds_write_b64 v134, v[14:15] offset:1072
	v_mul_f64 v[8:9], v[84:85], v[8:9]
	ds_read_b64 v[94:95], v133 offset:152
	ds_write_b64 v134, v[8:9] offset:1608
	s_waitcnt lgkmcnt(0)
	s_barrier
	ds_read2_b64 v[12:15], v129 offset1:1
	ds_read2_b64 v[8:11], v129 offset0:2 offset1:3
	s_waitcnt lgkmcnt(0)
	s_barrier
	s_cbranch_vccnz .LBB98_122
; %bb.95:                               ;   in Loop: Header=BB98_72 Depth=1
	v_mov_b64_e32 v[96:97], 0
	v_cmp_gt_i32_e32 vcc, s17, v139
	v_mov_b64_e32 v[98:99], v[96:97]
	s_and_saveexec_b64 s[12:13], vcc
	s_cbranch_execz .LBB98_97
; %bb.96:                               ;   in Loop: Header=BB98_72 Depth=1
	global_load_dwordx2 v[98:99], v[16:17], off
.LBB98_97:                              ;   in Loop: Header=BB98_72 Depth=1
	s_or_b64 exec, exec, s[12:13]
	v_cmp_gt_i32_e32 vcc, s17, v140
	s_and_saveexec_b64 s[12:13], vcc
	s_cbranch_execz .LBB98_99
; %bb.98:                               ;   in Loop: Header=BB98_72 Depth=1
	v_lshl_add_u64 v[18:19], v[50:51], 0, v[28:29]
	global_load_dwordx2 v[96:97], v[18:19], off
.LBB98_99:                              ;   in Loop: Header=BB98_72 Depth=1
	s_or_b64 exec, exec, s[12:13]
	v_mov_b64_e32 v[100:101], 0
	v_cmp_gt_i32_e32 vcc, s17, v141
	v_mov_b64_e32 v[102:103], v[100:101]
	s_and_saveexec_b64 s[12:13], vcc
	s_cbranch_execz .LBB98_101
; %bb.100:                              ;   in Loop: Header=BB98_72 Depth=1
	v_lshl_add_u64 v[18:19], v[52:53], 0, v[28:29]
	global_load_dwordx2 v[102:103], v[18:19], off
.LBB98_101:                             ;   in Loop: Header=BB98_72 Depth=1
	s_or_b64 exec, exec, s[12:13]
	v_cmp_gt_i32_e32 vcc, s17, v142
	s_and_saveexec_b64 s[12:13], vcc
	s_cbranch_execz .LBB98_103
; %bb.102:                              ;   in Loop: Header=BB98_72 Depth=1
	v_lshl_add_u64 v[18:19], v[54:55], 0, v[28:29]
	global_load_dwordx2 v[100:101], v[18:19], off
.LBB98_103:                             ;   in Loop: Header=BB98_72 Depth=1
	s_or_b64 exec, exec, s[12:13]
	s_branch .LBB98_105
.LBB98_104:                             ;   in Loop: Header=BB98_72 Depth=1
	global_load_dwordx2 v[98:99], v[16:17], off
	v_lshl_add_u64 v[16:17], v[50:51], 0, v[28:29]
	global_load_dwordx2 v[96:97], v[16:17], off
	v_lshl_add_u64 v[16:17], v[52:53], 0, v[28:29]
	;; [unrolled: 2-line block ×3, first 2 shown]
	global_load_dwordx2 v[100:101], v[16:17], off
.LBB98_105:                             ;   in Loop: Header=BB98_72 Depth=1
	ds_read_b64 v[16:17], v126
	ds_read_b64 v[104:105], v133 offset:256
	s_and_b64 vcc, exec, s[4:5]
	v_lshl_add_u64 v[120:121], v[56:57], 0, v[28:29]
	s_waitcnt vmcnt(0) lgkmcnt(1)
	v_mul_f64 v[18:19], v[98:99], v[16:17]
	v_mul_f64 v[20:21], v[96:97], v[16:17]
	ds_write_b64 v134, v[18:19]
	v_mul_f64 v[22:23], v[102:103], v[16:17]
	ds_read_b64 v[106:107], v133 offset:264
	ds_write_b64 v134, v[20:21] offset:536
	ds_read_b64 v[108:109], v133 offset:272
	ds_write_b64 v134, v[22:23] offset:1072
	v_mul_f64 v[16:17], v[100:101], v[16:17]
	ds_read_b64 v[110:111], v133 offset:280
	ds_write_b64 v134, v[16:17] offset:1608
	s_waitcnt lgkmcnt(0)
	s_barrier
	ds_read2_b64 v[20:23], v129 offset1:1
	ds_read2_b64 v[16:19], v129 offset0:2 offset1:3
	s_waitcnt lgkmcnt(0)
	s_barrier
	s_cbranch_vccnz .LBB98_123
; %bb.106:                              ;   in Loop: Header=BB98_72 Depth=1
	v_mov_b64_e32 v[112:113], 0
	v_cmp_gt_i32_e32 vcc, s17, v143
	v_mov_b64_e32 v[114:115], v[112:113]
	s_and_saveexec_b64 s[4:5], vcc
	s_cbranch_execz .LBB98_108
; %bb.107:                              ;   in Loop: Header=BB98_72 Depth=1
	global_load_dwordx2 v[114:115], v[120:121], off
.LBB98_108:                             ;   in Loop: Header=BB98_72 Depth=1
	s_or_b64 exec, exec, s[4:5]
	v_cmp_gt_i32_e32 vcc, s17, v144
	s_and_saveexec_b64 s[4:5], vcc
	s_cbranch_execz .LBB98_110
; %bb.109:                              ;   in Loop: Header=BB98_72 Depth=1
	v_lshl_add_u64 v[112:113], v[58:59], 0, v[28:29]
	global_load_dwordx2 v[112:113], v[112:113], off
.LBB98_110:                             ;   in Loop: Header=BB98_72 Depth=1
	s_or_b64 exec, exec, s[4:5]
	v_mov_b64_e32 v[116:117], 0
	v_cmp_gt_i32_e32 vcc, s17, v145
	v_mov_b64_e32 v[118:119], v[116:117]
	s_and_saveexec_b64 s[4:5], vcc
	s_cbranch_execz .LBB98_112
; %bb.111:                              ;   in Loop: Header=BB98_72 Depth=1
	v_lshl_add_u64 v[118:119], v[60:61], 0, v[28:29]
	global_load_dwordx2 v[118:119], v[118:119], off
.LBB98_112:                             ;   in Loop: Header=BB98_72 Depth=1
	s_or_b64 exec, exec, s[4:5]
	v_cmp_gt_i32_e32 vcc, s17, v146
	s_and_saveexec_b64 s[4:5], vcc
	s_cbranch_execz .LBB98_114
; %bb.113:                              ;   in Loop: Header=BB98_72 Depth=1
	v_lshl_add_u64 v[116:117], v[62:63], 0, v[28:29]
	global_load_dwordx2 v[116:117], v[116:117], off
.LBB98_114:                             ;   in Loop: Header=BB98_72 Depth=1
	s_or_b64 exec, exec, s[4:5]
	s_branch .LBB98_116
.LBB98_115:                             ;   in Loop: Header=BB98_72 Depth=1
	s_waitcnt vmcnt(0)
	v_lshl_add_u64 v[116:117], v[60:61], 0, v[28:29]
	v_lshl_add_u64 v[112:113], v[58:59], 0, v[28:29]
	global_load_dwordx2 v[118:119], v[116:117], off
	v_lshl_add_u64 v[116:117], v[62:63], 0, v[28:29]
	global_load_dwordx2 v[114:115], v[120:121], off
	s_nop 0
	global_load_dwordx2 v[112:113], v[112:113], off
	s_nop 0
	global_load_dwordx2 v[116:117], v[116:117], off
.LBB98_116:                             ;   in Loop: Header=BB98_72 Depth=1
	v_add_f64 v[12:13], v[12:13], 0
	v_add_f64 v[12:13], v[12:13], v[14:15]
	ds_read_b64 v[14:15], v126
	v_add_f64 v[20:21], v[20:21], 0
	v_add_f64 v[20:21], v[20:21], v[22:23]
	;; [unrolled: 1-line block ×7, first 2 shown]
	ds_read_b64 v[4:5], v133 offset:384
	s_waitcnt vmcnt(0) lgkmcnt(1)
	v_mul_f64 v[8:9], v[114:115], v[14:15]
	ds_write_b64 v134, v[8:9]
	v_mul_f64 v[10:11], v[112:113], v[14:15]
	ds_read_b64 v[8:9], v133 offset:392
	ds_write_b64 v134, v[10:11] offset:536
	v_mul_f64 v[12:13], v[118:119], v[14:15]
	ds_read_b64 v[10:11], v133 offset:400
	ds_write_b64 v134, v[12:13] offset:1072
	;; [unrolled: 3-line block ×3, first 2 shown]
	s_waitcnt lgkmcnt(0)
	s_barrier
	ds_read2_b64 v[14:17], v129 offset1:1
	v_add_f64 v[6:7], v[18:19], v[6:7]
	ds_read2_b64 v[18:21], v129 offset0:2 offset1:3
	v_add_f64 v[0:1], v[6:7], v[0:1]
	v_add_f64 v[0:1], v[0:1], v[2:3]
	s_waitcnt lgkmcnt(1)
	v_add_f64 v[2:3], v[14:15], 0
	v_cmp_gt_i32_e32 vcc, s17, v122
	v_add_f64 v[2:3], v[2:3], v[16:17]
	s_or_b64 s[4:5], s[10:11], vcc
	s_waitcnt lgkmcnt(0)
	v_add_f64 v[2:3], v[2:3], v[18:19]
	s_and_b64 s[10:11], s[0:1], s[4:5]
	v_add_f64 v[2:3], v[2:3], v[20:21]
	s_barrier
	ds_write2_b64 v148, v[0:1], v[120:121] offset1:16
	ds_write2_b64 v148, v[22:23], v[2:3] offset0:32 offset1:48
	s_waitcnt lgkmcnt(0)
	s_barrier
	s_and_saveexec_b64 s[4:5], s[10:11]
	s_cbranch_execz .LBB98_118
; %bb.117:                              ;   in Loop: Header=BB98_72 Depth=1
	ds_read2_b64 v[0:3], v127 offset1:1
	ds_read2_b64 v[14:17], v127 offset0:2 offset1:3
	ds_read2_b64 v[18:21], v127 offset0:4 offset1:5
	ds_read2_b64 v[150:153], v127 offset0:6 offset1:7
	s_waitcnt lgkmcnt(3)
	v_add_f64 v[0:1], v[0:1], v[2:3]
	s_waitcnt lgkmcnt(2)
	v_add_f64 v[0:1], v[0:1], v[14:15]
	v_add_f64 v[0:1], v[0:1], v[16:17]
	s_waitcnt lgkmcnt(1)
	v_add_f64 v[6:7], v[0:1], v[18:19]
	ds_read2_b64 v[0:3], v127 offset0:8 offset1:9
	ds_read2_b64 v[14:17], v127 offset0:10 offset1:11
	v_add_f64 v[6:7], v[6:7], v[20:21]
	s_waitcnt lgkmcnt(2)
	v_add_f64 v[6:7], v[6:7], v[150:151]
	v_add_f64 v[6:7], v[6:7], v[152:153]
	s_waitcnt lgkmcnt(1)
	v_add_f64 v[0:1], v[6:7], v[0:1]
	v_add_f64 v[6:7], v[0:1], v[2:3]
	ds_read2_b64 v[0:3], v127 offset0:12 offset1:13
	s_waitcnt lgkmcnt(1)
	v_add_f64 v[6:7], v[6:7], v[14:15]
	ds_read_b64 v[14:15], v127 offset:112
	ds_read_b64 v[18:19], v128
	v_add_f64 v[6:7], v[6:7], v[16:17]
	s_waitcnt lgkmcnt(2)
	v_add_f64 v[0:1], v[6:7], v[0:1]
	v_add_f64 v[0:1], v[0:1], v[2:3]
	v_add_u32_e32 v2, s16, v147
	s_waitcnt lgkmcnt(1)
	v_add_f64 v[0:1], v[0:1], v[14:15]
	v_ashrrev_i32_e32 v3, 31, v2
	s_waitcnt lgkmcnt(0)
	v_add_f64 v[0:1], v[0:1], v[18:19]
	v_lshl_add_u64 v[2:3], v[2:3], 3, s[6:7]
	global_store_dwordx2 v[2:3], v[0:1], off
.LBB98_118:                             ;   in Loop: Header=BB98_72 Depth=1
	s_or_b64 exec, exec, s[4:5]
	v_fmac_f64_e32 v[26:27], v[66:67], v[72:73]
	v_fmac_f64_e32 v[26:27], v[64:65], v[74:75]
	;; [unrolled: 1-line block ×15, first 2 shown]
	s_add_i32 s4, s2, 1
	s_add_i32 s16, s16, 64
	s_add_i32 s2, s2, 2
	v_fmac_f64_e32 v[26:27], v[116:117], v[12:13]
	v_lshl_add_u64 v[32:33], v[32:33], 0, s[8:9]
	v_lshl_add_u64 v[34:35], v[34:35], 0, s[8:9]
	;; [unrolled: 1-line block ×15, first 2 shown]
	s_cmp_ge_u32 s2, s33
	v_lshl_add_u64 v[62:63], v[62:63], 0, s[8:9]
	s_barrier
	s_cbranch_scc1 .LBB98_124
; %bb.119:                              ;   in Loop: Header=BB98_72 Depth=1
	s_mov_b32 s2, s4
	s_cmp_eq_u32 s3, s2
	s_cselect_b32 s17, s34, 0
	s_and_saveexec_b64 s[4:5], s[14:15]
	s_cbranch_execnz .LBB98_69
	s_branch .LBB98_72
.LBB98_120:                             ;   in Loop: Header=BB98_72 Depth=1
                                        ; implicit-def: $vgpr68_vgpr69
                                        ; implicit-def: $vgpr70_vgpr71
                                        ; implicit-def: $vgpr64_vgpr65
                                        ; implicit-def: $vgpr66_vgpr67
	s_cbranch_execnz .LBB98_82
	s_branch .LBB98_83
.LBB98_121:                             ;   in Loop: Header=BB98_72 Depth=1
                                        ; implicit-def: $vgpr84_vgpr85
                                        ; implicit-def: $vgpr86_vgpr87
                                        ; implicit-def: $vgpr80_vgpr81
                                        ; implicit-def: $vgpr82_vgpr83
	s_cbranch_execnz .LBB98_93
	s_branch .LBB98_94
.LBB98_122:                             ;   in Loop: Header=BB98_72 Depth=1
                                        ; implicit-def: $vgpr100_vgpr101
                                        ; implicit-def: $vgpr102_vgpr103
                                        ; implicit-def: $vgpr96_vgpr97
                                        ; implicit-def: $vgpr98_vgpr99
	s_cbranch_execnz .LBB98_104
	s_branch .LBB98_105
.LBB98_123:                             ;   in Loop: Header=BB98_72 Depth=1
                                        ; implicit-def: $vgpr116_vgpr117
                                        ; implicit-def: $vgpr118_vgpr119
                                        ; implicit-def: $vgpr112_vgpr113
                                        ; implicit-def: $vgpr114_vgpr115
	s_cbranch_execnz .LBB98_115
	s_branch .LBB98_116
.LBB98_124:
	s_movk_i32 s0, 0x218
	v_cmp_gt_i32_e32 vcc, s24, v122
	v_mad_u32_u24 v0, v123, s0, v28
	s_or_b64 s[0:1], s[18:19], vcc
	s_and_b64 s[0:1], s[14:15], s[0:1]
	ds_write_b64 v0, v[26:27]
	s_waitcnt lgkmcnt(0)
	s_barrier
	s_and_saveexec_b64 s[2:3], s[0:1]
	s_cbranch_execz .LBB98_126
; %bb.125:
	ds_read2_b64 v[0:3], v28 offset1:67
	ds_read2_b64 v[4:7], v28 offset0:134 offset1:201
	s_waitcnt lgkmcnt(1)
	v_add_f64 v[0:1], v[0:1], v[2:3]
	s_waitcnt lgkmcnt(0)
	v_add_f64 v[0:1], v[0:1], v[4:5]
	v_add_f64 v[0:1], v[0:1], v[6:7]
	v_lshl_add_u64 v[2:3], v[24:25], 3, s[6:7]
	global_store_dwordx2 v[2:3], v[0:1], off
.LBB98_126:
	s_endpgm
	.section	.rodata,"a",@progbits
	.p2align	6, 0x0
	.amdhsa_kernel _ZL26rocblas_hemvn_kernel_upperILb0ELi64ELi4ELi33ELi32ELi16EldPKdPdEviT6_lT7_lT5_lS4_lS5_lS3_lT8_i
		.amdhsa_group_segment_fixed_size 9600
		.amdhsa_private_segment_fixed_size 0
		.amdhsa_kernarg_size 376
		.amdhsa_user_sgpr_count 2
		.amdhsa_user_sgpr_dispatch_ptr 0
		.amdhsa_user_sgpr_queue_ptr 0
		.amdhsa_user_sgpr_kernarg_segment_ptr 1
		.amdhsa_user_sgpr_dispatch_id 0
		.amdhsa_user_sgpr_kernarg_preload_length 0
		.amdhsa_user_sgpr_kernarg_preload_offset 0
		.amdhsa_user_sgpr_private_segment_size 0
		.amdhsa_uses_dynamic_stack 0
		.amdhsa_enable_private_segment 0
		.amdhsa_system_sgpr_workgroup_id_x 1
		.amdhsa_system_sgpr_workgroup_id_y 0
		.amdhsa_system_sgpr_workgroup_id_z 1
		.amdhsa_system_sgpr_workgroup_info 0
		.amdhsa_system_vgpr_workitem_id 1
		.amdhsa_next_free_vgpr 154
		.amdhsa_next_free_sgpr 39
		.amdhsa_accum_offset 156
		.amdhsa_reserve_vcc 1
		.amdhsa_float_round_mode_32 0
		.amdhsa_float_round_mode_16_64 0
		.amdhsa_float_denorm_mode_32 3
		.amdhsa_float_denorm_mode_16_64 3
		.amdhsa_dx10_clamp 1
		.amdhsa_ieee_mode 1
		.amdhsa_fp16_overflow 0
		.amdhsa_tg_split 0
		.amdhsa_exception_fp_ieee_invalid_op 0
		.amdhsa_exception_fp_denorm_src 0
		.amdhsa_exception_fp_ieee_div_zero 0
		.amdhsa_exception_fp_ieee_overflow 0
		.amdhsa_exception_fp_ieee_underflow 0
		.amdhsa_exception_fp_ieee_inexact 0
		.amdhsa_exception_int_div_zero 0
	.end_amdhsa_kernel
	.section	.text._ZL26rocblas_hemvn_kernel_upperILb0ELi64ELi4ELi33ELi32ELi16EldPKdPdEviT6_lT7_lT5_lS4_lS5_lS3_lT8_i,"axG",@progbits,_ZL26rocblas_hemvn_kernel_upperILb0ELi64ELi4ELi33ELi32ELi16EldPKdPdEviT6_lT7_lT5_lS4_lS5_lS3_lT8_i,comdat
.Lfunc_end98:
	.size	_ZL26rocblas_hemvn_kernel_upperILb0ELi64ELi4ELi33ELi32ELi16EldPKdPdEviT6_lT7_lT5_lS4_lS5_lS3_lT8_i, .Lfunc_end98-_ZL26rocblas_hemvn_kernel_upperILb0ELi64ELi4ELi33ELi32ELi16EldPKdPdEviT6_lT7_lT5_lS4_lS5_lS3_lT8_i
                                        ; -- End function
	.section	.AMDGPU.csdata,"",@progbits
; Kernel info:
; codeLenInByte = 7104
; NumSgprs: 45
; NumVgprs: 154
; NumAgprs: 0
; TotalNumVgprs: 154
; ScratchSize: 0
; MemoryBound: 0
; FloatMode: 240
; IeeeMode: 1
; LDSByteSize: 9600 bytes/workgroup (compile time only)
; SGPRBlocks: 5
; VGPRBlocks: 19
; NumSGPRsForWavesPerEU: 45
; NumVGPRsForWavesPerEU: 154
; AccumOffset: 156
; Occupancy: 3
; WaveLimiterHint : 1
; COMPUTE_PGM_RSRC2:SCRATCH_EN: 0
; COMPUTE_PGM_RSRC2:USER_SGPR: 2
; COMPUTE_PGM_RSRC2:TRAP_HANDLER: 0
; COMPUTE_PGM_RSRC2:TGID_X_EN: 1
; COMPUTE_PGM_RSRC2:TGID_Y_EN: 0
; COMPUTE_PGM_RSRC2:TGID_Z_EN: 1
; COMPUTE_PGM_RSRC2:TIDIG_COMP_CNT: 1
; COMPUTE_PGM_RSRC3_GFX90A:ACCUM_OFFSET: 38
; COMPUTE_PGM_RSRC3_GFX90A:TG_SPLIT: 0
	.section	.text._ZL36rocblas_hemvn_kernel_upper_block_sumILi64EldPddEviT1_lS1_lT2_lT0_lPT3_i,"axG",@progbits,_ZL36rocblas_hemvn_kernel_upper_block_sumILi64EldPddEviT1_lS1_lT2_lT0_lPT3_i,comdat
	.globl	_ZL36rocblas_hemvn_kernel_upper_block_sumILi64EldPddEviT1_lS1_lT2_lT0_lPT3_i ; -- Begin function _ZL36rocblas_hemvn_kernel_upper_block_sumILi64EldPddEviT1_lS1_lT2_lT0_lPT3_i
	.p2align	8
	.type	_ZL36rocblas_hemvn_kernel_upper_block_sumILi64EldPddEviT1_lS1_lT2_lT0_lPT3_i,@function
_ZL36rocblas_hemvn_kernel_upper_block_sumILi64EldPddEviT1_lS1_lT2_lT0_lPT3_i: ; @_ZL36rocblas_hemvn_kernel_upper_block_sumILi64EldPddEviT1_lS1_lT2_lT0_lPT3_i
; %bb.0:
	s_load_dwordx2 s[12:13], s[0:1], 0x8
	s_load_dwordx2 s[14:15], s[0:1], 0x18
	s_waitcnt lgkmcnt(0)
	v_cmp_eq_f64_e64 s[4:5], s[12:13], 0
	v_cmp_eq_f64_e64 s[6:7], s[14:15], 1.0
	s_and_b64 s[4:5], s[4:5], s[6:7]
	s_and_b64 vcc, exec, s[4:5]
	s_cbranch_vccnz .LBB99_19
; %bb.1:
	s_load_dwordx8 s[4:11], s[0:1], 0x30
	s_load_dwordx2 s[16:17], s[0:1], 0x28
	s_load_dword s18, s[0:1], 0x0
	v_lshl_or_b32 v0, s2, 6, v0
	s_waitcnt lgkmcnt(0)
	s_mul_i32 s9, s3, s9
	s_mul_hi_u32 s19, s3, s8
	s_mul_i32 s8, s3, s8
	s_add_i32 s9, s19, s9
	s_lshl_b64 s[8:9], s[8:9], 3
	s_add_u32 s8, s16, s8
	s_addc_u32 s9, s17, s9
	s_lshl_b64 s[4:5], s[4:5], 3
	s_add_u32 s8, s8, s4
	s_addc_u32 s9, s9, s5
	v_cmp_neq_f64_e64 s[4:5], s[12:13], 0
	s_mov_b64 s[16:17], 0
	s_and_b64 vcc, exec, s[4:5]
	v_cmp_gt_i32_e64 s[4:5], s18, v0
	s_cbranch_vccnz .LBB99_6
; %bb.2:
	s_mov_b64 s[20:21], 0
                                        ; implicit-def: $vgpr2_vgpr3
                                        ; implicit-def: $vgpr4_vgpr5
	s_and_saveexec_b64 s[22:23], s[4:5]
	s_cbranch_execz .LBB99_7
; %bb.3:
	v_ashrrev_i32_e32 v1, 31, v0
	v_cmp_eq_f64_e64 s[4:5], s[14:15], 0
	v_mul_lo_u32 v6, v0, s7
	v_mul_lo_u32 v1, v1, s6
	v_mad_u64_u32 v[4:5], s[16:17], v0, s6, 0
	v_mov_b64_e32 v[2:3], 0
	v_add3_u32 v5, v5, v6, v1
	s_and_b64 vcc, exec, s[4:5]
	s_cbranch_vccnz .LBB99_5
; %bb.4:
	v_lshl_add_u64 v[2:3], v[4:5], 3, s[8:9]
	global_load_dwordx2 v[2:3], v[2:3], off
	s_waitcnt vmcnt(0)
	v_mul_f64 v[2:3], v[2:3], s[14:15]
.LBB99_5:
	s_mov_b64 s[16:17], exec
	s_or_b64 exec, exec, s[22:23]
	s_and_b64 vcc, exec, s[20:21]
	s_cbranch_vccnz .LBB99_8
	s_branch .LBB99_17
.LBB99_6:
                                        ; implicit-def: $vgpr2_vgpr3
                                        ; implicit-def: $vgpr4_vgpr5
	s_cbranch_execnz .LBB99_8
	s_branch .LBB99_17
.LBB99_7:
	s_or_b64 exec, exec, s[22:23]
	s_and_b64 vcc, exec, s[20:21]
	s_cbranch_vccz .LBB99_17
.LBB99_8:
	v_cmp_gt_i32_e32 vcc, s18, v0
                                        ; implicit-def: $vgpr2_vgpr3
                                        ; implicit-def: $vgpr4_vgpr5
	s_and_saveexec_b64 s[4:5], vcc
	s_cbranch_execz .LBB99_16
; %bb.9:
	v_ashrrev_i32_e32 v1, 31, v0
	s_cmp_lt_i32 s2, 0
	v_mov_b64_e32 v[6:7], 0
	s_cbranch_scc1 .LBB99_12
; %bb.10:
	s_load_dword s0, s[0:1], 0x58
	s_ashr_i32 s19, s18, 31
	s_mul_hi_u32 s1, s18, s3
	s_mul_i32 s20, s19, s3
	s_add_i32 s1, s1, s20
	s_mul_i32 s3, s18, s3
	s_waitcnt lgkmcnt(0)
	s_mul_i32 s1, s1, s0
	s_mul_hi_u32 s20, s3, s0
	s_add_i32 s1, s20, s1
	s_mul_i32 s0, s3, s0
	s_lshl_b64 s[0:1], s[0:1], 3
	s_add_u32 s0, s10, s0
	s_addc_u32 s1, s11, s1
	v_lshl_add_u64 v[2:3], v[0:1], 3, s[0:1]
	s_add_i32 s2, s2, 1
	s_lshl_b64 s[0:1], s[18:19], 3
	v_mov_b64_e32 v[6:7], 0
.LBB99_11:                              ; =>This Inner Loop Header: Depth=1
	global_load_dwordx2 v[4:5], v[2:3], off
	s_add_i32 s2, s2, -1
	v_lshl_add_u64 v[2:3], v[2:3], 0, s[0:1]
	s_cmp_eq_u32 s2, 0
	s_waitcnt vmcnt(0)
	v_add_f64 v[6:7], v[6:7], v[4:5]
	s_cbranch_scc0 .LBB99_11
.LBB99_12:
	v_cmp_eq_f64_e64 s[2:3], s[14:15], 0
	s_mov_b64 s[0:1], 0
	s_and_b64 vcc, exec, s[2:3]
	v_mul_lo_u32 v1, v1, s6
	v_mul_lo_u32 v8, v0, s7
	s_cbranch_vccz .LBB99_20
; %bb.13:
	v_mad_u64_u32 v[4:5], s[2:3], v0, s6, 0
	v_mul_f64 v[2:3], v[6:7], s[12:13]
	v_add3_u32 v5, v5, v8, v1
	s_andn2_b64 vcc, exec, s[0:1]
	s_cbranch_vccnz .LBB99_15
.LBB99_14:
	v_mad_u64_u32 v[4:5], s[0:1], v0, s6, 0
	v_add3_u32 v5, v5, v8, v1
	v_lshl_add_u64 v[0:1], v[4:5], 3, s[8:9]
	global_load_dwordx2 v[0:1], v[0:1], off
	s_waitcnt vmcnt(0)
	v_mul_f64 v[2:3], v[0:1], s[14:15]
	v_fmac_f64_e32 v[2:3], s[12:13], v[6:7]
.LBB99_15:
	s_or_b64 s[16:17], s[16:17], exec
.LBB99_16:
	s_or_b64 exec, exec, s[4:5]
.LBB99_17:
	s_and_saveexec_b64 s[0:1], s[16:17]
	s_cbranch_execz .LBB99_19
; %bb.18:
	v_lshl_add_u64 v[0:1], v[4:5], 3, s[8:9]
	global_store_dwordx2 v[0:1], v[2:3], off
.LBB99_19:
	s_endpgm
.LBB99_20:
                                        ; implicit-def: $vgpr2_vgpr3
                                        ; implicit-def: $vgpr4_vgpr5
	s_branch .LBB99_14
	.section	.rodata,"a",@progbits
	.p2align	6, 0x0
	.amdhsa_kernel _ZL36rocblas_hemvn_kernel_upper_block_sumILi64EldPddEviT1_lS1_lT2_lT0_lPT3_i
		.amdhsa_group_segment_fixed_size 0
		.amdhsa_private_segment_fixed_size 0
		.amdhsa_kernarg_size 344
		.amdhsa_user_sgpr_count 2
		.amdhsa_user_sgpr_dispatch_ptr 0
		.amdhsa_user_sgpr_queue_ptr 0
		.amdhsa_user_sgpr_kernarg_segment_ptr 1
		.amdhsa_user_sgpr_dispatch_id 0
		.amdhsa_user_sgpr_kernarg_preload_length 0
		.amdhsa_user_sgpr_kernarg_preload_offset 0
		.amdhsa_user_sgpr_private_segment_size 0
		.amdhsa_uses_dynamic_stack 0
		.amdhsa_enable_private_segment 0
		.amdhsa_system_sgpr_workgroup_id_x 1
		.amdhsa_system_sgpr_workgroup_id_y 0
		.amdhsa_system_sgpr_workgroup_id_z 1
		.amdhsa_system_sgpr_workgroup_info 0
		.amdhsa_system_vgpr_workitem_id 0
		.amdhsa_next_free_vgpr 9
		.amdhsa_next_free_sgpr 24
		.amdhsa_accum_offset 12
		.amdhsa_reserve_vcc 1
		.amdhsa_float_round_mode_32 0
		.amdhsa_float_round_mode_16_64 0
		.amdhsa_float_denorm_mode_32 3
		.amdhsa_float_denorm_mode_16_64 3
		.amdhsa_dx10_clamp 1
		.amdhsa_ieee_mode 1
		.amdhsa_fp16_overflow 0
		.amdhsa_tg_split 0
		.amdhsa_exception_fp_ieee_invalid_op 0
		.amdhsa_exception_fp_denorm_src 0
		.amdhsa_exception_fp_ieee_div_zero 0
		.amdhsa_exception_fp_ieee_overflow 0
		.amdhsa_exception_fp_ieee_underflow 0
		.amdhsa_exception_fp_ieee_inexact 0
		.amdhsa_exception_int_div_zero 0
	.end_amdhsa_kernel
	.section	.text._ZL36rocblas_hemvn_kernel_upper_block_sumILi64EldPddEviT1_lS1_lT2_lT0_lPT3_i,"axG",@progbits,_ZL36rocblas_hemvn_kernel_upper_block_sumILi64EldPddEviT1_lS1_lT2_lT0_lPT3_i,comdat
.Lfunc_end99:
	.size	_ZL36rocblas_hemvn_kernel_upper_block_sumILi64EldPddEviT1_lS1_lT2_lT0_lPT3_i, .Lfunc_end99-_ZL36rocblas_hemvn_kernel_upper_block_sumILi64EldPddEviT1_lS1_lT2_lT0_lPT3_i
                                        ; -- End function
	.section	.AMDGPU.csdata,"",@progbits
; Kernel info:
; codeLenInByte = 592
; NumSgprs: 30
; NumVgprs: 9
; NumAgprs: 0
; TotalNumVgprs: 9
; ScratchSize: 0
; MemoryBound: 0
; FloatMode: 240
; IeeeMode: 1
; LDSByteSize: 0 bytes/workgroup (compile time only)
; SGPRBlocks: 3
; VGPRBlocks: 1
; NumSGPRsForWavesPerEU: 30
; NumVGPRsForWavesPerEU: 9
; AccumOffset: 12
; Occupancy: 8
; WaveLimiterHint : 0
; COMPUTE_PGM_RSRC2:SCRATCH_EN: 0
; COMPUTE_PGM_RSRC2:USER_SGPR: 2
; COMPUTE_PGM_RSRC2:TRAP_HANDLER: 0
; COMPUTE_PGM_RSRC2:TGID_X_EN: 1
; COMPUTE_PGM_RSRC2:TGID_Y_EN: 0
; COMPUTE_PGM_RSRC2:TGID_Z_EN: 1
; COMPUTE_PGM_RSRC2:TIDIG_COMP_CNT: 0
; COMPUTE_PGM_RSRC3_GFX90A:ACCUM_OFFSET: 2
; COMPUTE_PGM_RSRC3_GFX90A:TG_SPLIT: 0
	.section	.text._ZL26rocblas_hemvn_kernel_upperILb0ELi64ELi4ELi33ELi32ELi16EidPKdPdEviT6_lT7_lT5_lS4_lS5_lS3_lT8_i,"axG",@progbits,_ZL26rocblas_hemvn_kernel_upperILb0ELi64ELi4ELi33ELi32ELi16EidPKdPdEviT6_lT7_lT5_lS4_lS5_lS3_lT8_i,comdat
	.globl	_ZL26rocblas_hemvn_kernel_upperILb0ELi64ELi4ELi33ELi32ELi16EidPKdPdEviT6_lT7_lT5_lS4_lS5_lS3_lT8_i ; -- Begin function _ZL26rocblas_hemvn_kernel_upperILb0ELi64ELi4ELi33ELi32ELi16EidPKdPdEviT6_lT7_lT5_lS4_lS5_lS3_lT8_i
	.p2align	8
	.type	_ZL26rocblas_hemvn_kernel_upperILb0ELi64ELi4ELi33ELi32ELi16EidPKdPdEviT6_lT7_lT5_lS4_lS5_lS3_lT8_i,@function
_ZL26rocblas_hemvn_kernel_upperILb0ELi64ELi4ELi33ELi32ELi16EidPKdPdEviT6_lT7_lT5_lS4_lS5_lS3_lT8_i: ; @_ZL26rocblas_hemvn_kernel_upperILb0ELi64ELi4ELi33ELi32ELi16EidPKdPdEviT6_lT7_lT5_lS4_lS5_lS3_lT8_i
; %bb.0:
	s_load_dwordx2 s[4:5], s[0:1], 0x84
	s_add_u32 s12, s0, 0x78
	s_addc_u32 s13, s1, 0
	s_waitcnt lgkmcnt(0)
	s_lshr_b32 s6, s4, 16
	s_and_b32 s4, s4, 0xffff
	s_and_b32 s5, s5, 0xffff
	s_mul_i32 s4, s6, s4
	s_mul_i32 s4, s4, s5
	s_cmpk_lg_i32 s4, 0x100
	s_cbranch_scc1 .LBB100_126
; %bb.1:
	s_load_dwordx2 s[4:5], s[0:1], 0x8
	s_load_dwordx4 s[8:11], s[0:1], 0x50
	s_waitcnt lgkmcnt(0)
	v_cmp_eq_f64_e64 s[4:5], s[4:5], 0
	v_cmp_eq_f64_e64 s[6:7], s[10:11], 1.0
	s_and_b64 s[6:7], s[4:5], s[6:7]
	s_and_b64 vcc, exec, s[6:7]
	s_cbranch_vccnz .LBB100_126
; %bb.2:
	s_and_b64 vcc, exec, s[4:5]
	s_cbranch_vccnz .LBB100_126
; %bb.3:
	s_load_dword s33, s[12:13], 0x0
	s_load_dword s36, s[0:1], 0x0
	s_load_dwordx4 s[4:7], s[0:1], 0x30
	s_load_dwordx2 s[10:11], s[0:1], 0x40
	s_load_dword s35, s[0:1], 0x48
	s_mul_i32 s9, s3, s9
	s_mul_hi_u32 s12, s3, s8
	s_add_i32 s9, s12, s9
	s_mul_i32 s8, s3, s8
	s_lshl_b64 s[8:9], s[8:9], 3
	s_waitcnt lgkmcnt(0)
	s_add_u32 s8, s6, s8
	s_addc_u32 s9, s7, s9
	s_lshl_b64 s[6:7], s[10:11], 3
	s_add_u32 s6, s8, s6
	s_addc_u32 s7, s9, s7
	s_ashr_i32 s37, s36, 31
	s_lshr_b32 s9, s37, 26
	v_and_b32_e32 v26, 0x3ff, v0
	s_lshl_b32 s24, s2, 6
	s_add_i32 s9, s36, s9
	s_andn2_b32 s9, s9, 63
	v_add_u32_e32 v24, s24, v26
	v_bfe_u32 v25, v0, 10, 10
	s_add_i32 s8, s33, -1
	s_sub_i32 s34, s36, s9
	v_mul_lo_u32 v0, v24, s35
	s_cmp_eq_u32 s2, s8
	v_ashrrev_i32_e32 v1, 31, v0
	s_cselect_b32 s18, s34, 0
	v_lshl_add_u64 v[14:15], v[0:1], 3, s[6:7]
	v_cmp_eq_u32_e64 s[14:15], 0, v25
	s_and_saveexec_b64 s[6:7], s[14:15]
	s_cbranch_execz .LBB100_7
; %bb.4:
	s_cmp_eq_u32 s18, 0
	s_cselect_b64 s[8:9], -1, 0
	v_cmp_gt_i32_e32 vcc, s18, v26
	s_or_b64 s[10:11], s[8:9], vcc
	v_mov_b64_e32 v[0:1], 0
	s_and_saveexec_b64 s[8:9], s[10:11]
	s_cbranch_execz .LBB100_6
; %bb.5:
	global_load_dwordx2 v[0:1], v[14:15], off
.LBB100_6:
	s_or_b64 exec, exec, s[8:9]
	v_lshlrev_b32_e32 v2, 3, v26
	s_waitcnt vmcnt(0)
	ds_write_b64 v2, v[0:1] offset:9088
.LBB100_7:
	s_or_b64 exec, exec, s[6:7]
	s_load_dwordx4 s[8:11], s[0:1], 0x18
	s_load_dword s22, s[0:1], 0x28
	s_mul_i32 s5, s3, s5
	s_mul_hi_u32 s6, s3, s4
	s_add_i32 s5, s6, s5
	s_mul_i32 s4, s3, s4
	s_lshl_b64 s[4:5], s[4:5], 3
	s_waitcnt lgkmcnt(0)
	s_add_u32 s6, s8, s4
	s_addc_u32 s7, s9, s5
	s_lshl_b64 s[4:5], s[10:11], 3
	s_add_u32 s6, s6, s4
	s_addc_u32 s7, s7, s5
	s_ashr_i32 s25, s24, 31
	v_lshl_add_u32 v22, v25, 6, v26
	s_lshl_b64 s[4:5], s[24:25], 3
	v_and_b32_e32 v0, 31, v26
	v_lshrrev_b32_e32 v1, 5, v22
	s_add_u32 s6, s6, s4
	s_addc_u32 s7, s7, s5
	v_mad_u64_u32 v[12:13], s[4:5], v1, s22, v[0:1]
	s_mul_i32 s4, s24, s22
	s_ashr_i32 s5, s4, 31
	s_lshl_b64 s[4:5], s[4:5], 3
	s_add_u32 s4, s4, s6
	s_addc_u32 s5, s5, s7
	s_cmp_eq_u32 s18, 0
	s_cselect_b64 s[20:21], -1, 0
	s_cmp_lg_u32 s18, 0
	v_ashrrev_i32_e32 v13, 31, v12
	s_cselect_b64 s[28:29], -1, 0
	v_lshl_add_u64 v[6:7], v[12:13], 3, s[4:5]
	s_and_b64 vcc, exec, s[28:29]
	v_cmp_gt_i32_e64 s[4:5], s18, v0
	v_lshlrev_b32_e32 v2, 3, v0
	s_cbranch_vccz .LBB100_17
; %bb.8:
	v_sub_co_u32_e32 v4, vcc, v6, v2
	s_ashr_i32 s19, s18, 31
	s_nop 0
	v_subbrev_co_u32_e32 v5, vcc, 0, v7, vcc
	v_lshl_add_u64 v[4:5], s[18:19], 3, v[4:5]
	v_lshl_add_u64 v[4:5], v[4:5], 0, -8
	v_mov_b64_e32 v[8:9], 0
	v_cndmask_b32_e64 v5, v5, v7, s[4:5]
	v_cndmask_b32_e64 v4, v4, v6, s[4:5]
	v_cmp_gt_i32_e32 vcc, s18, v1
	v_mov_b64_e32 v[10:11], v[8:9]
	s_and_saveexec_b64 s[6:7], vcc
	s_cbranch_execz .LBB100_10
; %bb.9:
	global_load_dwordx2 v[10:11], v[4:5], off
.LBB100_10:
	s_or_b64 exec, exec, s[6:7]
	v_mul_u32_u24_e32 v3, 33, v1
	v_add_lshl_u32 v3, v3, v0, 3
	s_waitcnt vmcnt(0)
	ds_write_b64 v3, v[10:11]
	v_add_u32_e32 v10, 8, v1
	v_cmp_gt_i32_e32 vcc, s18, v10
	s_and_saveexec_b64 s[6:7], vcc
	s_cbranch_execz .LBB100_12
; %bb.11:
	s_lshl_b32 s8, s22, 3
	s_ashr_i32 s9, s8, 31
	v_lshl_add_u64 v[8:9], s[8:9], 3, v[4:5]
	global_load_dwordx2 v[8:9], v[8:9], off
.LBB100_12:
	s_or_b64 exec, exec, s[6:7]
	s_waitcnt vmcnt(0)
	ds_write_b64 v3, v[8:9] offset:2112
	v_add_u32_e32 v8, 16, v1
	v_cmp_gt_i32_e32 vcc, s18, v8
	v_mov_b64_e32 v[8:9], 0
	v_mov_b64_e32 v[10:11], v[8:9]
	s_and_saveexec_b64 s[6:7], vcc
	s_cbranch_execz .LBB100_14
; %bb.13:
	s_lshl_b32 s8, s22, 4
	s_ashr_i32 s9, s8, 31
	v_lshl_add_u64 v[10:11], s[8:9], 3, v[4:5]
	global_load_dwordx2 v[10:11], v[10:11], off
.LBB100_14:
	s_or_b64 exec, exec, s[6:7]
	s_waitcnt vmcnt(0)
	ds_write_b64 v3, v[10:11] offset:4224
	v_add_u32_e32 v10, 24, v1
	v_cmp_gt_i32_e32 vcc, s18, v10
	s_and_saveexec_b64 s[6:7], vcc
	s_cbranch_execz .LBB100_16
; %bb.15:
	s_mul_i32 s8, s22, 24
	s_ashr_i32 s9, s8, 31
	v_lshl_add_u64 v[8:9], s[8:9], 3, v[4:5]
	global_load_dwordx2 v[8:9], v[8:9], off
.LBB100_16:
	s_or_b64 exec, exec, s[6:7]
	s_waitcnt vmcnt(0)
	ds_write_b64 v3, v[8:9] offset:6336
	v_mov_b32_e32 v3, 0
	v_lshl_add_u64 v[4:5], v[4:5], 0, v[2:3]
	s_lshl_b64 s[6:7], s[18:19], 3
	v_mov_b32_e32 v3, s7
	v_subrev_co_u32_e32 v4, vcc, s6, v4
	s_nop 1
	v_subb_co_u32_e32 v5, vcc, v5, v3, vcc
	v_lshl_add_u64 v[4:5], v[4:5], 0, 8
	v_cndmask_b32_e64 v5, v5, v7, s[4:5]
	v_cndmask_b32_e64 v4, v4, v6, s[4:5]
	v_mul_u32_u24_e32 v18, 33, v1
	s_branch .LBB100_19
.LBB100_17:
                                        ; implicit-def: $vgpr4_vgpr5
	v_mul_u32_u24_e32 v18, 33, v1
	s_cbranch_execz .LBB100_19
; %bb.18:
	s_lshl_b32 s4, s22, 3
	s_ashr_i32 s5, s4, 31
	s_ashr_i32 s23, s22, 31
	v_lshl_add_u64 v[4:5], s[4:5], 3, v[6:7]
	global_load_dwordx2 v[8:9], v[6:7], off
	global_load_dwordx2 v[10:11], v[4:5], off
	s_lshl_b64 s[4:5], s[22:23], 6
	v_lshl_add_u64 v[4:5], v[4:5], 0, s[4:5]
	global_load_dwordx2 v[16:17], v[4:5], off
	v_lshl_add_u64 v[4:5], v[4:5], 0, s[4:5]
	global_load_dwordx2 v[4:5], v[4:5], off
	v_add_lshl_u32 v3, v18, v0, 3
	s_waitcnt vmcnt(3)
	ds_write_b64 v3, v[8:9]
	s_waitcnt vmcnt(2)
	ds_write_b64 v3, v[10:11] offset:2112
	s_waitcnt vmcnt(1)
	ds_write_b64 v3, v[16:17] offset:4224
	;; [unrolled: 2-line block ×3, first 2 shown]
	v_mov_b64_e32 v[4:5], v[6:7]
.LBB100_19:
	v_lshlrev_b32_e32 v3, 2, v1
	v_mul_u32_u24_e32 v19, 33, v0
	v_cmp_gt_u32_e64 s[6:7], v3, v0
	v_add_lshl_u32 v21, v3, v19, 3
	s_waitcnt lgkmcnt(0)
	s_barrier
	s_and_saveexec_b64 s[4:5], s[6:7]
	s_cbranch_execz .LBB100_21
; %bb.20:
	v_mul_u32_u24_e32 v6, 0x84, v1
	v_add_lshl_u32 v6, v6, v0, 3
	ds_read_b64 v[6:7], v6
	s_waitcnt lgkmcnt(0)
	ds_write_b64 v21, v[6:7]
.LBB100_21:
	s_or_b64 exec, exec, s[4:5]
	v_cmp_ge_u32_e64 s[8:9], v3, v0
	s_and_saveexec_b64 s[4:5], s[8:9]
	s_cbranch_execz .LBB100_23
; %bb.22:
	v_or_b32_e32 v6, 1, v3
	v_mul_u32_u24_e32 v6, 33, v6
	v_add_lshl_u32 v6, v6, v0, 3
	ds_read_b64 v[6:7], v6
	s_waitcnt lgkmcnt(0)
	ds_write_b64 v21, v[6:7] offset:8
.LBB100_23:
	s_or_b64 exec, exec, s[4:5]
	v_or_b32_e32 v6, 2, v3
	v_cmp_gt_u32_e64 s[10:11], v6, v0
	s_and_saveexec_b64 s[4:5], s[10:11]
	s_cbranch_execz .LBB100_25
; %bb.24:
	v_mul_u32_u24_e32 v6, 33, v6
	v_add_lshl_u32 v6, v6, v0, 3
	ds_read_b64 v[6:7], v6
	s_waitcnt lgkmcnt(0)
	ds_write_b64 v21, v[6:7] offset:16
.LBB100_25:
	s_or_b64 exec, exec, s[4:5]
	v_or_b32_e32 v6, 3, v3
	v_cmp_gt_u32_e64 s[12:13], v6, v0
	v_mad_u32_u24 v6, v6, 33, v0
	v_lshlrev_b32_e32 v30, 3, v6
	s_and_saveexec_b64 s[4:5], s[12:13]
	s_cbranch_execz .LBB100_27
; %bb.26:
	ds_read_b64 v[6:7], v30
	s_waitcnt lgkmcnt(0)
	ds_write_b64 v21, v[6:7] offset:24
.LBB100_27:
	s_or_b64 exec, exec, s[4:5]
	v_mul_u32_u24_e32 v6, 0x84, v1
	v_add_lshl_u32 v20, v6, v0, 3
	s_waitcnt lgkmcnt(0)
	s_barrier
	v_lshlrev_b32_e32 v32, 3, v3
	ds_read_b64 v[10:11], v20
	ds_read_b128 v[6:9], v32 offset:9088
	v_add_u32_e32 v31, 0xfffffdf0, v30
	ds_read2_b64 v[34:37], v31 offset1:33
	ds_read_b128 v[38:41], v32 offset:9104
	ds_read_b64 v[16:17], v30
	v_mov_b64_e32 v[28:29], 0
	v_add_lshl_u32 v27, v1, v19, 3
	s_waitcnt lgkmcnt(3)
	v_fma_f64 v[6:7], v[10:11], v[6:7], 0
	s_waitcnt lgkmcnt(2)
	v_fmac_f64_e32 v[6:7], v[34:35], v[8:9]
	s_waitcnt lgkmcnt(1)
	v_fmac_f64_e32 v[6:7], v[36:37], v[38:39]
	;; [unrolled: 2-line block ×3, first 2 shown]
	v_cmp_gt_u32_e64 s[4:5], 32, v22
	v_lshlrev_b32_e32 v23, 3, v19
	s_barrier
	ds_write_b64 v27, v[6:7]
	s_waitcnt lgkmcnt(0)
	s_barrier
	s_and_saveexec_b64 s[16:17], s[4:5]
	s_cbranch_execz .LBB100_29
; %bb.28:
	ds_read2_b64 v[6:9], v23 offset1:1
	ds_read2_b64 v[34:37], v23 offset0:2 offset1:3
	ds_read2_b64 v[38:41], v23 offset0:4 offset1:5
	s_waitcnt lgkmcnt(2)
	v_add_f64 v[10:11], v[6:7], v[8:9]
	ds_read2_b64 v[6:9], v23 offset0:6 offset1:7
	s_waitcnt lgkmcnt(2)
	v_add_f64 v[10:11], v[10:11], v[34:35]
	v_add_f64 v[10:11], v[10:11], v[36:37]
	s_waitcnt lgkmcnt(1)
	v_add_f64 v[10:11], v[10:11], v[38:39]
	v_add_f64 v[10:11], v[10:11], v[40:41]
	;; [unrolled: 3-line block ×3, first 2 shown]
.LBB100_29:
	s_or_b64 exec, exec, s[16:17]
	s_lshl_b32 s26, s22, 5
	s_ashr_i32 s27, s26, 31
	v_lshl_add_u64 v[8:9], s[26:27], 3, v[4:5]
	s_mov_b64 s[16:17], 0x100
	v_lshl_add_u64 v[6:7], v[8:9], 0, s[16:17]
	s_and_b64 vcc, exec, s[28:29]
	s_barrier
	s_cbranch_vccz .LBB100_39
; %bb.30:
	v_sub_co_u32_e32 v4, vcc, v6, v2
	s_ashr_i32 s19, s18, 31
	s_nop 0
	v_subbrev_co_u32_e32 v5, vcc, 0, v7, vcc
	s_movk_i32 s16, 0xfef8
	v_or_b32_e32 v3, 32, v0
	v_lshl_add_u64 v[4:5], s[18:19], 3, v[4:5]
	s_mov_b32 s17, -1
	v_lshl_add_u64 v[4:5], v[4:5], 0, s[16:17]
	v_cmp_gt_i32_e32 vcc, s18, v3
	s_sub_i32 s23, s18, 32
	v_mov_b64_e32 v[10:11], 0
	v_cndmask_b32_e32 v5, v5, v7, vcc
	v_cndmask_b32_e32 v4, v4, v6, vcc
	v_cmp_gt_i32_e64 s[16:17], s23, v1
	v_mov_b64_e32 v[16:17], v[10:11]
	s_and_saveexec_b64 s[30:31], s[16:17]
	s_cbranch_execz .LBB100_32
; %bb.31:
	global_load_dwordx2 v[16:17], v[4:5], off
.LBB100_32:
	s_or_b64 exec, exec, s[30:31]
	v_add_lshl_u32 v3, v18, v0, 3
	s_waitcnt vmcnt(0)
	ds_write_b64 v3, v[16:17]
	v_add_u32_e32 v16, 8, v1
	v_cmp_gt_i32_e64 s[16:17], s23, v16
	s_and_saveexec_b64 s[30:31], s[16:17]
	s_cbranch_execz .LBB100_34
; %bb.33:
	s_lshl_b32 s16, s22, 3
	s_ashr_i32 s17, s16, 31
	v_lshl_add_u64 v[10:11], s[16:17], 3, v[4:5]
	global_load_dwordx2 v[10:11], v[10:11], off
.LBB100_34:
	s_or_b64 exec, exec, s[30:31]
	s_waitcnt vmcnt(0)
	ds_write_b64 v3, v[10:11] offset:2112
	v_add_u32_e32 v10, 16, v1
	v_cmp_gt_i32_e64 s[16:17], s23, v10
	v_mov_b64_e32 v[10:11], 0
	v_mov_b64_e32 v[16:17], v[10:11]
	s_and_saveexec_b64 s[30:31], s[16:17]
	s_cbranch_execz .LBB100_36
; %bb.35:
	s_lshl_b32 s16, s22, 4
	s_ashr_i32 s17, s16, 31
	v_lshl_add_u64 v[16:17], s[16:17], 3, v[4:5]
	global_load_dwordx2 v[16:17], v[16:17], off
.LBB100_36:
	s_or_b64 exec, exec, s[30:31]
	s_waitcnt vmcnt(0)
	ds_write_b64 v3, v[16:17] offset:4224
	v_add_u32_e32 v16, 24, v1
	v_cmp_gt_i32_e64 s[16:17], s23, v16
	s_and_saveexec_b64 s[30:31], s[16:17]
	s_cbranch_execz .LBB100_38
; %bb.37:
	s_mul_i32 s16, s22, 24
	s_ashr_i32 s17, s16, 31
	v_lshl_add_u64 v[10:11], s[16:17], 3, v[4:5]
	global_load_dwordx2 v[10:11], v[10:11], off
.LBB100_38:
	s_or_b64 exec, exec, s[30:31]
	s_waitcnt vmcnt(0)
	ds_write_b64 v3, v[10:11] offset:6336
	v_mov_b32_e32 v3, 0
	v_lshl_add_u64 v[4:5], v[4:5], 0, v[2:3]
	s_lshl_b64 s[16:17], s[18:19], 3
	v_mov_b32_e32 v3, s17
	v_subrev_co_u32_e64 v4, s[16:17], s16, v4
	s_nop 1
	v_subb_co_u32_e64 v5, s[16:17], v5, v3, s[16:17]
	s_mov_b64 s[16:17], 0x108
	s_nop 0
	v_lshl_add_u64 v[4:5], v[4:5], 0, s[16:17]
	v_cndmask_b32_e32 v5, v5, v7, vcc
	v_cndmask_b32_e32 v4, v4, v6, vcc
	s_branch .LBB100_41
.LBB100_39:
                                        ; implicit-def: $vgpr4_vgpr5
	s_cbranch_execz .LBB100_41
; %bb.40:
	s_lshl_b32 s16, s22, 3
	s_ashr_i32 s17, s16, 31
	s_ashr_i32 s23, s22, 31
	v_lshl_add_u64 v[4:5], s[16:17], 3, v[8:9]
	s_lshl_b64 s[16:17], s[22:23], 6
	v_lshl_add_u64 v[10:11], v[4:5], 0, s[16:17]
	v_lshl_add_u64 v[16:17], v[10:11], 0, s[16:17]
	global_load_dwordx2 v[34:35], v[8:9], off offset:256
	global_load_dwordx2 v[36:37], v[4:5], off offset:256
	;; [unrolled: 1-line block ×4, first 2 shown]
	v_add_lshl_u32 v3, v18, v0, 3
	v_mov_b64_e32 v[4:5], v[6:7]
	s_waitcnt vmcnt(3)
	ds_write_b64 v3, v[34:35]
	s_waitcnt vmcnt(2)
	ds_write_b64 v3, v[36:37] offset:2112
	s_waitcnt vmcnt(1)
	ds_write_b64 v3, v[38:39] offset:4224
	;; [unrolled: 2-line block ×3, first 2 shown]
.LBB100_41:
	s_waitcnt lgkmcnt(0)
	s_barrier
	s_and_saveexec_b64 s[16:17], s[6:7]
	s_cbranch_execnz .LBB100_58
; %bb.42:
	s_or_b64 exec, exec, s[16:17]
	s_and_saveexec_b64 s[6:7], s[8:9]
	s_cbranch_execnz .LBB100_59
.LBB100_43:
	s_or_b64 exec, exec, s[6:7]
	s_and_saveexec_b64 s[6:7], s[10:11]
	s_cbranch_execnz .LBB100_60
.LBB100_44:
	s_or_b64 exec, exec, s[6:7]
	v_add_u32_e32 v32, 0x2380, v32
	s_and_saveexec_b64 s[6:7], s[12:13]
	s_cbranch_execz .LBB100_46
.LBB100_45:
	ds_read_b64 v[6:7], v30
	s_waitcnt lgkmcnt(0)
	ds_write_b64 v21, v[6:7] offset:24
.LBB100_46:
	s_or_b64 exec, exec, s[6:7]
	s_waitcnt lgkmcnt(0)
	s_barrier
	ds_read_b64 v[10:11], v20
	ds_read_b128 v[6:9], v32 offset:256
	ds_read2_b64 v[34:37], v31 offset1:33
	ds_read_b128 v[38:41], v32 offset:272
	ds_read_b64 v[16:17], v30
	v_cmp_eq_u32_e64 s[6:7], 1, v1
	s_waitcnt lgkmcnt(3)
	v_fma_f64 v[6:7], v[10:11], v[6:7], 0
	s_waitcnt lgkmcnt(2)
	v_fmac_f64_e32 v[6:7], v[34:35], v[8:9]
	s_waitcnt lgkmcnt(1)
	v_fmac_f64_e32 v[6:7], v[36:37], v[38:39]
	;; [unrolled: 2-line block ×3, first 2 shown]
	s_barrier
	ds_write_b64 v27, v[6:7]
	s_waitcnt lgkmcnt(0)
	s_barrier
	s_and_saveexec_b64 s[8:9], s[6:7]
	s_cbranch_execz .LBB100_48
; %bb.47:
	ds_read2_b64 v[6:9], v23 offset1:1
	ds_read2_b64 v[34:37], v23 offset0:2 offset1:3
	ds_read2_b64 v[38:41], v23 offset0:4 offset1:5
	s_waitcnt lgkmcnt(2)
	v_add_f64 v[10:11], v[6:7], v[8:9]
	ds_read2_b64 v[6:9], v23 offset0:6 offset1:7
	s_waitcnt lgkmcnt(2)
	v_add_f64 v[10:11], v[10:11], v[34:35]
	v_add_f64 v[10:11], v[10:11], v[36:37]
	s_waitcnt lgkmcnt(1)
	v_add_f64 v[10:11], v[10:11], v[38:39]
	v_add_f64 v[10:11], v[10:11], v[40:41]
	s_waitcnt lgkmcnt(0)
	v_add_f64 v[6:7], v[10:11], v[6:7]
	v_add_f64 v[28:29], v[6:7], v[8:9]
.LBB100_48:
	s_or_b64 exec, exec, s[8:9]
	s_movk_i32 s8, 0xff00
	s_mov_b32 s9, -1
	v_lshl_add_u64 v[6:7], v[4:5], 0, s[8:9]
	s_and_b64 vcc, exec, s[28:29]
	s_barrier
	s_cbranch_vccz .LBB100_61
; %bb.49:
	v_sub_co_u32_e32 v8, vcc, v4, v2
	s_ashr_i32 s19, s18, 31
	s_nop 0
	v_subbrev_co_u32_e32 v9, vcc, 0, v5, vcc
	s_movk_i32 s8, 0xfef8
	v_lshl_add_u64 v[8:9], s[18:19], 3, v[8:9]
	s_mov_b32 s9, -1
	v_lshl_add_u64 v[8:9], v[8:9], 0, s[8:9]
	v_cmp_gt_i32_e32 vcc, s18, v0
	s_sub_i32 s12, s18, 32
	v_mov_b64_e32 v[10:11], 0
	v_cndmask_b32_e32 v9, v9, v7, vcc
	v_cndmask_b32_e32 v8, v8, v6, vcc
	v_cmp_gt_i32_e64 s[8:9], s12, v1
	v_mov_b64_e32 v[16:17], v[10:11]
	s_and_saveexec_b64 s[10:11], s[8:9]
	s_cbranch_execz .LBB100_51
; %bb.50:
	global_load_dwordx2 v[16:17], v[8:9], off
.LBB100_51:
	s_or_b64 exec, exec, s[10:11]
	v_add_u32_e32 v21, 8, v1
	v_add_lshl_u32 v3, v18, v0, 3
	v_cmp_gt_i32_e64 s[8:9], s12, v21
	s_waitcnt vmcnt(0)
	ds_write_b64 v3, v[16:17]
	s_and_saveexec_b64 s[10:11], s[8:9]
	s_cbranch_execz .LBB100_53
; %bb.52:
	s_lshl_b32 s8, s22, 3
	s_ashr_i32 s9, s8, 31
	v_lshl_add_u64 v[10:11], s[8:9], 3, v[8:9]
	global_load_dwordx2 v[10:11], v[10:11], off
.LBB100_53:
	s_or_b64 exec, exec, s[10:11]
	s_waitcnt vmcnt(0)
	ds_write_b64 v3, v[10:11] offset:2112
	v_add_u32_e32 v33, 16, v1
	v_mov_b64_e32 v[10:11], 0
	v_cmp_gt_i32_e64 s[8:9], s12, v33
	v_mov_b64_e32 v[16:17], v[10:11]
	s_and_saveexec_b64 s[10:11], s[8:9]
	s_cbranch_execz .LBB100_55
; %bb.54:
	s_lshl_b32 s8, s22, 4
	s_ashr_i32 s9, s8, 31
	v_lshl_add_u64 v[16:17], s[8:9], 3, v[8:9]
	global_load_dwordx2 v[16:17], v[16:17], off
.LBB100_55:
	s_or_b64 exec, exec, s[10:11]
	v_add_u32_e32 v34, 24, v1
	v_cmp_gt_i32_e64 s[8:9], s12, v34
	s_waitcnt vmcnt(0)
	ds_write_b64 v3, v[16:17] offset:4224
	s_and_saveexec_b64 s[10:11], s[8:9]
	s_cbranch_execz .LBB100_57
; %bb.56:
	s_mul_i32 s8, s22, 24
	s_ashr_i32 s9, s8, 31
	v_lshl_add_u64 v[10:11], s[8:9], 3, v[8:9]
	global_load_dwordx2 v[10:11], v[10:11], off
.LBB100_57:
	s_or_b64 exec, exec, s[10:11]
	s_waitcnt vmcnt(0)
	ds_write_b64 v3, v[10:11] offset:6336
	v_mov_b32_e32 v3, 0
	v_lshl_add_u64 v[2:3], v[8:9], 0, v[2:3]
	s_lshl_b64 s[8:9], s[18:19], 3
	v_mov_b32_e32 v8, s9
	v_subrev_co_u32_e64 v2, s[8:9], s8, v2
	s_nop 1
	v_subb_co_u32_e64 v3, s[8:9], v3, v8, s[8:9]
	v_lshl_add_u64 v[2:3], v[2:3], 0, 8
	v_cndmask_b32_e32 v17, v3, v7, vcc
	v_cndmask_b32_e32 v16, v2, v6, vcc
	s_branch .LBB100_63
.LBB100_58:
	ds_read_b64 v[6:7], v20
	s_waitcnt lgkmcnt(0)
	ds_write_b64 v21, v[6:7]
	s_or_b64 exec, exec, s[16:17]
	s_and_saveexec_b64 s[6:7], s[8:9]
	s_cbranch_execz .LBB100_43
.LBB100_59:
	ds_read_b64 v[6:7], v31
	s_waitcnt lgkmcnt(0)
	ds_write_b64 v21, v[6:7] offset:8
	s_or_b64 exec, exec, s[6:7]
	s_and_saveexec_b64 s[6:7], s[10:11]
	s_cbranch_execz .LBB100_44
.LBB100_60:
	ds_read_b64 v[6:7], v31 offset:264
	s_waitcnt lgkmcnt(0)
	ds_write_b64 v21, v[6:7] offset:16
	s_or_b64 exec, exec, s[6:7]
	v_add_u32_e32 v32, 0x2380, v32
	s_and_saveexec_b64 s[6:7], s[12:13]
	s_cbranch_execnz .LBB100_45
	s_branch .LBB100_46
.LBB100_61:
                                        ; implicit-def: $vgpr16_vgpr17
                                        ; implicit-def: $vgpr21
                                        ; implicit-def: $vgpr33
                                        ; implicit-def: $vgpr34
	s_cbranch_execz .LBB100_63
; %bb.62:
	s_lshl_b32 s8, s22, 3
	s_ashr_i32 s9, s8, 31
	s_ashr_i32 s23, s22, 31
	global_load_dwordx2 v[2:3], v[4:5], off offset:-256
	v_lshl_add_u64 v[4:5], s[8:9], 3, v[4:5]
	s_lshl_b64 s[8:9], s[22:23], 6
	v_lshl_add_u64 v[8:9], v[4:5], 0, s[8:9]
	global_load_dwordx2 v[10:11], v[4:5], off offset:-256
	global_load_dwordx2 v[16:17], v[8:9], off offset:-256
	v_lshl_add_u64 v[4:5], v[8:9], 0, s[8:9]
	global_load_dwordx2 v[4:5], v[4:5], off offset:-256
	v_add_lshl_u32 v0, v18, v0, 3
	v_add_u32_e32 v21, 8, v1
	v_add_u32_e32 v33, 16, v1
	;; [unrolled: 1-line block ×3, first 2 shown]
	s_waitcnt vmcnt(3)
	ds_write_b64 v0, v[2:3]
	s_waitcnt vmcnt(2)
	ds_write_b64 v0, v[10:11] offset:2112
	s_waitcnt vmcnt(1)
	ds_write_b64 v0, v[16:17] offset:4224
	;; [unrolled: 2-line block ×3, first 2 shown]
	v_mov_b64_e32 v[16:17], v[6:7]
.LBB100_63:
	v_lshlrev_b32_e32 v0, 3, v1
	s_waitcnt lgkmcnt(0)
	s_barrier
	v_add_lshl_u32 v1, v21, v19, 3
	v_lshlrev_b32_e32 v2, 3, v21
	v_add_lshl_u32 v3, v33, v19, 3
	ds_read_b64 v[36:37], v0 offset:9088
	ds_read_b64 v[38:39], v1
	ds_read_b64 v[40:41], v2 offset:9088
	ds_read_b64 v[42:43], v3
	v_lshlrev_b32_e32 v18, 3, v33
	v_add_lshl_u32 v19, v34, v19, 3
	v_lshlrev_b32_e32 v46, 3, v34
	ds_read_b64 v[20:21], v20
	ds_read_b128 v[8:11], v32 offset:256
	ds_read_b64 v[34:35], v27
	ds_read_b128 v[0:3], v32 offset:272
	ds_read2_b64 v[4:7], v31 offset1:33
	ds_read_b64 v[32:33], v18 offset:9088
	ds_read_b64 v[44:45], v19
	ds_read_b64 v[46:47], v46 offset:9088
	ds_read_b64 v[18:19], v30
	s_waitcnt lgkmcnt(6)
	v_fma_f64 v[30:31], v[34:35], v[36:37], 0
	v_fmac_f64_e32 v[30:31], v[38:39], v[40:41]
	s_waitcnt lgkmcnt(3)
	v_fmac_f64_e32 v[30:31], v[42:43], v[32:33]
	s_waitcnt lgkmcnt(1)
	;; [unrolled: 2-line block ×3, first 2 shown]
	s_barrier
	ds_write_b64 v27, v[30:31]
	s_waitcnt lgkmcnt(0)
	s_barrier
	s_and_saveexec_b64 s[8:9], s[6:7]
	s_cbranch_execz .LBB100_65
; %bb.64:
	ds_read2_b64 v[30:33], v23 offset1:1
	ds_read2_b64 v[34:37], v23 offset0:2 offset1:3
	s_waitcnt lgkmcnt(1)
	v_add_f64 v[38:39], v[28:29], v[30:31]
	ds_read2_b64 v[28:31], v23 offset0:4 offset1:5
	v_add_f64 v[32:33], v[38:39], v[32:33]
	ds_read2_b64 v[38:41], v23 offset0:6 offset1:7
	s_waitcnt lgkmcnt(2)
	v_add_f64 v[32:33], v[32:33], v[34:35]
	v_add_f64 v[32:33], v[32:33], v[36:37]
	s_waitcnt lgkmcnt(1)
	v_add_f64 v[28:29], v[32:33], v[28:29]
	v_add_f64 v[28:29], v[28:29], v[30:31]
	;; [unrolled: 3-line block ×3, first 2 shown]
.LBB100_65:
	s_or_b64 exec, exec, s[8:9]
	v_fma_f64 v[8:9], v[20:21], v[8:9], 0
	v_fmac_f64_e32 v[8:9], v[4:5], v[10:11]
	v_fmac_f64_e32 v[8:9], v[6:7], v[0:1]
	;; [unrolled: 1-line block ×3, first 2 shown]
	s_barrier
	ds_write_b64 v27, v[8:9]
	s_waitcnt lgkmcnt(0)
	s_barrier
	s_and_saveexec_b64 s[6:7], s[4:5]
	s_cbranch_execz .LBB100_67
; %bb.66:
	ds_read2_b64 v[0:3], v23 offset1:1
	ds_read2_b64 v[4:7], v23 offset0:2 offset1:3
	ds_read2_b64 v[8:11], v23 offset0:4 offset1:5
	s_waitcnt lgkmcnt(2)
	v_add_f64 v[0:1], v[28:29], v[0:1]
	v_add_f64 v[18:19], v[0:1], v[2:3]
	ds_read2_b64 v[0:3], v23 offset0:6 offset1:7
	s_waitcnt lgkmcnt(2)
	v_add_f64 v[4:5], v[18:19], v[4:5]
	v_add_f64 v[4:5], v[4:5], v[6:7]
	s_waitcnt lgkmcnt(1)
	v_add_f64 v[4:5], v[4:5], v[8:9]
	v_add_f64 v[4:5], v[4:5], v[10:11]
	;; [unrolled: 3-line block ×3, first 2 shown]
.LBB100_67:
	s_or_b64 exec, exec, s[6:7]
	s_load_dwordx2 s[0:1], s[0:1], 0x68
	s_mul_hi_u32 s4, s36, s3
	s_mul_i32 s37, s37, s3
	s_add_i32 s4, s4, s37
	s_mul_i32 s3, s36, s3
	s_mul_i32 s4, s4, s33
	s_mul_hi_u32 s5, s3, s33
	s_add_i32 s5, s5, s4
	s_mul_i32 s4, s3, s33
	s_lshl_b64 s[4:5], s[4:5], 3
	s_waitcnt lgkmcnt(0)
	s_add_u32 s3, s0, s4
	s_addc_u32 s4, s1, s5
	s_mul_hi_i32 s1, s36, s2
	s_mul_i32 s0, s36, s2
	s_lshl_b64 s[0:1], s[0:1], 3
	s_add_u32 s6, s3, s0
	s_addc_u32 s7, s4, s1
	s_add_i32 s8, s2, 1
	s_cmp_ge_u32 s8, s33
	v_lshlrev_b32_e32 v27, 3, v26
	s_barrier
	s_cbranch_scc1 .LBB100_124
; %bb.68:
	s_mul_i32 s0, s24, s35
	s_ashr_i32 s1, s0, 31
	s_lshl_b64 s[0:1], s[0:1], 3
	v_and_b32_e32 v4, 48, v26
	v_lshlrev_b32_e32 v144, 2, v25
	v_mov_b32_e32 v0, s1
	v_subrev_co_u32_e32 v30, vcc, s0, v14
	v_and_b32_e32 v2, 15, v26
	v_lshlrev_b32_e32 v5, 3, v4
	s_movk_i32 s9, 0x218
	v_subb_co_u32_e32 v31, vcc, v15, v0, vcc
	v_lshrrev_b32_e32 v3, 4, v22
	v_mad_u64_u32 v[0:1], s[0:1], v144, s22, v[26:27]
	v_mad_u32_u24 v147, v2, s9, v5
	v_or_b32_e32 v5, 0x78, v27
	v_ashrrev_i32_e32 v1, 31, v0
	v_mad_u32_u24 v148, v2, s9, v5
	v_lshlrev_b32_e32 v5, 5, v3
	v_mul_i32_i24_e32 v8, 0xffffffe8, v3
	v_add_u32_e32 v3, s24, v4
	s_lshl_b32 s4, s22, 4
	v_mad_u32_u24 v149, v2, s9, v5
	v_add3_u32 v34, v3, v2, 64
	v_lshlrev_b64 v[2:3], 3, v[0:1]
	s_lshl_b32 s19, s35, 6
	s_ashr_i32 s5, s4, 31
	s_ashr_i32 s23, s22, 31
	s_lshl_b32 s28, s22, 1
	s_mul_i32 s30, s22, 3
	v_mov_b32_e32 v5, 0x2180
	s_mul_i32 s35, s35, s8
	v_mad_i64_i32 v[38:39], s[24:25], v12, -8, v[2:3]
	s_lshl_b64 s[12:13], s[26:27], 3
	s_add_i32 s3, s33, -2
	s_ashr_i32 s29, s28, 31
	s_ashr_i32 s31, s30, 31
	v_lshl_add_u32 v153, v25, 5, v5
	s_lshl_b64 s[16:17], s[22:23], 3
	s_lshl_b32 s8, s35, 6
	v_lshlrev_b64 v[4:5], 3, v[12:13]
	s_lshl_b64 s[10:11], s[4:5], 5
	s_lshl_b64 s[24:25], s[22:23], 4
	v_lshl_add_u64 v[2:3], s[26:27], 0, v[0:1]
	v_sub_co_u32_e32 v36, vcc, 0, v4
	s_add_u32 s36, s24, s12
	v_lshlrev_b64 v[2:3], 3, v[2:3]
	v_subb_co_u32_e32 v37, vcc, 0, v5, vcc
	s_addc_u32 s37, s25, s13
	v_mad_i64_i32 v[4:5], s[38:39], s22, 24, v[2:3]
	s_add_u32 s38, s16, s12
	s_addc_u32 s39, s17, s13
	s_lshl_b64 s[28:29], s[28:29], 3
	s_add_u32 s40, s12, s28
	s_addc_u32 s41, s13, s29
	s_lshl_b64 s[30:31], s[30:31], 3
	v_lshl_add_u64 v[46:47], v[16:17], 0, s[40:41]
	s_add_u32 s40, s12, s30
	s_addc_u32 s41, s13, s31
	v_lshl_add_u64 v[48:49], v[16:17], 0, s[40:41]
	s_lshl_b64 s[40:41], s[4:5], 3
	s_add_u32 s42, s12, s40
	s_addc_u32 s43, s13, s41
	v_lshl_add_u64 v[44:45], v[16:17], 0, s[38:39]
	s_add_u32 s38, s38, s40
	s_addc_u32 s39, s39, s41
	v_lshl_add_u64 v[52:53], v[16:17], 0, s[38:39]
	;; [unrolled: 3-line block ×4, first 2 shown]
	s_add_u32 s38, s36, s40
	s_addc_u32 s39, s37, s41
	s_add_u32 s26, s26, s4
	s_addc_u32 s27, s27, s5
	v_lshl_add_u64 v[0:1], s[26:27], 0, v[0:1]
	v_lshlrev_b64 v[0:1], 3, v[0:1]
	v_mad_i64_i32 v[0:1], s[26:27], s22, 24, v[0:1]
	s_lshl_b64 s[26:27], s[4:5], 4
	v_lshl_add_u64 v[32:33], v[16:17], 0, s[12:13]
	s_add_u32 s12, s26, s12
	s_addc_u32 s13, s27, s13
	v_lshl_add_u64 v[58:59], v[16:17], 0, s[38:39]
	s_add_u32 s38, s12, s16
	s_addc_u32 s39, s13, s17
	;; [unrolled: 3-line block ×4, first 2 shown]
	v_lshl_add_u64 v[68:69], v[16:17], 0, s[12:13]
	s_add_u32 s12, s36, s26
	s_movk_i32 s9, 0x860
	s_mul_i32 s35, s22, 24
	s_addc_u32 s13, s37, s27
	v_mad_u32_u24 v154, v25, s9, v27
	s_mul_hi_i32 s9, s22, 24
	s_add_u32 s26, s35, s26
	s_addc_u32 s27, s9, s27
	v_lshl_add_u64 v[60:61], v[16:17], 0, v[0:1]
	v_lshl_add_u64 v[0:1], s[26:27], 0, v[2:3]
	;; [unrolled: 1-line block ×3, first 2 shown]
	s_mul_i32 s9, s22, 0x180
	v_mad_i64_i32 v[0:1], s[26:27], s4, 24, v[2:3]
	v_lshl_add_u64 v[42:43], v[16:17], 0, v[4:5]
	s_mul_hi_i32 s35, s4, 24
	v_lshl_add_u64 v[4:5], v[0:1], 0, s[16:17]
	s_add_u32 s16, s9, s24
	s_addc_u32 s17, s35, s25
	s_add_u32 s4, s22, s4
	v_lshl_add_u64 v[74:75], v[16:17], 0, v[4:5]
	s_addc_u32 s9, s23, s5
	v_mad_u64_u32 v[4:5], s[4:5], s4, 24, v[2:3]
	v_mov_b32_e32 v6, v5
	v_mad_u64_u32 v[6:7], s[4:5], s9, 24, v[6:7]
	v_lshl_add_u64 v[72:73], v[16:17], 0, v[0:1]
	v_mov_b32_e32 v5, v6
	v_lshl_add_u64 v[6:7], v[0:1], 0, s[28:29]
	v_lshl_add_u64 v[0:1], v[0:1], 0, s[30:31]
	;; [unrolled: 1-line block ×4, first 2 shown]
	v_add_u32_e32 v145, 0x2180, v27
	v_add_u32_e32 v146, 0x2380, v27
	v_cmp_gt_u32_e64 s[0:1], 64, v22
	v_or_b32_e32 v150, 1, v144
	v_or_b32_e32 v151, 2, v144
	;; [unrolled: 1-line block ×3, first 2 shown]
	v_add_u32_e32 v155, 16, v144
	v_add_u32_e32 v156, 17, v144
	v_add_u32_e32 v157, 18, v144
	v_add_u32_e32 v158, 19, v144
	v_lshl_add_u64 v[40:41], v[16:17], 0, s[36:37]
	v_lshl_add_u64 v[50:51], v[16:17], 0, s[42:43]
	;; [unrolled: 1-line block ×7, first 2 shown]
	v_add_u32_e32 v159, v149, v8
	v_add_u32_e32 v160, 32, v144
	;; [unrolled: 1-line block ×9, first 2 shown]
	s_cmp_eq_u32 s3, s2
	s_cselect_b32 s22, s34, 0
	s_and_saveexec_b64 s[4:5], s[14:15]
	s_cbranch_execz .LBB100_72
.LBB100_69:
	s_cmp_eq_u32 s22, 0
	s_cselect_b64 s[12:13], -1, 0
	v_cmp_gt_i32_e32 vcc, s22, v26
	s_or_b64 s[16:17], s[12:13], vcc
	v_mov_b64_e32 v[0:1], 0
	s_and_saveexec_b64 s[12:13], s[16:17]
	s_cbranch_execz .LBB100_71
; %bb.70:
	s_ashr_i32 s9, s8, 31
	v_lshl_add_u64 v[0:1], s[8:9], 3, v[30:31]
	global_load_dwordx2 v[0:1], v[0:1], off
.LBB100_71:
	s_or_b64 exec, exec, s[12:13]
	s_waitcnt vmcnt(0)
	ds_write_b64 v145, v[0:1]
.LBB100_72:                             ; =>This Inner Loop Header: Depth=1
	s_or_b64 exec, exec, s[4:5]
	s_cmp_eq_u32 s22, 0
	s_cselect_b64 s[12:13], -1, 0
	s_cmp_lg_u32 s22, 0
	s_cselect_b64 s[16:17], -1, 0
	v_lshl_add_u64 v[0:1], v[32:33], 0, v[38:39]
	s_and_b64 vcc, exec, s[16:17]
	s_waitcnt lgkmcnt(0)
	s_barrier
	s_cbranch_vccz .LBB100_120
; %bb.73:                               ;   in Loop: Header=BB100_72 Depth=1
	v_mov_b64_e32 v[86:87], 0
	v_cmp_gt_i32_e32 vcc, s22, v144
	v_mov_b64_e32 v[88:89], v[86:87]
	s_and_saveexec_b64 s[4:5], vcc
	s_cbranch_execz .LBB100_75
; %bb.74:                               ;   in Loop: Header=BB100_72 Depth=1
	global_load_dwordx2 v[88:89], v[0:1], off
.LBB100_75:                             ;   in Loop: Header=BB100_72 Depth=1
	s_or_b64 exec, exec, s[4:5]
	v_cmp_gt_i32_e32 vcc, s22, v150
	s_and_saveexec_b64 s[4:5], vcc
	s_cbranch_execz .LBB100_77
; %bb.76:                               ;   in Loop: Header=BB100_72 Depth=1
	v_lshl_add_u64 v[2:3], v[44:45], 0, v[38:39]
	global_load_dwordx2 v[86:87], v[2:3], off
.LBB100_77:                             ;   in Loop: Header=BB100_72 Depth=1
	s_or_b64 exec, exec, s[4:5]
	v_mov_b64_e32 v[90:91], 0
	v_cmp_gt_i32_e32 vcc, s22, v151
	v_mov_b64_e32 v[92:93], v[90:91]
	s_and_saveexec_b64 s[4:5], vcc
	s_cbranch_execz .LBB100_79
; %bb.78:                               ;   in Loop: Header=BB100_72 Depth=1
	v_lshl_add_u64 v[2:3], v[46:47], 0, v[38:39]
	global_load_dwordx2 v[92:93], v[2:3], off
.LBB100_79:                             ;   in Loop: Header=BB100_72 Depth=1
	s_or_b64 exec, exec, s[4:5]
	v_cmp_gt_i32_e32 vcc, s22, v152
	s_and_saveexec_b64 s[4:5], vcc
	s_cbranch_execz .LBB100_81
; %bb.80:                               ;   in Loop: Header=BB100_72 Depth=1
	v_lshl_add_u64 v[2:3], v[48:49], 0, v[38:39]
	global_load_dwordx2 v[90:91], v[2:3], off
.LBB100_81:                             ;   in Loop: Header=BB100_72 Depth=1
	s_or_b64 exec, exec, s[4:5]
	s_branch .LBB100_83
.LBB100_82:                             ;   in Loop: Header=BB100_72 Depth=1
	global_load_dwordx2 v[88:89], v[0:1], off
	v_lshl_add_u64 v[0:1], v[44:45], 0, v[38:39]
	global_load_dwordx2 v[86:87], v[0:1], off
	v_lshl_add_u64 v[0:1], v[40:41], 0, v[38:39]
	global_load_dwordx2 v[92:93], v[0:1], off
	v_lshl_add_u64 v[0:1], v[42:43], 0, v[36:37]
	global_load_dwordx2 v[90:91], v[0:1], off
.LBB100_83:                             ;   in Loop: Header=BB100_72 Depth=1
	ds_read_b64 v[0:1], v146
	ds_read_b64 v[94:95], v153
	v_cndmask_b32_e64 v8, 0, 1, s[16:17]
	v_cmp_ne_u32_e64 s[4:5], 1, v8
	s_andn2_b64 vcc, exec, s[16:17]
	s_waitcnt vmcnt(0) lgkmcnt(1)
	v_mul_f64 v[2:3], v[88:89], v[0:1]
	v_mul_f64 v[4:5], v[86:87], v[0:1]
	ds_write_b64 v154, v[2:3]
	v_mul_f64 v[6:7], v[92:93], v[0:1]
	ds_read_b64 v[96:97], v153 offset:8
	ds_write_b64 v154, v[4:5] offset:536
	ds_read_b64 v[98:99], v153 offset:16
	ds_write_b64 v154, v[6:7] offset:1072
	v_mul_f64 v[0:1], v[90:91], v[0:1]
	ds_read_b64 v[100:101], v153 offset:24
	ds_write_b64 v154, v[0:1] offset:1608
	s_waitcnt lgkmcnt(0)
	s_barrier
	ds_read2_b64 v[4:7], v149 offset1:1
	ds_read2_b64 v[0:3], v149 offset0:2 offset1:3
	v_lshl_add_u64 v[8:9], v[50:51], 0, v[38:39]
	s_waitcnt lgkmcnt(0)
	s_barrier
	s_cbranch_vccnz .LBB100_121
; %bb.84:                               ;   in Loop: Header=BB100_72 Depth=1
	v_mov_b64_e32 v[102:103], 0
	v_cmp_gt_i32_e32 vcc, s22, v155
	v_mov_b64_e32 v[104:105], v[102:103]
	s_and_saveexec_b64 s[16:17], vcc
	s_cbranch_execz .LBB100_86
; %bb.85:                               ;   in Loop: Header=BB100_72 Depth=1
	global_load_dwordx2 v[104:105], v[8:9], off
.LBB100_86:                             ;   in Loop: Header=BB100_72 Depth=1
	s_or_b64 exec, exec, s[16:17]
	v_cmp_gt_i32_e32 vcc, s22, v156
	s_and_saveexec_b64 s[16:17], vcc
	s_cbranch_execz .LBB100_88
; %bb.87:                               ;   in Loop: Header=BB100_72 Depth=1
	v_lshl_add_u64 v[10:11], v[52:53], 0, v[38:39]
	global_load_dwordx2 v[102:103], v[10:11], off
.LBB100_88:                             ;   in Loop: Header=BB100_72 Depth=1
	s_or_b64 exec, exec, s[16:17]
	v_mov_b64_e32 v[106:107], 0
	v_cmp_gt_i32_e32 vcc, s22, v157
	v_mov_b64_e32 v[108:109], v[106:107]
	s_and_saveexec_b64 s[16:17], vcc
	s_cbranch_execz .LBB100_90
; %bb.89:                               ;   in Loop: Header=BB100_72 Depth=1
	v_lshl_add_u64 v[10:11], v[54:55], 0, v[38:39]
	global_load_dwordx2 v[108:109], v[10:11], off
.LBB100_90:                             ;   in Loop: Header=BB100_72 Depth=1
	s_or_b64 exec, exec, s[16:17]
	v_cmp_gt_i32_e32 vcc, s22, v158
	s_and_saveexec_b64 s[16:17], vcc
	s_cbranch_execz .LBB100_92
; %bb.91:                               ;   in Loop: Header=BB100_72 Depth=1
	v_lshl_add_u64 v[10:11], v[56:57], 0, v[38:39]
	global_load_dwordx2 v[106:107], v[10:11], off
.LBB100_92:                             ;   in Loop: Header=BB100_72 Depth=1
	s_or_b64 exec, exec, s[16:17]
	s_branch .LBB100_94
.LBB100_93:                             ;   in Loop: Header=BB100_72 Depth=1
	global_load_dwordx2 v[104:105], v[8:9], off
	v_lshl_add_u64 v[8:9], v[52:53], 0, v[38:39]
	global_load_dwordx2 v[102:103], v[8:9], off
	v_lshl_add_u64 v[8:9], v[58:59], 0, v[38:39]
	;; [unrolled: 2-line block ×3, first 2 shown]
	global_load_dwordx2 v[106:107], v[8:9], off
.LBB100_94:                             ;   in Loop: Header=BB100_72 Depth=1
	ds_read_b64 v[8:9], v146
	ds_read_b64 v[110:111], v153 offset:128
	s_and_b64 vcc, exec, s[4:5]
	v_lshl_add_u64 v[16:17], v[62:63], 0, v[38:39]
	s_waitcnt vmcnt(0) lgkmcnt(1)
	v_mul_f64 v[10:11], v[104:105], v[8:9]
	v_mul_f64 v[12:13], v[102:103], v[8:9]
	ds_write_b64 v154, v[10:11]
	v_mul_f64 v[14:15], v[108:109], v[8:9]
	ds_read_b64 v[112:113], v153 offset:136
	ds_write_b64 v154, v[12:13] offset:536
	ds_read_b64 v[114:115], v153 offset:144
	ds_write_b64 v154, v[14:15] offset:1072
	v_mul_f64 v[8:9], v[106:107], v[8:9]
	ds_read_b64 v[116:117], v153 offset:152
	ds_write_b64 v154, v[8:9] offset:1608
	s_waitcnt lgkmcnt(0)
	s_barrier
	ds_read2_b64 v[12:15], v149 offset1:1
	ds_read2_b64 v[8:11], v149 offset0:2 offset1:3
	s_waitcnt lgkmcnt(0)
	s_barrier
	s_cbranch_vccnz .LBB100_122
; %bb.95:                               ;   in Loop: Header=BB100_72 Depth=1
	v_mov_b64_e32 v[118:119], 0
	v_cmp_gt_i32_e32 vcc, s22, v160
	v_mov_b64_e32 v[120:121], v[118:119]
	s_and_saveexec_b64 s[16:17], vcc
	s_cbranch_execz .LBB100_97
; %bb.96:                               ;   in Loop: Header=BB100_72 Depth=1
	global_load_dwordx2 v[120:121], v[16:17], off
.LBB100_97:                             ;   in Loop: Header=BB100_72 Depth=1
	s_or_b64 exec, exec, s[16:17]
	v_cmp_gt_i32_e32 vcc, s22, v161
	s_and_saveexec_b64 s[16:17], vcc
	s_cbranch_execz .LBB100_99
; %bb.98:                               ;   in Loop: Header=BB100_72 Depth=1
	v_lshl_add_u64 v[18:19], v[64:65], 0, v[38:39]
	global_load_dwordx2 v[118:119], v[18:19], off
.LBB100_99:                             ;   in Loop: Header=BB100_72 Depth=1
	s_or_b64 exec, exec, s[16:17]
	v_mov_b64_e32 v[122:123], 0
	v_cmp_gt_i32_e32 vcc, s22, v162
	v_mov_b64_e32 v[124:125], v[122:123]
	s_and_saveexec_b64 s[16:17], vcc
	s_cbranch_execz .LBB100_101
; %bb.100:                              ;   in Loop: Header=BB100_72 Depth=1
	v_lshl_add_u64 v[18:19], v[66:67], 0, v[38:39]
	global_load_dwordx2 v[124:125], v[18:19], off
.LBB100_101:                            ;   in Loop: Header=BB100_72 Depth=1
	s_or_b64 exec, exec, s[16:17]
	v_cmp_gt_i32_e32 vcc, s22, v163
	s_and_saveexec_b64 s[16:17], vcc
	s_cbranch_execz .LBB100_103
; %bb.102:                              ;   in Loop: Header=BB100_72 Depth=1
	v_lshl_add_u64 v[18:19], v[68:69], 0, v[38:39]
	global_load_dwordx2 v[122:123], v[18:19], off
.LBB100_103:                            ;   in Loop: Header=BB100_72 Depth=1
	s_or_b64 exec, exec, s[16:17]
	s_branch .LBB100_105
.LBB100_104:                            ;   in Loop: Header=BB100_72 Depth=1
	global_load_dwordx2 v[120:121], v[16:17], off
	v_lshl_add_u64 v[16:17], v[64:65], 0, v[38:39]
	global_load_dwordx2 v[118:119], v[16:17], off
	v_lshl_add_u64 v[16:17], v[84:85], 0, v[38:39]
	;; [unrolled: 2-line block ×3, first 2 shown]
	global_load_dwordx2 v[122:123], v[16:17], off
.LBB100_105:                            ;   in Loop: Header=BB100_72 Depth=1
	ds_read_b64 v[16:17], v146
	ds_read_b64 v[126:127], v153 offset:256
	s_and_b64 vcc, exec, s[4:5]
	v_lshl_add_u64 v[142:143], v[72:73], 0, v[36:37]
	s_waitcnt vmcnt(0) lgkmcnt(1)
	v_mul_f64 v[18:19], v[120:121], v[16:17]
	v_mul_f64 v[20:21], v[118:119], v[16:17]
	ds_write_b64 v154, v[18:19]
	v_mul_f64 v[22:23], v[124:125], v[16:17]
	ds_read_b64 v[128:129], v153 offset:264
	ds_write_b64 v154, v[20:21] offset:536
	ds_read_b64 v[130:131], v153 offset:272
	ds_write_b64 v154, v[22:23] offset:1072
	v_mul_f64 v[16:17], v[122:123], v[16:17]
	ds_read_b64 v[132:133], v153 offset:280
	ds_write_b64 v154, v[16:17] offset:1608
	s_waitcnt lgkmcnt(0)
	s_barrier
	ds_read2_b64 v[20:23], v149 offset1:1
	ds_read2_b64 v[16:19], v149 offset0:2 offset1:3
	s_waitcnt lgkmcnt(0)
	s_barrier
	s_cbranch_vccnz .LBB100_123
; %bb.106:                              ;   in Loop: Header=BB100_72 Depth=1
	v_mov_b64_e32 v[134:135], 0
	v_cmp_gt_i32_e32 vcc, s22, v164
	v_mov_b64_e32 v[136:137], v[134:135]
	s_and_saveexec_b64 s[4:5], vcc
	s_cbranch_execz .LBB100_108
; %bb.107:                              ;   in Loop: Header=BB100_72 Depth=1
	global_load_dwordx2 v[136:137], v[142:143], off
.LBB100_108:                            ;   in Loop: Header=BB100_72 Depth=1
	s_or_b64 exec, exec, s[4:5]
	v_cmp_gt_i32_e32 vcc, s22, v165
	s_and_saveexec_b64 s[4:5], vcc
	s_cbranch_execz .LBB100_110
; %bb.109:                              ;   in Loop: Header=BB100_72 Depth=1
	v_lshl_add_u64 v[134:135], v[74:75], 0, v[36:37]
	global_load_dwordx2 v[134:135], v[134:135], off
.LBB100_110:                            ;   in Loop: Header=BB100_72 Depth=1
	s_or_b64 exec, exec, s[4:5]
	v_mov_b64_e32 v[138:139], 0
	v_cmp_gt_i32_e32 vcc, s22, v166
	v_mov_b64_e32 v[140:141], v[138:139]
	s_and_saveexec_b64 s[4:5], vcc
	s_cbranch_execz .LBB100_112
; %bb.111:                              ;   in Loop: Header=BB100_72 Depth=1
	v_lshl_add_u64 v[140:141], v[76:77], 0, v[36:37]
	global_load_dwordx2 v[140:141], v[140:141], off
.LBB100_112:                            ;   in Loop: Header=BB100_72 Depth=1
	s_or_b64 exec, exec, s[4:5]
	v_cmp_gt_i32_e32 vcc, s22, v167
	s_and_saveexec_b64 s[4:5], vcc
	s_cbranch_execz .LBB100_114
; %bb.113:                              ;   in Loop: Header=BB100_72 Depth=1
	v_lshl_add_u64 v[138:139], v[78:79], 0, v[36:37]
	global_load_dwordx2 v[138:139], v[138:139], off
.LBB100_114:                            ;   in Loop: Header=BB100_72 Depth=1
	s_or_b64 exec, exec, s[4:5]
	s_branch .LBB100_116
.LBB100_115:                            ;   in Loop: Header=BB100_72 Depth=1
	s_waitcnt vmcnt(0)
	v_lshl_add_u64 v[138:139], v[80:81], 0, v[36:37]
	v_lshl_add_u64 v[134:135], v[74:75], 0, v[36:37]
	global_load_dwordx2 v[140:141], v[138:139], off
	v_lshl_add_u64 v[138:139], v[82:83], 0, v[36:37]
	global_load_dwordx2 v[136:137], v[142:143], off
	s_nop 0
	global_load_dwordx2 v[134:135], v[134:135], off
	s_nop 0
	global_load_dwordx2 v[138:139], v[138:139], off
.LBB100_116:                            ;   in Loop: Header=BB100_72 Depth=1
	v_add_f64 v[12:13], v[12:13], 0
	v_add_f64 v[12:13], v[12:13], v[14:15]
	ds_read_b64 v[14:15], v146
	v_add_f64 v[20:21], v[20:21], 0
	v_add_f64 v[20:21], v[20:21], v[22:23]
	;; [unrolled: 1-line block ×7, first 2 shown]
	ds_read_b64 v[4:5], v153 offset:384
	s_waitcnt vmcnt(0) lgkmcnt(1)
	v_mul_f64 v[8:9], v[136:137], v[14:15]
	ds_write_b64 v154, v[8:9]
	v_mul_f64 v[10:11], v[134:135], v[14:15]
	ds_read_b64 v[8:9], v153 offset:392
	ds_write_b64 v154, v[10:11] offset:536
	v_mul_f64 v[12:13], v[140:141], v[14:15]
	ds_read_b64 v[10:11], v153 offset:400
	ds_write_b64 v154, v[12:13] offset:1072
	;; [unrolled: 3-line block ×3, first 2 shown]
	s_waitcnt lgkmcnt(0)
	s_barrier
	ds_read2_b64 v[14:17], v149 offset1:1
	v_add_f64 v[6:7], v[18:19], v[6:7]
	ds_read2_b64 v[18:21], v149 offset0:2 offset1:3
	v_add_f64 v[0:1], v[6:7], v[0:1]
	v_add_f64 v[0:1], v[0:1], v[2:3]
	s_waitcnt lgkmcnt(1)
	v_add_f64 v[2:3], v[14:15], 0
	v_cmp_gt_i32_e32 vcc, s22, v26
	v_add_f64 v[2:3], v[2:3], v[16:17]
	s_or_b64 s[4:5], s[12:13], vcc
	s_waitcnt lgkmcnt(0)
	v_add_f64 v[2:3], v[2:3], v[18:19]
	s_and_b64 s[12:13], s[0:1], s[4:5]
	v_add_f64 v[2:3], v[2:3], v[20:21]
	s_barrier
	ds_write2_b64 v159, v[0:1], v[142:143] offset1:16
	ds_write2_b64 v159, v[22:23], v[2:3] offset0:32 offset1:48
	s_waitcnt lgkmcnt(0)
	s_barrier
	s_and_saveexec_b64 s[4:5], s[12:13]
	s_cbranch_execz .LBB100_118
; %bb.117:                              ;   in Loop: Header=BB100_72 Depth=1
	ds_read2_b64 v[0:3], v147 offset1:1
	ds_read2_b64 v[14:17], v147 offset0:2 offset1:3
	ds_read2_b64 v[18:21], v147 offset0:4 offset1:5
	;; [unrolled: 1-line block ×3, first 2 shown]
	v_ashrrev_i32_e32 v35, 31, v34
	s_waitcnt lgkmcnt(3)
	v_add_f64 v[0:1], v[0:1], v[2:3]
	s_waitcnt lgkmcnt(2)
	v_add_f64 v[0:1], v[0:1], v[14:15]
	v_add_f64 v[0:1], v[0:1], v[16:17]
	s_waitcnt lgkmcnt(1)
	v_add_f64 v[6:7], v[0:1], v[18:19]
	ds_read2_b64 v[0:3], v147 offset0:8 offset1:9
	ds_read2_b64 v[14:17], v147 offset0:10 offset1:11
	v_add_f64 v[6:7], v[6:7], v[20:21]
	s_waitcnt lgkmcnt(2)
	v_add_f64 v[6:7], v[6:7], v[168:169]
	v_add_f64 v[6:7], v[6:7], v[170:171]
	s_waitcnt lgkmcnt(1)
	v_add_f64 v[0:1], v[6:7], v[0:1]
	v_add_f64 v[6:7], v[0:1], v[2:3]
	ds_read2_b64 v[0:3], v147 offset0:12 offset1:13
	s_waitcnt lgkmcnt(1)
	v_add_f64 v[6:7], v[6:7], v[14:15]
	ds_read_b64 v[14:15], v147 offset:112
	ds_read_b64 v[18:19], v148
	v_add_f64 v[6:7], v[6:7], v[16:17]
	s_waitcnt lgkmcnt(2)
	v_add_f64 v[0:1], v[6:7], v[0:1]
	v_add_f64 v[0:1], v[0:1], v[2:3]
	s_waitcnt lgkmcnt(1)
	v_add_f64 v[0:1], v[0:1], v[14:15]
	s_waitcnt lgkmcnt(0)
	v_add_f64 v[0:1], v[0:1], v[18:19]
	v_lshl_add_u64 v[2:3], v[34:35], 3, s[6:7]
	global_store_dwordx2 v[2:3], v[0:1], off
.LBB100_118:                            ;   in Loop: Header=BB100_72 Depth=1
	s_or_b64 exec, exec, s[4:5]
	v_fmac_f64_e32 v[28:29], v[88:89], v[94:95]
	v_fmac_f64_e32 v[28:29], v[86:87], v[96:97]
	;; [unrolled: 1-line block ×15, first 2 shown]
	s_add_i32 s4, s2, 1
	s_add_i32 s8, s8, s19
	;; [unrolled: 1-line block ×3, first 2 shown]
	v_fmac_f64_e32 v[28:29], v[138:139], v[12:13]
	v_add_u32_e32 v34, 64, v34
	v_lshl_add_u64 v[32:33], v[32:33], 0, s[10:11]
	v_lshl_add_u64 v[40:41], v[40:41], 0, s[10:11]
	;; [unrolled: 1-line block ×23, first 2 shown]
	s_cmp_ge_u32 s2, s33
	v_lshl_add_u64 v[82:83], v[82:83], 0, s[10:11]
	s_barrier
	s_cbranch_scc1 .LBB100_124
; %bb.119:                              ;   in Loop: Header=BB100_72 Depth=1
	s_mov_b32 s2, s4
	s_cmp_eq_u32 s3, s2
	s_cselect_b32 s22, s34, 0
	s_and_saveexec_b64 s[4:5], s[14:15]
	s_cbranch_execnz .LBB100_69
	s_branch .LBB100_72
.LBB100_120:                            ;   in Loop: Header=BB100_72 Depth=1
                                        ; implicit-def: $vgpr90_vgpr91
                                        ; implicit-def: $vgpr92_vgpr93
                                        ; implicit-def: $vgpr86_vgpr87
                                        ; implicit-def: $vgpr88_vgpr89
	s_cbranch_execnz .LBB100_82
	s_branch .LBB100_83
.LBB100_121:                            ;   in Loop: Header=BB100_72 Depth=1
                                        ; implicit-def: $vgpr106_vgpr107
                                        ; implicit-def: $vgpr108_vgpr109
                                        ; implicit-def: $vgpr102_vgpr103
                                        ; implicit-def: $vgpr104_vgpr105
	s_cbranch_execnz .LBB100_93
	s_branch .LBB100_94
.LBB100_122:                            ;   in Loop: Header=BB100_72 Depth=1
                                        ; implicit-def: $vgpr122_vgpr123
                                        ; implicit-def: $vgpr124_vgpr125
                                        ; implicit-def: $vgpr118_vgpr119
                                        ; implicit-def: $vgpr120_vgpr121
	s_cbranch_execnz .LBB100_104
	s_branch .LBB100_105
.LBB100_123:                            ;   in Loop: Header=BB100_72 Depth=1
                                        ; implicit-def: $vgpr138_vgpr139
                                        ; implicit-def: $vgpr140_vgpr141
                                        ; implicit-def: $vgpr134_vgpr135
                                        ; implicit-def: $vgpr136_vgpr137
	s_cbranch_execnz .LBB100_115
	s_branch .LBB100_116
.LBB100_124:
	s_movk_i32 s0, 0x218
	v_cmp_gt_i32_e32 vcc, s18, v26
	v_mad_u32_u24 v0, v25, s0, v27
	s_or_b64 s[0:1], s[20:21], vcc
	s_and_b64 s[0:1], s[14:15], s[0:1]
	ds_write_b64 v0, v[28:29]
	s_waitcnt lgkmcnt(0)
	s_barrier
	s_and_saveexec_b64 s[2:3], s[0:1]
	s_cbranch_execz .LBB100_126
; %bb.125:
	ds_read2_b64 v[0:3], v27 offset1:67
	ds_read2_b64 v[4:7], v27 offset0:134 offset1:201
	v_ashrrev_i32_e32 v25, 31, v24
	s_waitcnt lgkmcnt(1)
	v_add_f64 v[0:1], v[0:1], v[2:3]
	s_waitcnt lgkmcnt(0)
	v_add_f64 v[0:1], v[0:1], v[4:5]
	v_add_f64 v[0:1], v[0:1], v[6:7]
	v_lshl_add_u64 v[2:3], v[24:25], 3, s[6:7]
	global_store_dwordx2 v[2:3], v[0:1], off
.LBB100_126:
	s_endpgm
	.section	.rodata,"a",@progbits
	.p2align	6, 0x0
	.amdhsa_kernel _ZL26rocblas_hemvn_kernel_upperILb0ELi64ELi4ELi33ELi32ELi16EidPKdPdEviT6_lT7_lT5_lS4_lS5_lS3_lT8_i
		.amdhsa_group_segment_fixed_size 9600
		.amdhsa_private_segment_fixed_size 0
		.amdhsa_kernarg_size 376
		.amdhsa_user_sgpr_count 2
		.amdhsa_user_sgpr_dispatch_ptr 0
		.amdhsa_user_sgpr_queue_ptr 0
		.amdhsa_user_sgpr_kernarg_segment_ptr 1
		.amdhsa_user_sgpr_dispatch_id 0
		.amdhsa_user_sgpr_kernarg_preload_length 0
		.amdhsa_user_sgpr_kernarg_preload_offset 0
		.amdhsa_user_sgpr_private_segment_size 0
		.amdhsa_uses_dynamic_stack 0
		.amdhsa_enable_private_segment 0
		.amdhsa_system_sgpr_workgroup_id_x 1
		.amdhsa_system_sgpr_workgroup_id_y 0
		.amdhsa_system_sgpr_workgroup_id_z 1
		.amdhsa_system_sgpr_workgroup_info 0
		.amdhsa_system_vgpr_workitem_id 1
		.amdhsa_next_free_vgpr 172
		.amdhsa_next_free_sgpr 44
		.amdhsa_accum_offset 172
		.amdhsa_reserve_vcc 1
		.amdhsa_float_round_mode_32 0
		.amdhsa_float_round_mode_16_64 0
		.amdhsa_float_denorm_mode_32 3
		.amdhsa_float_denorm_mode_16_64 3
		.amdhsa_dx10_clamp 1
		.amdhsa_ieee_mode 1
		.amdhsa_fp16_overflow 0
		.amdhsa_tg_split 0
		.amdhsa_exception_fp_ieee_invalid_op 0
		.amdhsa_exception_fp_denorm_src 0
		.amdhsa_exception_fp_ieee_div_zero 0
		.amdhsa_exception_fp_ieee_overflow 0
		.amdhsa_exception_fp_ieee_underflow 0
		.amdhsa_exception_fp_ieee_inexact 0
		.amdhsa_exception_int_div_zero 0
	.end_amdhsa_kernel
	.section	.text._ZL26rocblas_hemvn_kernel_upperILb0ELi64ELi4ELi33ELi32ELi16EidPKdPdEviT6_lT7_lT5_lS4_lS5_lS3_lT8_i,"axG",@progbits,_ZL26rocblas_hemvn_kernel_upperILb0ELi64ELi4ELi33ELi32ELi16EidPKdPdEviT6_lT7_lT5_lS4_lS5_lS3_lT8_i,comdat
.Lfunc_end100:
	.size	_ZL26rocblas_hemvn_kernel_upperILb0ELi64ELi4ELi33ELi32ELi16EidPKdPdEviT6_lT7_lT5_lS4_lS5_lS3_lT8_i, .Lfunc_end100-_ZL26rocblas_hemvn_kernel_upperILb0ELi64ELi4ELi33ELi32ELi16EidPKdPdEviT6_lT7_lT5_lS4_lS5_lS3_lT8_i
                                        ; -- End function
	.section	.AMDGPU.csdata,"",@progbits
; Kernel info:
; codeLenInByte = 6876
; NumSgprs: 50
; NumVgprs: 172
; NumAgprs: 0
; TotalNumVgprs: 172
; ScratchSize: 0
; MemoryBound: 0
; FloatMode: 240
; IeeeMode: 1
; LDSByteSize: 9600 bytes/workgroup (compile time only)
; SGPRBlocks: 6
; VGPRBlocks: 21
; NumSGPRsForWavesPerEU: 50
; NumVGPRsForWavesPerEU: 172
; AccumOffset: 172
; Occupancy: 2
; WaveLimiterHint : 1
; COMPUTE_PGM_RSRC2:SCRATCH_EN: 0
; COMPUTE_PGM_RSRC2:USER_SGPR: 2
; COMPUTE_PGM_RSRC2:TRAP_HANDLER: 0
; COMPUTE_PGM_RSRC2:TGID_X_EN: 1
; COMPUTE_PGM_RSRC2:TGID_Y_EN: 0
; COMPUTE_PGM_RSRC2:TGID_Z_EN: 1
; COMPUTE_PGM_RSRC2:TIDIG_COMP_CNT: 1
; COMPUTE_PGM_RSRC3_GFX90A:ACCUM_OFFSET: 42
; COMPUTE_PGM_RSRC3_GFX90A:TG_SPLIT: 0
	.section	.text._ZL36rocblas_hemvn_kernel_upper_block_sumILi64EidPddEviT1_lS1_lT2_lT0_lPT3_i,"axG",@progbits,_ZL36rocblas_hemvn_kernel_upper_block_sumILi64EidPddEviT1_lS1_lT2_lT0_lPT3_i,comdat
	.globl	_ZL36rocblas_hemvn_kernel_upper_block_sumILi64EidPddEviT1_lS1_lT2_lT0_lPT3_i ; -- Begin function _ZL36rocblas_hemvn_kernel_upper_block_sumILi64EidPddEviT1_lS1_lT2_lT0_lPT3_i
	.p2align	8
	.type	_ZL36rocblas_hemvn_kernel_upper_block_sumILi64EidPddEviT1_lS1_lT2_lT0_lPT3_i,@function
_ZL36rocblas_hemvn_kernel_upper_block_sumILi64EidPddEviT1_lS1_lT2_lT0_lPT3_i: ; @_ZL36rocblas_hemvn_kernel_upper_block_sumILi64EidPddEviT1_lS1_lT2_lT0_lPT3_i
; %bb.0:
	s_load_dwordx2 s[10:11], s[0:1], 0x8
	s_load_dwordx2 s[12:13], s[0:1], 0x18
	s_waitcnt lgkmcnt(0)
	v_cmp_eq_f64_e64 s[4:5], s[10:11], 0
	v_cmp_eq_f64_e64 s[6:7], s[12:13], 1.0
	s_and_b64 s[4:5], s[4:5], s[6:7]
	s_and_b64 vcc, exec, s[4:5]
	s_cbranch_vccnz .LBB101_19
; %bb.1:
	s_load_dwordx4 s[4:7], s[0:1], 0x40
	s_load_dword s22, s[0:1], 0x38
	s_load_dwordx4 s[24:27], s[0:1], 0x28
	s_load_dword s16, s[0:1], 0x0
	v_lshl_or_b32 v0, s2, 6, v0
	s_waitcnt lgkmcnt(0)
	s_mul_i32 s5, s3, s5
	s_mul_hi_u32 s8, s3, s4
	s_add_i32 s5, s8, s5
	s_mul_i32 s4, s3, s4
	s_lshl_b64 s[4:5], s[4:5], 3
	s_add_u32 s8, s24, s4
	s_addc_u32 s9, s25, s5
	s_lshl_b64 s[4:5], s[26:27], 3
	s_add_u32 s8, s8, s4
	s_addc_u32 s9, s9, s5
	v_cmp_neq_f64_e64 s[4:5], s[10:11], 0
	s_mov_b64 s[14:15], 0
	s_and_b64 vcc, exec, s[4:5]
	v_cmp_gt_i32_e64 s[4:5], s16, v0
	s_cbranch_vccnz .LBB101_6
; %bb.2:
	s_mov_b64 s[18:19], 0
                                        ; implicit-def: $vgpr4_vgpr5
                                        ; implicit-def: $vgpr2_vgpr3
	s_and_saveexec_b64 s[20:21], s[4:5]
	s_cbranch_execz .LBB101_7
; %bb.3:
	v_cmp_eq_f64_e64 s[4:5], s[12:13], 0
	v_mul_lo_u32 v2, v0, s22
	v_mov_b64_e32 v[4:5], 0
	v_ashrrev_i32_e32 v3, 31, v2
	s_and_b64 vcc, exec, s[4:5]
	s_cbranch_vccnz .LBB101_5
; %bb.4:
	v_lshl_add_u64 v[4:5], v[2:3], 3, s[8:9]
	global_load_dwordx2 v[4:5], v[4:5], off
	s_waitcnt vmcnt(0)
	v_mul_f64 v[4:5], v[4:5], s[12:13]
.LBB101_5:
	s_mov_b64 s[14:15], exec
	s_or_b64 exec, exec, s[20:21]
	s_and_b64 vcc, exec, s[18:19]
	s_cbranch_vccnz .LBB101_8
	s_branch .LBB101_17
.LBB101_6:
                                        ; implicit-def: $vgpr4_vgpr5
                                        ; implicit-def: $vgpr2_vgpr3
	s_cbranch_execnz .LBB101_8
	s_branch .LBB101_17
.LBB101_7:
	s_or_b64 exec, exec, s[20:21]
	s_and_b64 vcc, exec, s[18:19]
	s_cbranch_vccz .LBB101_17
.LBB101_8:
	v_cmp_gt_i32_e32 vcc, s16, v0
                                        ; implicit-def: $vgpr4_vgpr5
                                        ; implicit-def: $vgpr2_vgpr3
	s_and_saveexec_b64 s[4:5], vcc
	s_cbranch_execz .LBB101_16
; %bb.9:
	s_cmp_lt_i32 s2, 0
	v_mov_b64_e32 v[6:7], 0
	s_cbranch_scc1 .LBB101_12
; %bb.10:
	s_load_dword s0, s[0:1], 0x58
	s_ashr_i32 s17, s16, 31
	s_mul_hi_u32 s1, s16, s3
	s_mul_i32 s18, s17, s3
	s_add_i32 s1, s1, s18
	s_mul_i32 s3, s16, s3
	s_waitcnt lgkmcnt(0)
	s_mul_i32 s1, s1, s0
	s_mul_hi_u32 s18, s3, s0
	s_add_i32 s1, s18, s1
	s_mul_i32 s0, s3, s0
	s_lshl_b64 s[0:1], s[0:1], 3
	s_add_u32 s0, s6, s0
	s_addc_u32 s1, s7, s1
	v_mov_b32_e32 v1, 0
	v_lshl_add_u64 v[2:3], v[0:1], 3, s[0:1]
	s_add_i32 s2, s2, 1
	s_lshl_b64 s[0:1], s[16:17], 3
	v_mov_b64_e32 v[6:7], 0
.LBB101_11:                             ; =>This Inner Loop Header: Depth=1
	global_load_dwordx2 v[4:5], v[2:3], off
	s_add_i32 s2, s2, -1
	v_lshl_add_u64 v[2:3], v[2:3], 0, s[0:1]
	s_cmp_eq_u32 s2, 0
	s_waitcnt vmcnt(0)
	v_add_f64 v[6:7], v[6:7], v[4:5]
	s_cbranch_scc0 .LBB101_11
.LBB101_12:
	v_cmp_eq_f64_e64 s[2:3], s[12:13], 0
	v_mul_lo_u32 v2, v0, s22
	s_mov_b64 s[0:1], 0
	s_and_b64 vcc, exec, s[2:3]
	v_ashrrev_i32_e32 v3, 31, v2
	s_cbranch_vccz .LBB101_20
; %bb.13:
	v_mul_f64 v[4:5], v[6:7], s[10:11]
	s_andn2_b64 vcc, exec, s[0:1]
	s_cbranch_vccnz .LBB101_15
.LBB101_14:
	v_lshl_add_u64 v[0:1], v[2:3], 3, s[8:9]
	global_load_dwordx2 v[0:1], v[0:1], off
	s_waitcnt vmcnt(0)
	v_mul_f64 v[4:5], v[0:1], s[12:13]
	v_fmac_f64_e32 v[4:5], s[10:11], v[6:7]
.LBB101_15:
	s_or_b64 s[14:15], s[14:15], exec
.LBB101_16:
	s_or_b64 exec, exec, s[4:5]
.LBB101_17:
	s_and_saveexec_b64 s[0:1], s[14:15]
	s_cbranch_execz .LBB101_19
; %bb.18:
	v_lshl_add_u64 v[0:1], v[2:3], 3, s[8:9]
	global_store_dwordx2 v[0:1], v[4:5], off
.LBB101_19:
	s_endpgm
.LBB101_20:
                                        ; implicit-def: $vgpr4_vgpr5
	s_branch .LBB101_14
	.section	.rodata,"a",@progbits
	.p2align	6, 0x0
	.amdhsa_kernel _ZL36rocblas_hemvn_kernel_upper_block_sumILi64EidPddEviT1_lS1_lT2_lT0_lPT3_i
		.amdhsa_group_segment_fixed_size 0
		.amdhsa_private_segment_fixed_size 0
		.amdhsa_kernarg_size 344
		.amdhsa_user_sgpr_count 2
		.amdhsa_user_sgpr_dispatch_ptr 0
		.amdhsa_user_sgpr_queue_ptr 0
		.amdhsa_user_sgpr_kernarg_segment_ptr 1
		.amdhsa_user_sgpr_dispatch_id 0
		.amdhsa_user_sgpr_kernarg_preload_length 0
		.amdhsa_user_sgpr_kernarg_preload_offset 0
		.amdhsa_user_sgpr_private_segment_size 0
		.amdhsa_uses_dynamic_stack 0
		.amdhsa_enable_private_segment 0
		.amdhsa_system_sgpr_workgroup_id_x 1
		.amdhsa_system_sgpr_workgroup_id_y 0
		.amdhsa_system_sgpr_workgroup_id_z 1
		.amdhsa_system_sgpr_workgroup_info 0
		.amdhsa_system_vgpr_workitem_id 0
		.amdhsa_next_free_vgpr 8
		.amdhsa_next_free_sgpr 28
		.amdhsa_accum_offset 8
		.amdhsa_reserve_vcc 1
		.amdhsa_float_round_mode_32 0
		.amdhsa_float_round_mode_16_64 0
		.amdhsa_float_denorm_mode_32 3
		.amdhsa_float_denorm_mode_16_64 3
		.amdhsa_dx10_clamp 1
		.amdhsa_ieee_mode 1
		.amdhsa_fp16_overflow 0
		.amdhsa_tg_split 0
		.amdhsa_exception_fp_ieee_invalid_op 0
		.amdhsa_exception_fp_denorm_src 0
		.amdhsa_exception_fp_ieee_div_zero 0
		.amdhsa_exception_fp_ieee_overflow 0
		.amdhsa_exception_fp_ieee_underflow 0
		.amdhsa_exception_fp_ieee_inexact 0
		.amdhsa_exception_int_div_zero 0
	.end_amdhsa_kernel
	.section	.text._ZL36rocblas_hemvn_kernel_upper_block_sumILi64EidPddEviT1_lS1_lT2_lT0_lPT3_i,"axG",@progbits,_ZL36rocblas_hemvn_kernel_upper_block_sumILi64EidPddEviT1_lS1_lT2_lT0_lPT3_i,comdat
.Lfunc_end101:
	.size	_ZL36rocblas_hemvn_kernel_upper_block_sumILi64EidPddEviT1_lS1_lT2_lT0_lPT3_i, .Lfunc_end101-_ZL36rocblas_hemvn_kernel_upper_block_sumILi64EidPddEviT1_lS1_lT2_lT0_lPT3_i
                                        ; -- End function
	.section	.AMDGPU.csdata,"",@progbits
; Kernel info:
; codeLenInByte = 540
; NumSgprs: 34
; NumVgprs: 8
; NumAgprs: 0
; TotalNumVgprs: 8
; ScratchSize: 0
; MemoryBound: 0
; FloatMode: 240
; IeeeMode: 1
; LDSByteSize: 0 bytes/workgroup (compile time only)
; SGPRBlocks: 4
; VGPRBlocks: 0
; NumSGPRsForWavesPerEU: 34
; NumVGPRsForWavesPerEU: 8
; AccumOffset: 8
; Occupancy: 8
; WaveLimiterHint : 0
; COMPUTE_PGM_RSRC2:SCRATCH_EN: 0
; COMPUTE_PGM_RSRC2:USER_SGPR: 2
; COMPUTE_PGM_RSRC2:TRAP_HANDLER: 0
; COMPUTE_PGM_RSRC2:TGID_X_EN: 1
; COMPUTE_PGM_RSRC2:TGID_Y_EN: 0
; COMPUTE_PGM_RSRC2:TGID_Z_EN: 1
; COMPUTE_PGM_RSRC2:TIDIG_COMP_CNT: 0
; COMPUTE_PGM_RSRC3_GFX90A:ACCUM_OFFSET: 1
; COMPUTE_PGM_RSRC3_GFX90A:TG_SPLIT: 0
	.section	.text._ZL50rocblas_symv_kernel_lower_double_buffered_diagonalILi32ELi4E24rocblas_internal_val_ptrIdEPKdPdEvbiT1_lT2_lllS6_lllS5_lT3_llli,"axG",@progbits,_ZL50rocblas_symv_kernel_lower_double_buffered_diagonalILi32ELi4E24rocblas_internal_val_ptrIdEPKdPdEvbiT1_lT2_lllS6_lllS5_lT3_llli,comdat
	.globl	_ZL50rocblas_symv_kernel_lower_double_buffered_diagonalILi32ELi4E24rocblas_internal_val_ptrIdEPKdPdEvbiT1_lT2_lllS6_lllS5_lT3_llli ; -- Begin function _ZL50rocblas_symv_kernel_lower_double_buffered_diagonalILi32ELi4E24rocblas_internal_val_ptrIdEPKdPdEvbiT1_lT2_lllS6_lllS5_lT3_llli
	.p2align	8
	.type	_ZL50rocblas_symv_kernel_lower_double_buffered_diagonalILi32ELi4E24rocblas_internal_val_ptrIdEPKdPdEvbiT1_lT2_lllS6_lllS5_lT3_llli,@function
_ZL50rocblas_symv_kernel_lower_double_buffered_diagonalILi32ELi4E24rocblas_internal_val_ptrIdEPKdPdEvbiT1_lT2_lllS6_lllS5_lT3_llli: ; @_ZL50rocblas_symv_kernel_lower_double_buffered_diagonalILi32ELi4E24rocblas_internal_val_ptrIdEPKdPdEvbiT1_lT2_lllS6_lllS5_lT3_llli
; %bb.0:
	s_load_dword s20, s[0:1], 0x0
	s_load_dwordx16 s[4:19], s[0:1], 0x8
	s_waitcnt lgkmcnt(0)
	s_bitcmp1_b32 s20, 0
	s_load_dwordx8 s[20:27], s[0:1], 0x48
	s_cselect_b64 s[30:31], -1, 0
	s_xor_b64 s[28:29], s[30:31], -1
	s_and_b64 vcc, exec, s[30:31]
	v_mov_b64_e32 v[2:3], s[4:5]
	s_cbranch_vccnz .LBB102_2
; %bb.1:
	s_mul_i32 s7, s3, s7
	s_mul_hi_u32 s30, s3, s6
	s_add_i32 s7, s30, s7
	s_mul_i32 s6, s3, s6
	s_lshl_b64 s[6:7], s[6:7], 3
	s_add_u32 s4, s4, s6
	s_addc_u32 s5, s5, s7
	v_mov_b64_e32 v[2:3], s[4:5]
	flat_load_dwordx2 v[2:3], v[2:3]
.LBB102_2:
	s_andn2_b64 vcc, exec, s[28:29]
	s_waitcnt lgkmcnt(0)
	v_mov_b64_e32 v[4:5], s[24:25]
	s_cbranch_vccnz .LBB102_4
; %bb.3:
	s_mul_i32 s4, s3, s27
	s_mul_hi_u32 s5, s3, s26
	s_add_i32 s5, s5, s4
	s_mul_i32 s4, s3, s26
	s_lshl_b64 s[4:5], s[4:5], 3
	s_add_u32 s4, s24, s4
	s_addc_u32 s5, s25, s5
	v_mov_b64_e32 v[4:5], s[4:5]
	flat_load_dwordx2 v[4:5], v[4:5]
.LBB102_4:
	s_waitcnt vmcnt(0)
	v_cmp_neq_f64_e32 vcc, 0, v[2:3]
	s_waitcnt lgkmcnt(0)
	v_cmp_neq_f64_e64 s[4:5], 1.0, v[4:5]
	s_or_b64 s[4:5], vcc, s[4:5]
	s_and_saveexec_b64 s[6:7], s[4:5]
	s_cbranch_execz .LBB102_32
; %bb.5:
	s_load_dwordx2 s[24:25], s[0:1], 0x80
	s_load_dwordx2 s[26:27], s[0:1], 0x68
	s_load_dwordx4 s[4:7], s[0:1], 0x70
	v_and_b32_e32 v10, 0x3ff, v0
	v_bfe_u32 v11, v0, 10, 10
	s_waitcnt lgkmcnt(0)
	s_mul_i32 s1, s3, s25
	s_mul_hi_u32 s25, s3, s24
	s_mul_i32 s0, s3, s24
	s_add_i32 s1, s25, s1
	s_lshl_b64 s[0:1], s[0:1], 3
	s_add_u32 s24, s26, s0
	s_addc_u32 s25, s27, s1
	s_lshl_b64 s[0:1], s[4:5], 3
	s_add_u32 s4, s24, s0
	s_addc_u32 s5, s25, s1
	s_lshl_b32 s2, s2, 5
	s_ashr_i32 s28, s2, 31
	s_mul_i32 s0, s2, s7
	s_mul_hi_u32 s1, s2, s6
	s_add_i32 s0, s1, s0
	s_mul_i32 s1, s28, s6
	s_add_i32 s1, s0, s1
	s_mul_i32 s0, s2, s6
	s_lshl_b64 s[0:1], s[0:1], 3
	s_add_u32 s4, s4, s0
	s_addc_u32 s5, s5, s1
	v_cmp_eq_f64_e32 vcc, 0, v[2:3]
	s_and_saveexec_b64 s[0:1], vcc
	s_xor_b64 s[0:1], exec, s[0:1]
	s_cbranch_execz .LBB102_9
; %bb.6:
	v_cmp_eq_u32_e32 vcc, 0, v11
	s_and_saveexec_b64 s[24:25], vcc
	s_cbranch_execz .LBB102_8
; %bb.7:
	v_mad_u64_u32 v[0:1], s[26:27], v10, s6, 0
	v_mov_b32_e32 v2, v1
	v_mad_u64_u32 v[2:3], s[26:27], v10, s7, v[2:3]
	v_mov_b32_e32 v1, v2
	v_lshl_add_u64 v[0:1], v[0:1], 3, s[4:5]
	global_load_dwordx2 v[2:3], v[0:1], off
	s_waitcnt vmcnt(0)
	v_mul_f64 v[2:3], v[4:5], v[2:3]
	global_store_dwordx2 v[0:1], v[2:3], off
.LBB102_8:
	s_or_b64 exec, exec, s[24:25]
                                        ; implicit-def: $vgpr11
                                        ; implicit-def: $vgpr10
                                        ; implicit-def: $vgpr2_vgpr3
                                        ; implicit-def: $vgpr4_vgpr5
.LBB102_9:
	s_andn2_saveexec_b64 s[0:1], s[0:1]
	s_cbranch_execz .LBB102_32
; %bb.10:
	v_cmp_eq_u32_e32 vcc, 0, v11
	v_mov_b64_e32 v[0:1], 0
	s_and_saveexec_b64 s[24:25], vcc
	s_cbranch_execz .LBB102_14
; %bb.11:
	v_cmp_neq_f64_e64 s[0:1], 0, v[4:5]
	v_mov_b64_e32 v[0:1], 0
	s_and_saveexec_b64 s[26:27], s[0:1]
	s_cbranch_execz .LBB102_13
; %bb.12:
	v_mad_u64_u32 v[0:1], s[0:1], v10, s6, 0
	v_mov_b32_e32 v6, v1
	v_mad_u64_u32 v[6:7], s[0:1], v10, s7, v[6:7]
	v_mov_b32_e32 v1, v6
	v_lshl_add_u64 v[0:1], v[0:1], 3, s[4:5]
	global_load_dwordx2 v[0:1], v[0:1], off
	s_waitcnt vmcnt(0)
	v_mul_f64 v[0:1], v[4:5], v[0:1]
.LBB102_13:
	s_or_b64 exec, exec, s[26:27]
	s_mul_i32 s0, s3, s23
	s_mul_hi_u32 s1, s3, s22
	s_add_i32 s1, s1, s0
	s_mul_i32 s0, s3, s22
	s_lshl_b64 s[0:1], s[0:1], 3
	s_add_u32 s16, s16, s0
	s_addc_u32 s17, s17, s1
	s_lshl_b64 s[0:1], s[18:19], 3
	s_add_u32 s16, s16, s0
	s_addc_u32 s17, s17, s1
	s_mul_i32 s0, s2, s21
	s_mul_hi_u32 s1, s2, s20
	s_add_i32 s0, s1, s0
	s_mul_i32 s1, s28, s20
	s_add_i32 s1, s0, s1
	s_mul_i32 s0, s2, s20
	s_lshl_b64 s[0:1], s[0:1], 3
	s_add_u32 s0, s16, s0
	s_addc_u32 s1, s17, s1
	v_mad_u64_u32 v[6:7], s[16:17], v10, s20, 0
	v_mov_b32_e32 v8, v7
	v_mad_u64_u32 v[8:9], s[16:17], v10, s21, v[8:9]
	v_mov_b32_e32 v7, v8
	v_lshl_add_u64 v[6:7], v[6:7], 3, s[0:1]
	global_load_dwordx2 v[6:7], v[6:7], off
	v_lshlrev_b32_e32 v8, 3, v10
	s_waitcnt vmcnt(0)
	ds_write_b64 v8, v[6:7] offset:10240
.LBB102_14:
	s_or_b64 exec, exec, s[24:25]
	s_mul_i32 s0, s3, s15
	s_mul_hi_u32 s1, s3, s14
	s_add_i32 s1, s1, s0
	s_mul_i32 s0, s3, s14
	s_lshl_b64 s[0:1], s[0:1], 3
	s_add_u32 s3, s8, s0
	s_addc_u32 s8, s9, s1
	s_lshl_b64 s[0:1], s[10:11], 3
	s_add_u32 s3, s3, s0
	s_addc_u32 s8, s8, s1
	s_add_u32 s0, s12, 1
	s_addc_u32 s1, s13, 0
	s_mul_i32 s9, s0, s28
	s_mul_hi_u32 s10, s0, s2
	s_add_i32 s9, s10, s9
	s_mul_i32 s1, s1, s2
	s_add_i32 s1, s9, s1
	s_mul_i32 s0, s0, s2
	s_lshl_b64 s[0:1], s[0:1], 3
	s_add_u32 s0, s3, s0
	v_mad_u64_u32 v[6:7], s[2:3], v11, s12, 0
	v_mov_b32_e32 v8, v7
	v_mad_u64_u32 v[8:9], s[2:3], v11, s13, v[8:9]
	s_addc_u32 s1, s8, s1
	v_mov_b32_e32 v7, v8
	v_lshl_add_u64 v[8:9], v[6:7], 3, s[0:1]
	v_lshlrev_b32_e32 v6, 3, v10
	v_mov_b32_e32 v7, 0
	v_lshl_add_u64 v[8:9], v[8:9], 0, v[6:7]
	s_lshl_b64 s[2:3], s[12:13], 5
	v_lshl_add_u64 v[12:13], v[8:9], 0, s[2:3]
	global_load_dwordx2 v[18:19], v[8:9], off
	global_load_dwordx2 v[20:21], v[12:13], off
	v_lshl_add_u64 v[8:9], v[12:13], 0, s[2:3]
	global_load_dwordx2 v[22:23], v[8:9], off
	v_lshl_add_u64 v[8:9], v[8:9], 0, s[2:3]
	global_load_dwordx2 v[24:25], v[8:9], off
	v_add_u32_e32 v17, 4, v11
	v_add_u32_e32 v16, 8, v11
	;; [unrolled: 1-line block ×3, first 2 shown]
	v_lshl_add_u32 v7, v11, 5, v10
	v_lshlrev_b32_e32 v12, 5, v17
	v_lshlrev_b32_e32 v13, 5, v16
	;; [unrolled: 1-line block ×4, first 2 shown]
	v_add_lshl_u32 v14, v12, v10, 3
	v_add_lshl_u32 v13, v13, v10, 3
	;; [unrolled: 1-line block ×3, first 2 shown]
	v_cmp_lt_u32_e64 s[0:1], 15, v10
	s_waitcnt vmcnt(3)
	ds_write_b64 v7, v[18:19]
	s_waitcnt vmcnt(2)
	ds_write_b64 v14, v[20:21]
	;; [unrolled: 2-line block ×4, first 2 shown]
	s_and_saveexec_b64 s[8:9], s[0:1]
	s_cbranch_execz .LBB102_16
; %bb.15:
	s_lshl_b64 s[0:1], s[12:13], 2
	v_lshl_add_u64 v[8:9], v[8:9], 0, s[2:3]
	global_load_dwordx2 v[18:19], v[8:9], off
	v_lshl_add_u64 v[8:9], s[0:1], 3, v[8:9]
	global_load_dwordx2 v[20:21], v[8:9], off
	;; [unrolled: 2-line block ×4, first 2 shown]
	s_waitcnt vmcnt(2)
	ds_write2st64_b64 v7, v[18:19], v[20:21] offset0:8 offset1:10
	s_waitcnt vmcnt(0)
	ds_write2st64_b64 v7, v[22:23], v[8:9] offset0:12 offset1:14
.LBB102_16:
	s_or_b64 exec, exec, s[8:9]
	v_cmp_lt_u32_e64 s[0:1], v10, v11
	v_lshlrev_b32_e32 v8, 5, v10
	s_waitcnt lgkmcnt(0)
	s_barrier
	s_and_saveexec_b64 s[2:3], s[0:1]
	s_cbranch_execz .LBB102_18
; %bb.17:
	v_add_lshl_u32 v9, v8, v11, 3
	ds_read_b64 v[18:19], v9
	s_waitcnt lgkmcnt(0)
	ds_write_b64 v7, v[18:19]
.LBB102_18:
	s_or_b64 exec, exec, s[2:3]
	v_sub_u32_e32 v9, v10, v11
	v_sub_u32_e32 v18, 0, v9
	v_max_i32_e32 v18, v9, v18
	v_cmp_gt_u32_e64 s[0:1], 4, v18
	v_add_lshl_u32 v19, v11, v8, 3
	s_and_saveexec_b64 s[2:3], s[0:1]
	s_cbranch_execnz .LBB102_33
; %bb.19:
	s_or_b64 exec, exec, s[2:3]
	v_cmp_gt_u32_e64 s[0:1], 8, v18
	s_and_saveexec_b64 s[2:3], s[0:1]
	s_cbranch_execnz .LBB102_34
.LBB102_20:
	s_or_b64 exec, exec, s[2:3]
	v_cmp_gt_u32_e64 s[0:1], 12, v18
	s_and_saveexec_b64 s[2:3], s[0:1]
	s_cbranch_execz .LBB102_22
.LBB102_21:
	ds_read_b64 v[20:21], v19 offset:96
	s_waitcnt lgkmcnt(0)
	ds_write_b64 v12, v[20:21]
.LBB102_22:
	s_or_b64 exec, exec, s[2:3]
	v_add_u32_e32 v9, 16, v11
	v_cmp_gt_u32_e64 s[0:1], 16, v18
	v_lshlrev_b32_e32 v9, 5, v9
	s_and_saveexec_b64 s[2:3], s[0:1]
	s_cbranch_execnz .LBB102_35
; %bb.23:
	s_or_b64 exec, exec, s[2:3]
	v_cmp_gt_u32_e64 s[0:1], 20, v18
	s_and_saveexec_b64 s[2:3], s[0:1]
	s_cbranch_execnz .LBB102_36
.LBB102_24:
	s_or_b64 exec, exec, s[2:3]
	v_cmp_gt_u32_e64 s[0:1], 24, v18
	s_and_saveexec_b64 s[2:3], s[0:1]
	s_cbranch_execz .LBB102_26
.LBB102_25:
	v_add_lshl_u32 v16, v16, v8, 3
	ds_read_b64 v[16:17], v16 offset:128
	s_waitcnt lgkmcnt(0)
	ds_write_b64 v7, v[16:17] offset:6144
.LBB102_26:
	s_or_b64 exec, exec, s[2:3]
	v_cmp_lt_u32_e64 s[0:1], 27, v18
	v_add_u32_e32 v16, 28, v11
                                        ; implicit-def: $vgpr17
	s_and_saveexec_b64 s[2:3], s[0:1]
	s_xor_b64 s[0:1], exec, s[2:3]
; %bb.27:
	v_add_u32_e32 v16, 28, v11
	v_lshl_add_u32 v17, v16, 5, v10
                                        ; implicit-def: $vgpr15
                                        ; implicit-def: $vgpr8
; %bb.28:
	s_andn2_saveexec_b64 s[0:1], s[0:1]
	s_cbranch_execz .LBB102_30
; %bb.29:
	v_add_lshl_u32 v8, v15, v8, 3
	ds_read_b64 v[18:19], v8 offset:128
	v_lshl_add_u32 v17, v16, 5, v10
	v_lshlrev_b32_e32 v8, 3, v17
	s_waitcnt lgkmcnt(0)
	ds_write_b64 v8, v[18:19]
.LBB102_30:
	s_or_b64 exec, exec, s[0:1]
	v_lshlrev_b32_e32 v34, 3, v11
	v_add_u32_e32 v8, 0x2800, v34
	s_waitcnt lgkmcnt(0)
	s_barrier
	ds_read2_b64 v[18:21], v8 offset1:4
	ds_read_b64 v[22:23], v7
	ds_read_b64 v[14:15], v14
	;; [unrolled: 1-line block ×4, first 2 shown]
	v_add_lshl_u32 v9, v9, v10, 3
	s_waitcnt lgkmcnt(3)
	v_fma_f64 v[30:31], v[22:23], v[18:19], 0
	s_waitcnt lgkmcnt(2)
	v_fmac_f64_e32 v[30:31], v[14:15], v[20:21]
	ds_read2_b64 v[12:15], v8 offset0:8 offset1:12
	ds_read2_b64 v[18:21], v8 offset0:16 offset1:20
	v_lshlrev_b32_e32 v8, 5, v11
	v_add_lshl_u32 v8, v8, v10, 3
	ds_read2st64_b64 v[22:25], v8 offset0:10 offset1:12
	v_lshlrev_b32_e32 v32, 3, v16
	v_lshlrev_b32_e32 v11, 3, v17
	ds_read_b64 v[8:9], v9
	ds_read_b64 v[16:17], v11
	ds_read_b64 v[32:33], v32 offset:10240
	ds_read_b64 v[34:35], v34 offset:10432
	s_waitcnt lgkmcnt(6)
	v_fmac_f64_e32 v[30:31], v[26:27], v[12:13]
	v_fmac_f64_e32 v[30:31], v[28:29], v[14:15]
	s_waitcnt lgkmcnt(3)
	v_fmac_f64_e32 v[30:31], v[8:9], v[18:19]
	v_fmac_f64_e32 v[30:31], v[22:23], v[20:21]
	;; [unrolled: 3-line block ×3, first 2 shown]
	ds_write_b64 v7, v[30:31] offset:8192
	s_waitcnt lgkmcnt(0)
	s_barrier
	s_and_saveexec_b64 s[0:1], vcc
	s_cbranch_execz .LBB102_32
; %bb.31:
	v_add_u32_e32 v11, 0x2000, v6
	ds_read2_b64 v[6:9], v11 offset1:32
	ds_read2_b64 v[12:15], v11 offset0:64 offset1:96
	v_cmp_neq_f64_e32 vcc, 0, v[4:5]
	s_waitcnt lgkmcnt(1)
	v_add_f64 v[6:7], v[6:7], 0
	v_add_f64 v[6:7], v[6:7], v[8:9]
	s_waitcnt lgkmcnt(0)
	v_add_f64 v[6:7], v[6:7], v[12:13]
	v_add_f64 v[6:7], v[6:7], v[14:15]
	v_mul_f64 v[8:9], v[2:3], v[6:7]
	v_fmac_f64_e32 v[0:1], v[2:3], v[6:7]
	v_mad_u64_u32 v[2:3], s[0:1], v10, s6, 0
	v_mov_b32_e32 v4, v3
	v_mad_u64_u32 v[4:5], s[0:1], v10, s7, v[4:5]
	v_mov_b32_e32 v3, v4
	v_cndmask_b32_e32 v1, v9, v1, vcc
	v_cndmask_b32_e32 v0, v8, v0, vcc
	v_lshl_add_u64 v[2:3], v[2:3], 3, s[4:5]
	global_store_dwordx2 v[2:3], v[0:1], off
.LBB102_32:
	s_endpgm
.LBB102_33:
	ds_read_b64 v[20:21], v19 offset:32
	s_waitcnt lgkmcnt(0)
	ds_write_b64 v14, v[20:21]
	s_or_b64 exec, exec, s[2:3]
	v_cmp_gt_u32_e64 s[0:1], 8, v18
	s_and_saveexec_b64 s[2:3], s[0:1]
	s_cbranch_execz .LBB102_20
.LBB102_34:
	ds_read_b64 v[20:21], v19 offset:64
	s_waitcnt lgkmcnt(0)
	ds_write_b64 v13, v[20:21]
	s_or_b64 exec, exec, s[2:3]
	v_cmp_gt_u32_e64 s[0:1], 12, v18
	s_and_saveexec_b64 s[2:3], s[0:1]
	s_cbranch_execnz .LBB102_21
	s_branch .LBB102_22
.LBB102_35:
	ds_read_b64 v[20:21], v19 offset:128
	v_add_lshl_u32 v19, v9, v10, 3
	s_waitcnt lgkmcnt(0)
	ds_write_b64 v19, v[20:21]
	s_or_b64 exec, exec, s[2:3]
	v_cmp_gt_u32_e64 s[0:1], 20, v18
	s_and_saveexec_b64 s[2:3], s[0:1]
	s_cbranch_execz .LBB102_24
.LBB102_36:
	v_add_lshl_u32 v17, v17, v8, 3
	ds_read_b64 v[20:21], v17 offset:128
	s_waitcnt lgkmcnt(0)
	ds_write_b64 v7, v[20:21] offset:5120
	s_or_b64 exec, exec, s[2:3]
	v_cmp_gt_u32_e64 s[0:1], 24, v18
	s_and_saveexec_b64 s[2:3], s[0:1]
	s_cbranch_execnz .LBB102_25
	s_branch .LBB102_26
	.section	.rodata,"a",@progbits
	.p2align	6, 0x0
	.amdhsa_kernel _ZL50rocblas_symv_kernel_lower_double_buffered_diagonalILi32ELi4E24rocblas_internal_val_ptrIdEPKdPdEvbiT1_lT2_lllS6_lllS5_lT3_llli
		.amdhsa_group_segment_fixed_size 10496
		.amdhsa_private_segment_fixed_size 0
		.amdhsa_kernarg_size 140
		.amdhsa_user_sgpr_count 2
		.amdhsa_user_sgpr_dispatch_ptr 0
		.amdhsa_user_sgpr_queue_ptr 0
		.amdhsa_user_sgpr_kernarg_segment_ptr 1
		.amdhsa_user_sgpr_dispatch_id 0
		.amdhsa_user_sgpr_kernarg_preload_length 0
		.amdhsa_user_sgpr_kernarg_preload_offset 0
		.amdhsa_user_sgpr_private_segment_size 0
		.amdhsa_uses_dynamic_stack 0
		.amdhsa_enable_private_segment 0
		.amdhsa_system_sgpr_workgroup_id_x 1
		.amdhsa_system_sgpr_workgroup_id_y 0
		.amdhsa_system_sgpr_workgroup_id_z 1
		.amdhsa_system_sgpr_workgroup_info 0
		.amdhsa_system_vgpr_workitem_id 1
		.amdhsa_next_free_vgpr 36
		.amdhsa_next_free_sgpr 32
		.amdhsa_accum_offset 36
		.amdhsa_reserve_vcc 1
		.amdhsa_float_round_mode_32 0
		.amdhsa_float_round_mode_16_64 0
		.amdhsa_float_denorm_mode_32 3
		.amdhsa_float_denorm_mode_16_64 3
		.amdhsa_dx10_clamp 1
		.amdhsa_ieee_mode 1
		.amdhsa_fp16_overflow 0
		.amdhsa_tg_split 0
		.amdhsa_exception_fp_ieee_invalid_op 0
		.amdhsa_exception_fp_denorm_src 0
		.amdhsa_exception_fp_ieee_div_zero 0
		.amdhsa_exception_fp_ieee_overflow 0
		.amdhsa_exception_fp_ieee_underflow 0
		.amdhsa_exception_fp_ieee_inexact 0
		.amdhsa_exception_int_div_zero 0
	.end_amdhsa_kernel
	.section	.text._ZL50rocblas_symv_kernel_lower_double_buffered_diagonalILi32ELi4E24rocblas_internal_val_ptrIdEPKdPdEvbiT1_lT2_lllS6_lllS5_lT3_llli,"axG",@progbits,_ZL50rocblas_symv_kernel_lower_double_buffered_diagonalILi32ELi4E24rocblas_internal_val_ptrIdEPKdPdEvbiT1_lT2_lllS6_lllS5_lT3_llli,comdat
.Lfunc_end102:
	.size	_ZL50rocblas_symv_kernel_lower_double_buffered_diagonalILi32ELi4E24rocblas_internal_val_ptrIdEPKdPdEvbiT1_lT2_lllS6_lllS5_lT3_llli, .Lfunc_end102-_ZL50rocblas_symv_kernel_lower_double_buffered_diagonalILi32ELi4E24rocblas_internal_val_ptrIdEPKdPdEvbiT1_lT2_lllS6_lllS5_lT3_llli
                                        ; -- End function
	.section	.AMDGPU.csdata,"",@progbits
; Kernel info:
; codeLenInByte = 1928
; NumSgprs: 38
; NumVgprs: 36
; NumAgprs: 0
; TotalNumVgprs: 36
; ScratchSize: 0
; MemoryBound: 0
; FloatMode: 240
; IeeeMode: 1
; LDSByteSize: 10496 bytes/workgroup (compile time only)
; SGPRBlocks: 4
; VGPRBlocks: 4
; NumSGPRsForWavesPerEU: 38
; NumVGPRsForWavesPerEU: 36
; AccumOffset: 36
; Occupancy: 3
; WaveLimiterHint : 0
; COMPUTE_PGM_RSRC2:SCRATCH_EN: 0
; COMPUTE_PGM_RSRC2:USER_SGPR: 2
; COMPUTE_PGM_RSRC2:TRAP_HANDLER: 0
; COMPUTE_PGM_RSRC2:TGID_X_EN: 1
; COMPUTE_PGM_RSRC2:TGID_Y_EN: 0
; COMPUTE_PGM_RSRC2:TGID_Z_EN: 1
; COMPUTE_PGM_RSRC2:TIDIG_COMP_CNT: 1
; COMPUTE_PGM_RSRC3_GFX90A:ACCUM_OFFSET: 8
; COMPUTE_PGM_RSRC3_GFX90A:TG_SPLIT: 0
	.section	.text._ZL54rocblas_symv_kernel_lower_double_buffered_non_diagonalILi32ELi4ELi4E24rocblas_internal_val_ptrIdEPKdPdEvbiT2_lT3_lllS6_lllT4_llli,"axG",@progbits,_ZL54rocblas_symv_kernel_lower_double_buffered_non_diagonalILi32ELi4ELi4E24rocblas_internal_val_ptrIdEPKdPdEvbiT2_lT3_lllS6_lllT4_llli,comdat
	.globl	_ZL54rocblas_symv_kernel_lower_double_buffered_non_diagonalILi32ELi4ELi4E24rocblas_internal_val_ptrIdEPKdPdEvbiT2_lT3_lllS6_lllT4_llli ; -- Begin function _ZL54rocblas_symv_kernel_lower_double_buffered_non_diagonalILi32ELi4ELi4E24rocblas_internal_val_ptrIdEPKdPdEvbiT2_lT3_lllS6_lllT4_llli
	.p2align	8
	.type	_ZL54rocblas_symv_kernel_lower_double_buffered_non_diagonalILi32ELi4ELi4E24rocblas_internal_val_ptrIdEPKdPdEvbiT2_lT3_lllS6_lllT4_llli,@function
_ZL54rocblas_symv_kernel_lower_double_buffered_non_diagonalILi32ELi4ELi4E24rocblas_internal_val_ptrIdEPKdPdEvbiT2_lT3_lllS6_lllT4_llli: ; @_ZL54rocblas_symv_kernel_lower_double_buffered_non_diagonalILi32ELi4ELi4E24rocblas_internal_val_ptrIdEPKdPdEvbiT2_lT3_lllS6_lllT4_llli
; %bb.0:
	s_load_dword s5, s[0:1], 0x0
	s_load_dwordx16 s[8:23], s[0:1], 0x8
	s_waitcnt lgkmcnt(0)
	s_bitcmp1_b32 s5, 0
	s_cselect_b64 s[6:7], -1, 0
	s_and_b64 vcc, exec, s[6:7]
	v_mov_b64_e32 v[8:9], s[8:9]
	s_cbranch_vccnz .LBB103_2
; %bb.1:
	s_mul_i32 s5, s4, s11
	s_mul_hi_u32 s6, s4, s10
	s_add_i32 s7, s6, s5
	s_mul_i32 s6, s4, s10
	s_lshl_b64 s[6:7], s[6:7], 3
	s_add_u32 s6, s8, s6
	s_addc_u32 s7, s9, s7
	v_mov_b64_e32 v[2:3], s[6:7]
	flat_load_dwordx2 v[8:9], v[2:3]
.LBB103_2:
	s_waitcnt vmcnt(0) lgkmcnt(0)
	v_cmp_neq_f64_e32 vcc, 0, v[8:9]
	s_and_saveexec_b64 s[6:7], vcc
	s_cbranch_execz .LBB103_19
; %bb.3:
	s_load_dwordx2 s[6:7], s[0:1], 0x80
	s_waitcnt lgkmcnt(0)
	v_cvt_f32_u32_e32 v1, s7
	s_add_i32 s5, s6, -1
	s_cmp_eq_u32 s2, s5
	v_rcp_iflag_f32_e32 v1, v1
	s_nop 0
	v_mul_f32_e32 v1, 0x4f7ffffe, v1
	v_cvt_u32_f32_e32 v1, v1
	s_nop 0
	v_readfirstlane_b32 s8, v1
	s_cbranch_scc1 .LBB103_19
; %bb.4:
	s_not_b32 s5, s2
	s_load_dwordx4 s[24:27], s[0:1], 0x48
	s_add_i32 s5, s6, s5
	s_sub_i32 s6, 0, s7
	s_mul_i32 s6, s6, s8
	s_mul_hi_u32 s6, s8, s6
	s_add_i32 s8, s8, s6
	s_mul_hi_u32 s6, s5, s8
	v_and_b32_e32 v74, 0x3ff, v0
	v_bfe_u32 v0, v0, 10, 10
	s_waitcnt lgkmcnt(0)
	s_mul_i32 s8, s4, s27
	s_mul_hi_u32 s9, s4, s26
	s_lshl_b32 s28, s2, 5
	s_add_i32 s27, s9, s8
	s_mul_i32 s26, s4, s26
	s_ashr_i32 s29, s28, 31
	v_cmp_eq_u32_e32 vcc, 0, v0
	s_and_saveexec_b64 s[8:9], vcc
	s_cbranch_execz .LBB103_6
; %bb.5:
	s_lshl_b64 s[10:11], s[26:27], 3
	s_add_u32 s2, s20, s10
	s_addc_u32 s30, s21, s11
	s_lshl_b64 s[10:11], s[22:23], 3
	s_add_u32 s2, s2, s10
	s_addc_u32 s30, s30, s11
	s_mul_i32 s10, s28, s25
	s_mul_hi_u32 s11, s28, s24
	s_add_i32 s10, s11, s10
	s_mul_i32 s11, s29, s24
	s_add_i32 s11, s10, s11
	s_mul_i32 s10, s28, s24
	s_lshl_b64 s[10:11], s[10:11], 3
	s_add_u32 s10, s2, s10
	s_addc_u32 s11, s30, s11
	v_mad_u64_u32 v[2:3], s[30:31], v74, s24, 0
	v_mov_b32_e32 v4, v3
	v_mad_u64_u32 v[4:5], s[30:31], v74, s25, v[4:5]
	v_mov_b32_e32 v3, v4
	v_lshl_add_u64 v[2:3], v[2:3], 3, s[10:11]
	global_load_dwordx2 v[2:3], v[2:3], off
	v_lshlrev_b32_e32 v1, 3, v74
	s_waitcnt vmcnt(0)
	ds_write_b64 v1, v[2:3] offset:6144
.LBB103_6:
	s_or_b64 exec, exec, s[8:9]
	s_mul_i32 s2, s6, s7
	s_sub_i32 s2, s5, s2
	s_add_i32 s8, s6, 1
	s_sub_i32 s9, s2, s7
	s_cmp_ge_u32 s2, s7
	s_cselect_b32 s6, s8, s6
	s_cselect_b32 s2, s9, s2
	s_add_i32 s8, s6, 1
	s_cmp_ge_u32 s2, s7
	s_cselect_b32 s2, s8, s6
	s_add_i32 s6, s7, -1
	s_cmp_lg_u32 s3, s6
	s_mov_b32 s33, s2
	s_cbranch_scc1 .LBB103_8
; %bb.7:
	s_mul_i32 s6, s2, s7
	s_sub_i32 s5, s5, s6
	s_add_i32 s33, s5, s2
.LBB103_8:
	s_cmp_eq_u32 s33, 0
	s_cbranch_scc1 .LBB103_19
; %bb.9:
	s_load_dwordx2 s[6:7], s[0:1], 0x70
	s_load_dwordx2 s[30:31], s[0:1], 0x58
	s_load_dwordx4 s[8:11], s[0:1], 0x60
	v_lshl_add_u32 v0, v0, 5, v74
	v_and_b32_e32 v10, 15, v74
	s_waitcnt lgkmcnt(0)
	s_mul_i32 s1, s4, s7
	s_mul_hi_u32 s5, s4, s6
	s_mul_i32 s0, s4, s6
	s_add_i32 s1, s5, s1
	s_lshl_b64 s[0:1], s[0:1], 3
	s_add_u32 s5, s30, s0
	s_addc_u32 s6, s31, s1
	s_lshl_b64 s[0:1], s[8:9], 3
	s_add_u32 s5, s5, s0
	s_addc_u32 s6, s6, s1
	s_mul_i32 s0, s28, s11
	s_mul_hi_u32 s1, s28, s10
	s_add_i32 s0, s1, s0
	s_mul_i32 s1, s29, s10
	s_add_i32 s1, s0, s1
	s_mul_i32 s0, s28, s10
	s_lshl_b64 s[0:1], s[0:1], 3
	s_add_u32 s0, s5, s0
	s_addc_u32 s1, s6, s1
	v_mov_b64_e32 v[36:37], 0
	v_lshrrev_b32_e32 v75, 4, v0
	s_cmp_lt_i32 s33, 1
	v_lshlrev_b32_e32 v12, 3, v10
	v_mov_b64_e32 v[38:39], v[36:37]
	v_mov_b64_e32 v[40:41], v[36:37]
	;; [unrolled: 1-line block ×3, first 2 shown]
	s_barrier
	s_cbranch_scc1 .LBB103_17
; %bb.10:
	s_mul_i32 s3, s3, s2
	v_lshlrev_b32_e32 v3, 2, v75
	v_mov_b32_e32 v11, 0
	s_lshl_b32 s2, s3, 5
	v_mad_u64_u32 v[0:1], s[6:7], v3, s16, v[10:11]
	s_ashr_i32 s3, s2, 31
	s_mul_i32 s5, s2, s11
	s_mul_hi_u32 s8, s2, s10
	v_mov_b32_e32 v2, v1
	s_add_i32 s5, s8, s5
	s_mul_i32 s8, s3, s10
	v_mad_u64_u32 v[2:3], s[6:7], v3, s17, v[2:3]
	s_add_i32 s9, s5, s8
	s_mul_i32 s8, s2, s10
	s_lshl_b64 s[6:7], s[24:25], 8
	s_lshl_b64 s[8:9], s[8:9], 3
	s_add_u32 s30, s0, s8
	s_mul_i32 s5, s4, s19
	s_mul_hi_u32 s8, s4, s18
	s_addc_u32 s31, s1, s9
	s_add_i32 s5, s8, s5
	s_mul_i32 s4, s4, s18
	s_lshl_b64 s[18:19], s[4:5], 3
	s_add_u32 s4, s12, s18
	s_addc_u32 s5, s13, s19
	s_lshl_b64 s[34:35], s[14:15], 3
	s_add_u32 s8, s4, s34
	s_addc_u32 s9, s5, s35
	s_add_u32 s4, s16, 1
	s_addc_u32 s5, s17, 0
	s_mul_i32 s14, s4, s29
	s_mul_hi_u32 s15, s4, s28
	s_add_i32 s14, s15, s14
	s_mul_i32 s5, s5, s28
	s_add_i32 s5, s14, s5
	s_mul_i32 s4, s4, s28
	s_lshl_b64 s[14:15], s[4:5], 3
	s_add_u32 s4, s8, s14
	s_addc_u32 s5, s9, s15
	s_lshl_b64 s[36:37], s[2:3], 3
	s_add_u32 s2, s4, s36
	v_mov_b32_e32 v1, v2
	s_addc_u32 s3, s5, s37
	v_lshl_add_u64 v[0:1], v[0:1], 3, s[2:3]
	s_lshl_b64 s[2:3], s[16:17], 3
	global_load_dwordx2 v[16:17], v[0:1], off offset:256
	v_lshl_add_u64 v[0:1], v[0:1], 0, s[2:3]
	global_load_dwordx2 v[20:21], v[0:1], off offset:256
	v_lshl_add_u64 v[0:1], v[0:1], 0, s[2:3]
	;; [unrolled: 2-line block ×3, first 2 shown]
	global_load_dwordx2 v[24:25], v[0:1], off offset:256
	v_lshlrev_b32_e32 v6, 5, v75
	v_or_b32_e32 v0, v6, v10
	v_mov_b32_e32 v2, 0x1000
	v_mad_u64_u32 v[14:15], s[4:5], v74, s10, 0
	v_lshl_add_u32 v76, v0, 3, v2
	v_mov_b32_e32 v0, v15
	v_mad_u64_u32 v[0:1], s[4:5], v74, s11, v[0:1]
	s_lshl_b64 s[2:3], s[10:11], 8
	s_lshl_b64 s[4:5], s[22:23], 3
	;; [unrolled: 1-line block ×4, first 2 shown]
	s_add_u32 s8, s36, s8
	s_addc_u32 s9, s37, s9
	v_mov_b32_e32 v13, v11
	s_add_u32 s20, s20, s22
	v_mov_b32_e32 v15, v0
	v_lshl_add_u64 v[0:1], s[8:9], 0, v[12:13]
	s_mov_b64 s[8:9], 0x100
	s_addc_u32 s21, s21, s23
	v_lshl_add_u32 v78, v74, 3, v2
	v_lshl_add_u64 v[2:3], v[0:1], 0, s[8:9]
	v_mov_b64_e32 v[4:5], s[20:21]
	v_mad_u64_u32 v[18:19], s[20:21], s24, v2, v[4:5]
	s_mov_b64 s[20:21], 0x180
	s_nop 0
	v_lshl_add_u64 v[0:1], v[0:1], 0, s[20:21]
	v_mad_u64_u32 v[26:27], s[20:21], s24, v0, v[4:5]
	s_add_u32 s20, s14, s18
	s_addc_u32 s21, s15, s19
	s_add_u32 s12, s12, s36
	s_addc_u32 s13, s13, s37
	;; [unrolled: 2-line block ×3, first 2 shown]
	s_add_u32 s12, s22, s20
	v_mul_lo_u32 v3, s24, v3
	v_mul_lo_u32 v7, s25, v2
	;; [unrolled: 1-line block ×4, first 2 shown]
	s_addc_u32 s13, s23, s21
	v_add3_u32 v19, v7, v19, v3
	v_add3_u32 v27, v2, v27, v1
	v_or_b32_e32 v3, 8, v6
	v_mov_b64_e32 v[0:1], s[12:13]
	v_mad_u64_u32 v[28:29], s[12:13], s16, v3, v[0:1]
	v_mov_b32_e32 v2, v29
	v_mad_u64_u32 v[2:3], s[12:13], s17, v3, v[2:3]
	v_or_b32_e32 v3, 16, v6
	v_mad_u64_u32 v[30:31], s[12:13], s16, v3, v[0:1]
	v_mov_b32_e32 v29, v2
	v_mov_b32_e32 v2, v31
	v_mad_u64_u32 v[2:3], s[12:13], s17, v3, v[2:3]
	v_mov_b32_e32 v31, v2
	v_or_b32_e32 v2, 24, v6
	v_mad_u64_u32 v[32:33], s[12:13], s16, v2, v[0:1]
	v_mov_b32_e32 v0, v33
	v_mad_u64_u32 v[0:1], s[12:13], s17, v2, v[0:1]
	v_mov_b32_e32 v33, v0
	;; [unrolled: 2-line block ×3, first 2 shown]
	v_mad_u64_u32 v[2:3], s[12:13], s17, v75, v[2:3]
	s_add_u32 s12, s22, s18
	s_addc_u32 s13, s23, s19
	v_mov_b32_e32 v1, v2
	s_add_u32 s12, s12, s14
	v_lshlrev_b64 v[0:1], 5, v[0:1]
	s_addc_u32 s13, s13, s15
	v_mov_b64_e32 v[34:35], 0
	v_add_u32_e32 v77, 0x1800, v6
	v_lshl_add_u64 v[42:43], s[12:13], 0, v[0:1]
	v_mov_b64_e32 v[44:45], s[30:31]
	v_mov_b64_e32 v[40:41], v[34:35]
	;; [unrolled: 1-line block ×4, first 2 shown]
	s_waitcnt vmcnt(3)
	v_mov_b64_e32 v[46:47], v[16:17]
	s_waitcnt vmcnt(2)
	v_mov_b64_e32 v[48:49], v[20:21]
	s_waitcnt vmcnt(1)
	v_mov_b64_e32 v[50:51], v[22:23]
	s_waitcnt vmcnt(0)
	v_mov_b64_e32 v[52:53], v[24:25]
.LBB103_11:                             ; =>This Inner Loop Header: Depth=1
	v_lshl_add_u64 v[0:1], v[18:19], 0, s[4:5]
	global_load_dwordx2 v[56:57], v[0:1], off
	v_lshl_add_u64 v[0:1], v[26:27], 0, s[4:5]
	v_lshl_add_u64 v[66:67], v[42:43], 0, v[12:13]
	;; [unrolled: 1-line block ×5, first 2 shown]
	global_load_dwordx2 v[54:55], v[0:1], off
	global_load_dwordx2 v[58:59], v[66:67], off offset:384
	global_load_dwordx2 v[60:61], v[68:69], off offset:384
	global_load_dwordx2 v[62:63], v[70:71], off offset:384
	global_load_dwordx2 v[64:65], v[72:73], off offset:384
	ds_read_b128 v[4:7], v77
	ds_read_b128 v[0:3], v77 offset:16
	s_cmp_eq_u32 s33, 1
	s_cbranch_scc1 .LBB103_13
; %bb.12:                               ;   in Loop: Header=BB103_11 Depth=1
	global_load_dwordx2 v[46:47], v[66:67], off offset:512
	global_load_dwordx2 v[48:49], v[68:69], off offset:512
	;; [unrolled: 1-line block ×4, first 2 shown]
.LBB103_13:                             ;   in Loop: Header=BB103_11 Depth=1
	s_waitcnt lgkmcnt(1)
	v_fma_f64 v[66:67], v[16:17], v[4:5], 0
	s_waitcnt vmcnt(3)
	v_fma_f64 v[4:5], v[58:59], v[4:5], 0
	v_fmac_f64_e32 v[66:67], v[20:21], v[6:7]
	s_waitcnt vmcnt(2)
	v_fmac_f64_e32 v[4:5], v[60:61], v[6:7]
	s_waitcnt lgkmcnt(0)
	v_fmac_f64_e32 v[66:67], v[22:23], v[0:1]
	s_waitcnt vmcnt(1)
	v_fmac_f64_e32 v[4:5], v[62:63], v[0:1]
	v_fmac_f64_e32 v[66:67], v[24:25], v[2:3]
	s_waitcnt vmcnt(0)
	v_fmac_f64_e32 v[4:5], v[64:65], v[2:3]
	s_barrier
	ds_write2_b64 v76, v[66:67], v[4:5] offset1:16
	s_waitcnt lgkmcnt(0)
	s_barrier
	s_and_saveexec_b64 s[12:13], vcc
	s_cbranch_execz .LBB103_15
; %bb.14:                               ;   in Loop: Header=BB103_11 Depth=1
	ds_read2_b64 v[0:3], v78 offset1:32
	ds_read2_b64 v[4:7], v78 offset0:64 offset1:96
	ds_read2_b64 v[66:69], v78 offset0:128 offset1:160
	;; [unrolled: 1-line block ×3, first 2 shown]
	v_lshl_add_u64 v[44:45], v[44:45], 0, s[2:3]
	s_waitcnt lgkmcnt(3)
	v_add_f64 v[0:1], v[0:1], 0
	v_add_f64 v[0:1], v[0:1], v[2:3]
	s_waitcnt lgkmcnt(2)
	v_add_f64 v[0:1], v[0:1], v[4:5]
	v_add_f64 v[0:1], v[0:1], v[6:7]
	;; [unrolled: 3-line block ×4, first 2 shown]
	v_lshl_add_u64 v[2:3], v[14:15], 3, v[44:45]
	v_mul_f64 v[0:1], v[8:9], v[0:1]
	global_atomic_add_f64 v[2:3], v[0:1], off
.LBB103_15:                             ;   in Loop: Header=BB103_11 Depth=1
	s_or_b64 exec, exec, s[12:13]
	v_fmac_f64_e32 v[34:35], v[56:57], v[16:17]
	v_fmac_f64_e32 v[40:41], v[56:57], v[20:21]
	;; [unrolled: 1-line block ×4, first 2 shown]
	s_add_i32 s33, s33, -1
	v_fmac_f64_e32 v[34:35], v[54:55], v[58:59]
	v_fmac_f64_e32 v[40:41], v[54:55], v[60:61]
	;; [unrolled: 1-line block ×4, first 2 shown]
	v_lshl_add_u64 v[18:19], v[18:19], 0, s[6:7]
	v_lshl_add_u64 v[26:27], v[26:27], 0, s[6:7]
	;; [unrolled: 1-line block ×5, first 2 shown]
	s_cmp_eq_u32 s33, 0
	v_lshl_add_u64 v[42:43], v[42:43], 0, s[8:9]
	s_cbranch_scc1 .LBB103_17
; %bb.16:                               ;   in Loop: Header=BB103_11 Depth=1
	v_mov_b64_e32 v[16:17], v[46:47]
	v_mov_b64_e32 v[20:21], v[48:49]
	;; [unrolled: 1-line block ×4, first 2 shown]
	s_branch .LBB103_11
.LBB103_17:
	v_lshl_or_b32 v0, v75, 9, v12
	ds_write2_b64 v0, v[34:35], v[40:41] offset1:16
	ds_write2_b64 v0, v[38:39], v[36:37] offset0:32 offset1:48
	s_waitcnt lgkmcnt(0)
	s_barrier
	s_and_b64 exec, exec, vcc
	s_cbranch_execz .LBB103_19
; %bb.18:
	v_lshlrev_b32_e32 v14, 4, v74
	v_add_u32_e32 v1, 1, v74
	v_and_or_b32 v1, v1, 15, v14
	v_lshlrev_b32_e32 v2, 3, v1
	v_add_u32_e32 v1, 2, v74
	v_or_b32_e32 v15, v10, v14
	v_and_or_b32 v1, v1, 15, v14
	v_lshlrev_b32_e32 v0, 3, v15
	v_lshlrev_b32_e32 v4, 3, v1
	v_add_u32_e32 v1, 3, v74
	v_and_or_b32 v6, v1, 15, v14
	ds_read_b64 v[0:1], v0
	ds_read_b64 v[2:3], v2
	;; [unrolled: 1-line block ×3, first 2 shown]
	v_lshlrev_b32_e32 v6, 3, v6
	ds_read_b64 v[6:7], v6
	s_waitcnt lgkmcnt(3)
	v_add_f64 v[0:1], v[0:1], 0
	s_waitcnt lgkmcnt(2)
	v_add_f64 v[0:1], v[0:1], v[2:3]
	v_add_u32_e32 v3, 5, v74
	v_and_or_b32 v3, v3, 15, v14
	s_waitcnt lgkmcnt(1)
	v_add_f64 v[0:1], v[0:1], v[4:5]
	v_lshlrev_b32_e32 v4, 3, v3
	v_add_u32_e32 v3, 6, v74
	v_and_or_b32 v3, v3, 15, v14
	v_add_u32_e32 v2, 4, v74
	v_lshlrev_b32_e32 v10, 3, v3
	v_add_u32_e32 v3, 7, v74
	v_and_or_b32 v2, v2, 15, v14
	v_and_or_b32 v3, v3, 15, v14
	v_lshlrev_b32_e32 v2, 3, v2
	v_lshlrev_b32_e32 v12, 3, v3
	ds_read_b64 v[2:3], v2
	ds_read_b64 v[4:5], v4
	;; [unrolled: 1-line block ×4, first 2 shown]
	s_waitcnt lgkmcnt(4)
	v_add_f64 v[0:1], v[0:1], v[6:7]
	s_waitcnt lgkmcnt(3)
	v_add_f64 v[0:1], v[0:1], v[2:3]
	v_add_u32_e32 v3, 9, v74
	v_and_or_b32 v3, v3, 15, v14
	s_waitcnt lgkmcnt(2)
	v_add_f64 v[0:1], v[0:1], v[4:5]
	v_lshlrev_b32_e32 v4, 3, v3
	v_add_u32_e32 v3, 10, v74
	v_xor_b32_e32 v2, 8, v15
	v_and_or_b32 v3, v3, 15, v14
	v_lshlrev_b32_e32 v2, 3, v2
	v_lshlrev_b32_e32 v6, 3, v3
	v_add_u32_e32 v3, 11, v74
	s_waitcnt lgkmcnt(1)
	v_add_f64 v[0:1], v[0:1], v[10:11]
	v_and_or_b32 v10, v3, 15, v14
	ds_read_b64 v[2:3], v2
	ds_read_b64 v[4:5], v4
	;; [unrolled: 1-line block ×3, first 2 shown]
	s_waitcnt lgkmcnt(3)
	v_add_f64 v[0:1], v[0:1], v[12:13]
	v_lshlrev_b32_e32 v10, 3, v10
	s_waitcnt lgkmcnt(2)
	v_add_f64 v[0:1], v[0:1], v[2:3]
	v_add_u32_e32 v3, 13, v74
	v_and_or_b32 v3, v3, 15, v14
	s_waitcnt lgkmcnt(1)
	v_add_f64 v[0:1], v[0:1], v[4:5]
	v_lshlrev_b32_e32 v4, 3, v3
	v_add_u32_e32 v3, 14, v74
	ds_read_b64 v[10:11], v10
	v_and_or_b32 v3, v3, 15, v14
	s_waitcnt lgkmcnt(1)
	v_add_f64 v[0:1], v[0:1], v[6:7]
	v_add_u32_e32 v2, 12, v74
	v_lshlrev_b32_e32 v6, 3, v3
	v_add_u32_e32 v3, -1, v74
	v_and_or_b32 v2, v2, 15, v14
	v_and_or_b32 v3, v3, 15, v14
	v_lshlrev_b32_e32 v2, 3, v2
	v_lshlrev_b32_e32 v12, 3, v3
	ds_read_b64 v[2:3], v2
	ds_read_b64 v[4:5], v4
	;; [unrolled: 1-line block ×4, first 2 shown]
	s_waitcnt lgkmcnt(4)
	v_add_f64 v[0:1], v[0:1], v[10:11]
	s_waitcnt lgkmcnt(3)
	v_add_f64 v[0:1], v[0:1], v[2:3]
	v_mad_u64_u32 v[2:3], s[2:3], v74, s10, 0
	s_waitcnt lgkmcnt(2)
	v_add_f64 v[0:1], v[0:1], v[4:5]
	v_mov_b32_e32 v4, v3
	s_waitcnt lgkmcnt(1)
	v_add_f64 v[0:1], v[0:1], v[6:7]
	v_mad_u64_u32 v[4:5], s[2:3], v74, s11, v[4:5]
	s_waitcnt lgkmcnt(0)
	v_add_f64 v[0:1], v[0:1], v[12:13]
	v_mov_b32_e32 v3, v4
	v_lshl_add_u64 v[2:3], v[2:3], 3, s[0:1]
	v_mul_f64 v[0:1], v[8:9], v[0:1]
	global_atomic_add_f64 v[2:3], v[0:1], off
.LBB103_19:
	s_endpgm
	.section	.rodata,"a",@progbits
	.p2align	6, 0x0
	.amdhsa_kernel _ZL54rocblas_symv_kernel_lower_double_buffered_non_diagonalILi32ELi4ELi4E24rocblas_internal_val_ptrIdEPKdPdEvbiT2_lT3_lllS6_lllT4_llli
		.amdhsa_group_segment_fixed_size 6400
		.amdhsa_private_segment_fixed_size 0
		.amdhsa_kernarg_size 384
		.amdhsa_user_sgpr_count 2
		.amdhsa_user_sgpr_dispatch_ptr 0
		.amdhsa_user_sgpr_queue_ptr 0
		.amdhsa_user_sgpr_kernarg_segment_ptr 1
		.amdhsa_user_sgpr_dispatch_id 0
		.amdhsa_user_sgpr_kernarg_preload_length 0
		.amdhsa_user_sgpr_kernarg_preload_offset 0
		.amdhsa_user_sgpr_private_segment_size 0
		.amdhsa_uses_dynamic_stack 0
		.amdhsa_enable_private_segment 0
		.amdhsa_system_sgpr_workgroup_id_x 1
		.amdhsa_system_sgpr_workgroup_id_y 1
		.amdhsa_system_sgpr_workgroup_id_z 1
		.amdhsa_system_sgpr_workgroup_info 0
		.amdhsa_system_vgpr_workitem_id 1
		.amdhsa_next_free_vgpr 79
		.amdhsa_next_free_sgpr 38
		.amdhsa_accum_offset 80
		.amdhsa_reserve_vcc 1
		.amdhsa_float_round_mode_32 0
		.amdhsa_float_round_mode_16_64 0
		.amdhsa_float_denorm_mode_32 3
		.amdhsa_float_denorm_mode_16_64 3
		.amdhsa_dx10_clamp 1
		.amdhsa_ieee_mode 1
		.amdhsa_fp16_overflow 0
		.amdhsa_tg_split 0
		.amdhsa_exception_fp_ieee_invalid_op 0
		.amdhsa_exception_fp_denorm_src 0
		.amdhsa_exception_fp_ieee_div_zero 0
		.amdhsa_exception_fp_ieee_overflow 0
		.amdhsa_exception_fp_ieee_underflow 0
		.amdhsa_exception_fp_ieee_inexact 0
		.amdhsa_exception_int_div_zero 0
	.end_amdhsa_kernel
	.section	.text._ZL54rocblas_symv_kernel_lower_double_buffered_non_diagonalILi32ELi4ELi4E24rocblas_internal_val_ptrIdEPKdPdEvbiT2_lT3_lllS6_lllT4_llli,"axG",@progbits,_ZL54rocblas_symv_kernel_lower_double_buffered_non_diagonalILi32ELi4ELi4E24rocblas_internal_val_ptrIdEPKdPdEvbiT2_lT3_lllS6_lllT4_llli,comdat
.Lfunc_end103:
	.size	_ZL54rocblas_symv_kernel_lower_double_buffered_non_diagonalILi32ELi4ELi4E24rocblas_internal_val_ptrIdEPKdPdEvbiT2_lT3_lllS6_lllT4_llli, .Lfunc_end103-_ZL54rocblas_symv_kernel_lower_double_buffered_non_diagonalILi32ELi4ELi4E24rocblas_internal_val_ptrIdEPKdPdEvbiT2_lT3_lllS6_lllT4_llli
                                        ; -- End function
	.section	.AMDGPU.csdata,"",@progbits
; Kernel info:
; codeLenInByte = 2440
; NumSgprs: 44
; NumVgprs: 79
; NumAgprs: 0
; TotalNumVgprs: 79
; ScratchSize: 0
; MemoryBound: 0
; FloatMode: 240
; IeeeMode: 1
; LDSByteSize: 6400 bytes/workgroup (compile time only)
; SGPRBlocks: 5
; VGPRBlocks: 9
; NumSGPRsForWavesPerEU: 44
; NumVGPRsForWavesPerEU: 79
; AccumOffset: 80
; Occupancy: 5
; WaveLimiterHint : 0
; COMPUTE_PGM_RSRC2:SCRATCH_EN: 0
; COMPUTE_PGM_RSRC2:USER_SGPR: 2
; COMPUTE_PGM_RSRC2:TRAP_HANDLER: 0
; COMPUTE_PGM_RSRC2:TGID_X_EN: 1
; COMPUTE_PGM_RSRC2:TGID_Y_EN: 1
; COMPUTE_PGM_RSRC2:TGID_Z_EN: 1
; COMPUTE_PGM_RSRC2:TIDIG_COMP_CNT: 1
; COMPUTE_PGM_RSRC3_GFX90A:ACCUM_OFFSET: 19
; COMPUTE_PGM_RSRC3_GFX90A:TG_SPLIT: 0
	.section	.text._ZL58rocblas_symv_kernel_lower_double_buffered_diagonal_genericILi32ELi4E24rocblas_internal_val_ptrIdEPKdPdEvbiT1_lT2_lllS6_lllS5_lT3_lllii,"axG",@progbits,_ZL58rocblas_symv_kernel_lower_double_buffered_diagonal_genericILi32ELi4E24rocblas_internal_val_ptrIdEPKdPdEvbiT1_lT2_lllS6_lllS5_lT3_lllii,comdat
	.globl	_ZL58rocblas_symv_kernel_lower_double_buffered_diagonal_genericILi32ELi4E24rocblas_internal_val_ptrIdEPKdPdEvbiT1_lT2_lllS6_lllS5_lT3_lllii ; -- Begin function _ZL58rocblas_symv_kernel_lower_double_buffered_diagonal_genericILi32ELi4E24rocblas_internal_val_ptrIdEPKdPdEvbiT1_lT2_lllS6_lllS5_lT3_lllii
	.p2align	8
	.type	_ZL58rocblas_symv_kernel_lower_double_buffered_diagonal_genericILi32ELi4E24rocblas_internal_val_ptrIdEPKdPdEvbiT1_lT2_lllS6_lllS5_lT3_lllii,@function
_ZL58rocblas_symv_kernel_lower_double_buffered_diagonal_genericILi32ELi4E24rocblas_internal_val_ptrIdEPKdPdEvbiT1_lT2_lllS6_lllS5_lT3_lllii: ; @_ZL58rocblas_symv_kernel_lower_double_buffered_diagonal_genericILi32ELi4E24rocblas_internal_val_ptrIdEPKdPdEvbiT1_lT2_lllS6_lllS5_lT3_lllii
; %bb.0:
	s_load_dword s20, s[0:1], 0x0
	s_load_dwordx16 s[4:19], s[0:1], 0x8
	s_waitcnt lgkmcnt(0)
	s_bitcmp1_b32 s20, 0
	s_load_dwordx8 s[20:27], s[0:1], 0x48
	s_cselect_b64 s[30:31], -1, 0
	s_xor_b64 s[28:29], s[30:31], -1
	s_and_b64 vcc, exec, s[30:31]
	v_mov_b64_e32 v[4:5], s[4:5]
	s_cbranch_vccnz .LBB104_2
; %bb.1:
	s_mul_i32 s7, s3, s7
	s_mul_hi_u32 s30, s3, s6
	s_add_i32 s7, s30, s7
	s_mul_i32 s6, s3, s6
	s_lshl_b64 s[6:7], s[6:7], 3
	s_add_u32 s4, s4, s6
	s_addc_u32 s5, s5, s7
	v_mov_b64_e32 v[2:3], s[4:5]
	flat_load_dwordx2 v[4:5], v[2:3]
.LBB104_2:
	s_andn2_b64 vcc, exec, s[28:29]
	s_waitcnt lgkmcnt(0)
	v_mov_b64_e32 v[2:3], s[24:25]
	s_cbranch_vccnz .LBB104_4
; %bb.3:
	s_mul_i32 s4, s3, s27
	s_mul_hi_u32 s5, s3, s26
	s_add_i32 s5, s5, s4
	s_mul_i32 s4, s3, s26
	s_lshl_b64 s[4:5], s[4:5], 3
	s_add_u32 s4, s24, s4
	s_addc_u32 s5, s25, s5
	v_mov_b64_e32 v[2:3], s[4:5]
	flat_load_dwordx2 v[2:3], v[2:3]
.LBB104_4:
	s_waitcnt vmcnt(0)
	v_cmp_neq_f64_e32 vcc, 0, v[4:5]
	s_waitcnt lgkmcnt(0)
	v_cmp_neq_f64_e64 s[4:5], 1.0, v[2:3]
	s_or_b64 s[4:5], vcc, s[4:5]
	s_and_saveexec_b64 s[6:7], s[4:5]
	s_cbranch_execz .LBB104_68
; %bb.5:
	s_load_dwordx2 s[24:25], s[0:1], 0x80
	s_load_dwordx2 s[26:27], s[0:1], 0x68
	s_load_dwordx4 s[4:7], s[0:1], 0x70
	s_load_dword s33, s[0:1], 0x88
	v_and_b32_e32 v18, 0x3ff, v0
	s_waitcnt lgkmcnt(0)
	s_mul_i32 s25, s3, s25
	s_mul_hi_u32 s28, s3, s24
	s_add_i32 s25, s28, s25
	s_mul_i32 s24, s3, s24
	s_lshl_b64 s[24:25], s[24:25], 3
	s_add_u32 s24, s26, s24
	s_addc_u32 s25, s27, s25
	s_lshl_b64 s[4:5], s[4:5], 3
	s_add_u32 s24, s24, s4
	s_addc_u32 s25, s25, s5
	s_lshl_b32 s34, s2, 5
	s_ashr_i32 s35, s34, 31
	s_mul_i32 s4, s34, s7
	s_mul_hi_u32 s5, s34, s6
	s_add_i32 s4, s5, s4
	s_mul_i32 s5, s35, s6
	s_add_i32 s5, s4, s5
	s_mul_i32 s4, s34, s6
	s_lshl_b64 s[4:5], s[4:5], 3
	s_add_u32 s4, s24, s4
	v_bfe_u32 v19, v0, 10, 10
	s_addc_u32 s5, s25, s5
	v_cmp_eq_f64_e32 vcc, 0, v[4:5]
	s_and_saveexec_b64 s[24:25], vcc
	s_xor_b64 s[24:25], exec, s[24:25]
	s_cbranch_execz .LBB104_12
; %bb.6:
	v_cmp_eq_u32_e32 vcc, 0, v19
	s_and_saveexec_b64 s[26:27], vcc
	s_cbranch_execz .LBB104_11
; %bb.7:
	v_cmp_gt_i32_e64 s[28:29], s33, v18
	v_cmp_le_i32_e32 vcc, s33, v18
	s_and_saveexec_b64 s[30:31], vcc
	s_cbranch_execz .LBB104_9
; %bb.8:
	s_load_dword s36, s[0:1], 0x90
	s_waitcnt lgkmcnt(0)
	s_add_i32 s36, s36, -1
	s_cmp_lt_u32 s2, s36
	s_cselect_b64 s[36:37], -1, 0
	s_andn2_b64 s[28:29], s[28:29], exec
	s_and_b64 s[36:37], s[36:37], exec
	s_or_b64 s[28:29], s[28:29], s[36:37]
.LBB104_9:
	s_or_b64 exec, exec, s[30:31]
	s_and_b64 exec, exec, s[28:29]
	s_cbranch_execz .LBB104_11
; %bb.10:
	v_mad_u64_u32 v[0:1], s[28:29], v18, s6, 0
	v_mov_b32_e32 v4, v1
	v_mad_u64_u32 v[4:5], s[28:29], v18, s7, v[4:5]
	v_mov_b32_e32 v1, v4
	v_lshl_add_u64 v[0:1], v[0:1], 3, s[4:5]
	global_load_dwordx2 v[4:5], v[0:1], off
	s_waitcnt vmcnt(0)
	v_mul_f64 v[2:3], v[2:3], v[4:5]
	global_store_dwordx2 v[0:1], v[2:3], off
.LBB104_11:
	s_or_b64 exec, exec, s[26:27]
                                        ; implicit-def: $vgpr19
                                        ; implicit-def: $vgpr18
                                        ; implicit-def: $vgpr4_vgpr5
                                        ; implicit-def: $vgpr2_vgpr3
.LBB104_12:
	s_andn2_saveexec_b64 s[24:25], s[24:25]
	s_cbranch_execz .LBB104_68
; %bb.13:
	s_mul_i32 s23, s3, s23
	s_mul_hi_u32 s24, s3, s22
	s_add_i32 s23, s24, s23
	s_mul_i32 s22, s3, s22
	s_lshl_b64 s[22:23], s[22:23], 3
	s_add_u32 s22, s16, s22
	s_addc_u32 s23, s17, s23
	s_lshl_b64 s[16:17], s[18:19], 3
	s_add_u32 s18, s22, s16
	s_addc_u32 s19, s23, s17
	s_mul_i32 s16, s34, s21
	s_mul_hi_u32 s17, s34, s20
	s_load_dword s22, s[0:1], 0x90
	s_add_i32 s16, s17, s16
	s_mul_i32 s17, s35, s20
	s_add_i32 s17, s16, s17
	s_mul_i32 s16, s34, s20
	s_lshl_b64 s[0:1], s[16:17], 3
	s_add_u32 s18, s18, s0
	s_addc_u32 s19, s19, s1
	s_waitcnt lgkmcnt(0)
	s_add_i32 s22, s22, -1
	s_cmp_lg_u32 s2, s22
	s_cselect_b64 s[16:17], -1, 0
	v_cmp_eq_u32_e64 s[0:1], 0, v19
	s_and_b64 vcc, exec, s[16:17]
	s_cbranch_vccz .LBB104_19
; %bb.14:
	v_mov_b64_e32 v[0:1], 0
	s_and_saveexec_b64 s[22:23], s[0:1]
	s_cbranch_execz .LBB104_18
; %bb.15:
	v_mad_u64_u32 v[0:1], s[24:25], v18, s20, 0
	v_mov_b32_e32 v6, v1
	v_mad_u64_u32 v[6:7], s[24:25], v18, s21, v[6:7]
	v_mov_b32_e32 v1, v6
	v_lshl_add_u64 v[0:1], v[0:1], 3, s[18:19]
	global_load_dwordx2 v[0:1], v[0:1], off
	v_lshlrev_b32_e32 v6, 3, v18
	v_cmp_neq_f64_e32 vcc, 0, v[2:3]
	s_waitcnt vmcnt(0)
	ds_write_b64 v6, v[0:1] offset:10240
	v_mov_b64_e32 v[0:1], 0
	s_and_saveexec_b64 s[24:25], vcc
	s_cbranch_execz .LBB104_17
; %bb.16:
	v_mad_u64_u32 v[0:1], s[26:27], v18, s6, 0
	v_mov_b32_e32 v6, v1
	v_mad_u64_u32 v[6:7], s[26:27], v18, s7, v[6:7]
	v_mov_b32_e32 v1, v6
	v_lshl_add_u64 v[0:1], v[0:1], 3, s[4:5]
	global_load_dwordx2 v[0:1], v[0:1], off
	s_waitcnt vmcnt(0)
	v_mul_f64 v[0:1], v[2:3], v[0:1]
.LBB104_17:
	s_or_b64 exec, exec, s[24:25]
.LBB104_18:
	s_or_b64 exec, exec, s[22:23]
	s_cbranch_execz .LBB104_20
	s_branch .LBB104_29
.LBB104_19:
                                        ; implicit-def: $vgpr0_vgpr1
.LBB104_20:
	v_mov_b64_e32 v[0:1], 0
	s_and_saveexec_b64 s[22:23], s[0:1]
	s_cbranch_execz .LBB104_28
; %bb.21:
	v_cmp_le_i32_e32 vcc, s33, v18
                                        ; implicit-def: $sgpr26_sgpr27
	s_and_saveexec_b64 s[24:25], vcc
	s_xor_b64 s[24:25], exec, s[24:25]
	s_cbranch_execz .LBB104_23
; %bb.22:
	v_mov_b32_e32 v0, 0
	v_lshlrev_b32_e32 v6, 3, v18
	v_mov_b32_e32 v1, v0
	ds_write_b64 v6, v[0:1] offset:10240
	s_mov_b64 s[26:27], 0
.LBB104_23:
	s_or_saveexec_b64 s[24:25], s[24:25]
	v_mov_b64_e32 v[0:1], s[26:27]
	s_xor_b64 exec, exec, s[24:25]
	s_cbranch_execz .LBB104_27
; %bb.24:
	v_mad_u64_u32 v[0:1], s[26:27], v18, s20, 0
	v_mov_b32_e32 v6, v1
	v_mad_u64_u32 v[6:7], s[20:21], v18, s21, v[6:7]
	v_mov_b32_e32 v1, v6
	v_lshl_add_u64 v[0:1], v[0:1], 3, s[18:19]
	global_load_dwordx2 v[0:1], v[0:1], off
	v_lshlrev_b32_e32 v6, 3, v18
	v_cmp_neq_f64_e32 vcc, 0, v[2:3]
	s_waitcnt vmcnt(0)
	ds_write_b64 v6, v[0:1] offset:10240
	v_mov_b64_e32 v[0:1], 0
	s_and_saveexec_b64 s[18:19], vcc
	s_cbranch_execz .LBB104_26
; %bb.25:
	v_mad_u64_u32 v[0:1], s[20:21], v18, s6, 0
	v_mov_b32_e32 v6, v1
	v_mad_u64_u32 v[6:7], s[20:21], v18, s7, v[6:7]
	v_mov_b32_e32 v1, v6
	v_lshl_add_u64 v[0:1], v[0:1], 3, s[4:5]
	global_load_dwordx2 v[0:1], v[0:1], off
	s_waitcnt vmcnt(0)
	v_mul_f64 v[0:1], v[2:3], v[0:1]
.LBB104_26:
	s_or_b64 exec, exec, s[18:19]
.LBB104_27:
	s_or_b64 exec, exec, s[24:25]
.LBB104_28:
	s_or_b64 exec, exec, s[22:23]
.LBB104_29:
	s_mul_i32 s2, s3, s15
	s_mul_hi_u32 s15, s3, s14
	s_add_i32 s15, s15, s2
	s_mul_i32 s14, s3, s14
	s_lshl_b64 s[14:15], s[14:15], 3
	s_add_u32 s2, s8, s14
	s_addc_u32 s3, s9, s15
	s_lshl_b64 s[10:11], s[10:11], 3
	s_add_u32 s20, s2, s10
	s_addc_u32 s21, s3, s11
	s_add_u32 s2, s12, 1
	s_addc_u32 s3, s13, 0
	s_mul_i32 s18, s2, s35
	s_mul_hi_u32 s19, s2, s34
	s_add_i32 s18, s19, s18
	s_mul_i32 s3, s3, s34
	s_add_i32 s3, s18, s3
	s_mul_i32 s2, s2, s34
	s_lshl_b64 s[18:19], s[2:3], 3
	s_add_u32 s2, s20, s18
	s_addc_u32 s3, s21, s19
	v_mad_u64_u32 v[8:9], s[20:21], v19, s12, 0
	v_mov_b32_e32 v7, 0
	v_mov_b32_e32 v6, v9
	v_mad_u64_u32 v[10:11], s[20:21], v19, s13, v[6:7]
	v_mov_b32_e32 v9, v10
	v_lshl_add_u64 v[10:11], v[8:9], 3, s[2:3]
	v_lshlrev_b32_e32 v6, 3, v18
	v_lshl_add_u32 v21, v19, 5, v18
	v_lshl_add_u64 v[8:9], v[10:11], 0, v[6:7]
	s_andn2_b64 vcc, exec, s[16:17]
	v_lshlrev_b32_e32 v20, 3, v21
	s_cbranch_vccnz .LBB104_31
; %bb.30:
	s_lshl_b64 s[2:3], s[12:13], 5
	v_lshl_add_u64 v[12:13], v[8:9], 0, s[2:3]
	v_mov_b32_e32 v7, 0x60
	global_load_dwordx2 v[14:15], v[8:9], off
	global_load_dwordx2 v[16:17], v[12:13], off
	v_lshl_add_u64 v[12:13], v[12:13], 0, s[2:3]
	v_mad_u64_u32 v[24:25], s[2:3], s12, v7, v[8:9]
	s_mul_i32 s2, s13, 0x60
	s_nop 0
	v_add_u32_e32 v25, s2, v25
	s_lshl_b64 s[2:3], s[12:13], 6
	v_mov_b32_e32 v7, 0xa0
	global_load_dwordx2 v[22:23], v[12:13], off
	v_lshl_add_u64 v[12:13], v[12:13], 0, s[2:3]
	v_mad_u64_u32 v[26:27], s[2:3], s12, v7, v[8:9]
	s_mul_i32 s2, s13, 0xa0
	v_mov_b32_e32 v7, 0xc0
	v_add_u32_e32 v27, s2, v27
	v_mad_u64_u32 v[28:29], s[2:3], s12, v7, v[8:9]
	s_mul_i32 s2, s13, 0xc0
	s_nop 0
	v_add_u32_e32 v29, s2, v29
	global_load_dwordx2 v[30:31], v[24:25], off
	global_load_dwordx2 v[32:33], v[26:27], off
	;; [unrolled: 1-line block ×4, first 2 shown]
	v_mov_b32_e32 v12, 0xe0
	s_mul_i32 s22, s13, 0xe0
	v_mad_u64_u32 v[12:13], s[2:3], s12, v12, v[8:9]
	v_lshlrev_b32_e32 v24, 3, v21
	v_add_u32_e32 v7, 0x380, v21
	v_add_u32_e32 v13, s22, v13
	s_mov_b64 s[2:3], -1
	s_waitcnt vmcnt(5)
	ds_write2st64_b64 v24, v[14:15], v[16:17] offset1:2
	s_waitcnt vmcnt(3)
	ds_write2st64_b64 v24, v[22:23], v[30:31] offset0:4 offset1:6
	s_waitcnt vmcnt(1)
	ds_write_b64 v24, v[34:35] offset:6144
	s_waitcnt vmcnt(0)
	ds_write2st64_b64 v24, v[36:37], v[32:33] offset0:8 offset1:10
	s_cbranch_execz .LBB104_32
	s_branch .LBB104_44
.LBB104_31:
	s_mov_b64 s[2:3], 0
                                        ; implicit-def: $vgpr12_vgpr13
                                        ; implicit-def: $vgpr7
.LBB104_32:
	s_mov_b32 s22, 0
	s_mov_b32 s23, s22
	v_mov_b64_e32 v[12:13], s[22:23]
	v_cmp_gt_i32_e32 vcc, s33, v18
	ds_write2st64_b64 v20, v[12:13], v[12:13] offset1:2
	ds_write2st64_b64 v20, v[12:13], v[12:13] offset0:4 offset1:6
	ds_write2st64_b64 v20, v[12:13], v[12:13] offset0:8 offset1:10
	;; [unrolled: 1-line block ×3, first 2 shown]
                                        ; implicit-def: $vgpr12_vgpr13
                                        ; implicit-def: $vgpr7
	s_and_saveexec_b64 s[20:21], vcc
	s_cbranch_execz .LBB104_43
; %bb.33:
	s_cmp_lt_u32 s33, 4
	s_cbranch_scc1 .LBB104_40
; %bb.34:
	s_lshr_b32 s22, s33, 2
	s_add_i32 s23, s22, -1
	s_cmp_lt_u32 s23, 3
	s_mov_b32 s23, 0
	s_cbranch_scc1 .LBB104_37
; %bb.35:
	s_and_b32 s23, s22, 0x3ffffffc
	s_add_u32 s24, s18, s14
	s_addc_u32 s25, s19, s15
	s_add_u32 s26, s8, s10
	s_addc_u32 s27, s9, s11
	s_add_u32 s24, s26, s24
	v_lshlrev_b32_e32 v24, 3, v19
	s_addc_u32 s25, s27, s25
	v_add_u32_e32 v15, 0x60, v24
	v_mov_b64_e32 v[16:17], s[24:25]
	v_mad_u64_u32 v[12:13], s[24:25], s12, v15, v[16:17]
	v_mov_b32_e32 v14, v13
	v_mad_u64_u32 v[14:15], s[24:25], s13, v15, v[14:15]
	v_add_u32_e32 v23, 64, v24
	v_mov_b32_e32 v13, v14
	v_mad_u64_u32 v[14:15], s[26:27], s12, v23, v[16:17]
	v_mov_b32_e32 v22, v15
	v_mad_u64_u32 v[22:23], s[26:27], s13, v23, v[22:23]
	v_add_u32_e32 v23, 32, v24
	v_mad_u64_u32 v[16:17], s[26:27], s12, v23, v[16:17]
	v_mov_b32_e32 v15, v22
	v_mov_b32_e32 v22, v17
	v_mad_u64_u32 v[22:23], s[26:27], s13, v23, v[22:23]
	v_mov_b32_e32 v7, 0
	s_lshl_b64 s[24:25], s[12:13], 7
	v_mov_b32_e32 v17, v22
	s_mov_b32 s26, 0
	v_mov_b32_e32 v22, v20
.LBB104_36:                             ; =>This Inner Loop Header: Depth=1
	v_lshl_add_u64 v[24:25], v[10:11], 0, v[6:7]
	v_lshl_add_u64 v[26:27], v[16:17], 0, v[6:7]
	v_lshl_add_u64 v[28:29], v[14:15], 0, v[6:7]
	v_lshl_add_u64 v[30:31], v[12:13], 0, v[6:7]
	global_load_dwordx2 v[32:33], v[24:25], off
	global_load_dwordx2 v[34:35], v[26:27], off
	;; [unrolled: 1-line block ×4, first 2 shown]
	s_add_i32 s26, s26, 4
	v_lshl_add_u64 v[12:13], v[12:13], 0, s[24:25]
	v_lshl_add_u64 v[14:15], v[14:15], 0, s[24:25]
	;; [unrolled: 1-line block ×4, first 2 shown]
	s_cmp_lg_u32 s23, s26
	s_waitcnt vmcnt(2)
	ds_write2st64_b64 v22, v[32:33], v[34:35] offset1:2
	s_waitcnt vmcnt(0)
	ds_write2st64_b64 v22, v[36:37], v[38:39] offset0:4 offset1:6
	v_add_u32_e32 v22, 0x1000, v22
	s_cbranch_scc1 .LBB104_36
.LBB104_37:
	s_bfe_u32 s26, s33, 0x20002
	s_cmp_eq_u32 s26, 0
	s_mov_b32 s25, 0
	s_cbranch_scc1 .LBB104_40
; %bb.38:
	s_lshl_b32 s24, s23, 10
	v_lshlrev_b32_e32 v7, 8, v19
	s_add_u32 s14, s18, s14
	v_add3_u32 v12, s24, v7, v6
	s_addc_u32 s15, s19, s15
	s_lshl_b32 s24, s23, 2
	s_add_u32 s10, s10, s14
	v_lshlrev_b32_e32 v10, 3, v19
	v_mov_b32_e32 v11, 0
	s_addc_u32 s11, s11, s15
	v_lshl_add_u64 v[14:15], s[24:25], 3, v[10:11]
	v_mov_b64_e32 v[16:17], s[10:11]
	v_mad_u64_u32 v[16:17], s[10:11], s12, v14, v[16:17]
	v_mul_lo_u32 v7, s12, v15
	v_mul_lo_u32 v10, s13, v14
	v_add3_u32 v17, v10, v17, v7
	v_mov_b32_e32 v7, v11
	v_lshl_add_u64 v[10:11], v[16:17], 0, v[6:7]
	v_lshl_add_u64 v[10:11], s[8:9], 0, v[10:11]
	s_lshl_b64 s[8:9], s[12:13], 5
.LBB104_39:                             ; =>This Inner Loop Header: Depth=1
	global_load_dwordx2 v[14:15], v[10:11], off
	s_add_i32 s26, s26, -1
	v_lshl_add_u64 v[10:11], v[10:11], 0, s[8:9]
	s_cmp_lg_u32 s26, 0
	s_waitcnt vmcnt(0)
	ds_write_b64 v12, v[14:15]
	v_add_u32_e32 v12, 0x400, v12
	s_cbranch_scc1 .LBB104_39
.LBB104_40:
	s_and_b32 s8, s33, 3
	v_cmp_gt_u32_e32 vcc, s8, v19
	s_mov_b64 s[10:11], s[2:3]
                                        ; implicit-def: $vgpr12_vgpr13
                                        ; implicit-def: $vgpr7
	s_and_saveexec_b64 s[8:9], vcc
; %bb.41:
	s_lshl_b32 s10, s22, 2
	s_mul_i32 s11, s10, s13
	s_mul_hi_u32 s13, s10, s12
	s_add_i32 s11, s13, s11
	s_mul_i32 s10, s10, s12
	v_lshl_add_u64 v[12:13], s[10:11], 3, v[8:9]
	v_lshl_add_u32 v7, s22, 7, v21
	s_or_b64 s[10:11], s[2:3], exec
; %bb.42:
	s_or_b64 exec, exec, s[8:9]
	s_andn2_b64 s[2:3], s[2:3], exec
	s_and_b64 s[8:9], s[10:11], exec
	s_or_b64 s[2:3], s[2:3], s[8:9]
.LBB104_43:
	s_or_b64 exec, exec, s[20:21]
.LBB104_44:
	s_and_saveexec_b64 s[8:9], s[2:3]
	s_cbranch_execz .LBB104_46
; %bb.45:
	global_load_dwordx2 v[8:9], v[12:13], off
	v_lshlrev_b32_e32 v7, 3, v7
	s_waitcnt vmcnt(0)
	ds_write_b64 v7, v[8:9]
.LBB104_46:
	s_or_b64 exec, exec, s[8:9]
	v_cmp_ge_u32_e32 vcc, v18, v19
	v_lshlrev_b32_e32 v8, 5, v18
	s_waitcnt lgkmcnt(0)
	s_barrier
	s_and_saveexec_b64 s[2:3], vcc
	s_xor_b64 s[2:3], exec, s[2:3]
; %bb.47:
	v_lshlrev_b32_e32 v8, 5, v18
; %bb.48:
	s_andn2_saveexec_b64 s[2:3], s[2:3]
	s_cbranch_execz .LBB104_50
; %bb.49:
	v_add_lshl_u32 v7, v8, v19, 3
	ds_read_b64 v[10:11], v7
	s_waitcnt lgkmcnt(0)
	ds_write_b64 v20, v[10:11]
.LBB104_50:
	s_or_b64 exec, exec, s[2:3]
	v_sub_u32_e32 v7, v18, v19
	v_sub_u32_e32 v9, 0, v7
	v_max_i32_e32 v10, v7, v9
	v_cmp_gt_u32_e32 vcc, 4, v10
	v_lshlrev_b32_e32 v7, 5, v19
	v_add_lshl_u32 v9, v8, v19, 3
	s_and_saveexec_b64 s[2:3], vcc
	s_cbranch_execnz .LBB104_69
; %bb.51:
	s_or_b64 exec, exec, s[2:3]
	v_cmp_gt_u32_e32 vcc, 8, v10
	s_and_saveexec_b64 s[2:3], vcc
	s_cbranch_execnz .LBB104_70
.LBB104_52:
	s_or_b64 exec, exec, s[2:3]
	v_cmp_gt_u32_e32 vcc, 12, v10
	s_and_saveexec_b64 s[2:3], vcc
	s_cbranch_execz .LBB104_54
.LBB104_53:
	ds_read_b64 v[12:13], v9 offset:96
	v_add_lshl_u32 v8, v7, v18, 3
	s_waitcnt lgkmcnt(0)
	ds_write_b64 v8, v[12:13] offset:3072
.LBB104_54:
	s_or_b64 exec, exec, s[2:3]
	v_add_u32_e32 v8, 16, v19
	v_cmp_gt_u32_e32 vcc, 16, v10
	v_lshlrev_b32_e32 v8, 5, v8
	s_and_saveexec_b64 s[2:3], vcc
	s_cbranch_execnz .LBB104_71
; %bb.55:
	s_or_b64 exec, exec, s[2:3]
	v_cmp_gt_u32_e32 vcc, 20, v10
	s_and_saveexec_b64 s[2:3], vcc
	s_cbranch_execnz .LBB104_72
.LBB104_56:
	s_or_b64 exec, exec, s[2:3]
	v_cmp_gt_u32_e32 vcc, 24, v10
	s_and_saveexec_b64 s[2:3], vcc
	s_cbranch_execz .LBB104_58
.LBB104_57:
	ds_read_b64 v[12:13], v9 offset:192
	s_waitcnt lgkmcnt(0)
	ds_write_b64 v20, v[12:13] offset:6144
.LBB104_58:
	s_or_b64 exec, exec, s[2:3]
	v_cmp_lt_u32_e32 vcc, 27, v10
	v_add_u32_e32 v11, 28, v19
                                        ; implicit-def: $vgpr10
	s_and_saveexec_b64 s[2:3], vcc
	s_xor_b64 s[2:3], exec, s[2:3]
; %bb.59:
	v_add_u32_e32 v11, 28, v19
	v_lshl_add_u32 v10, v11, 5, v18
                                        ; implicit-def: $vgpr9
; %bb.60:
	s_andn2_saveexec_b64 s[2:3], s[2:3]
	s_cbranch_execz .LBB104_62
; %bb.61:
	ds_read_b64 v[12:13], v9 offset:224
	v_lshl_add_u32 v10, v11, 5, v18
	v_lshlrev_b32_e32 v9, 3, v10
	s_waitcnt lgkmcnt(0)
	ds_write_b64 v9, v[12:13]
.LBB104_62:
	s_or_b64 exec, exec, s[2:3]
	v_lshlrev_b32_e32 v19, 3, v19
	v_add_u32_e32 v9, 0x2800, v19
	s_waitcnt lgkmcnt(0)
	s_barrier
	ds_read2_b64 v[12:15], v9 offset1:4
	v_add_lshl_u32 v7, v7, v18, 3
	ds_read_b64 v[16:17], v20
	ds_read2st64_b64 v[22:25], v7 offset0:2 offset1:4
	v_lshlrev_b32_e32 v11, 3, v11
	ds_read_b64 v[34:35], v11 offset:10240
	v_add_lshl_u32 v11, v8, v18, 3
	s_waitcnt lgkmcnt(2)
	v_fma_f64 v[16:17], v[16:17], v[12:13], 0
	s_waitcnt lgkmcnt(1)
	v_fmac_f64_e32 v[16:17], v[22:23], v[14:15]
	ds_read2_b64 v[12:15], v9 offset0:8 offset1:12
	ds_read2st64_b64 v[26:29], v7 offset0:6 offset1:10
	ds_read2_b64 v[30:33], v9 offset0:16 offset1:20
	v_lshlrev_b32_e32 v8, 3, v10
	ds_read_b64 v[8:9], v8
	ds_read_b64 v[10:11], v11
	ds_read_b64 v[22:23], v7 offset:6144
	ds_read_b64 v[36:37], v19 offset:10432
	s_waitcnt lgkmcnt(6)
	v_fmac_f64_e32 v[16:17], v[24:25], v[12:13]
	s_waitcnt lgkmcnt(5)
	v_fmac_f64_e32 v[16:17], v[26:27], v[14:15]
	;; [unrolled: 2-line block ×3, first 2 shown]
	v_fmac_f64_e32 v[16:17], v[28:29], v[32:33]
	s_waitcnt lgkmcnt(0)
	v_fmac_f64_e32 v[16:17], v[22:23], v[36:37]
	v_fmac_f64_e32 v[16:17], v[8:9], v[34:35]
	ds_write_b64 v20, v[16:17] offset:8192
	s_waitcnt lgkmcnt(0)
	s_barrier
	s_and_saveexec_b64 s[2:3], s[0:1]
	s_cbranch_execz .LBB104_68
; %bb.63:
	v_add_u32_e32 v10, 0x2000, v6
	ds_read2_b64 v[6:9], v10 offset1:32
	ds_read2_b64 v[10:13], v10 offset0:64 offset1:96
	v_cmp_neq_f64_e32 vcc, 0, v[2:3]
	s_mov_b64 s[0:1], -1
	s_waitcnt lgkmcnt(1)
	v_add_f64 v[6:7], v[6:7], 0
	v_add_f64 v[6:7], v[6:7], v[8:9]
	s_waitcnt lgkmcnt(0)
	v_add_f64 v[6:7], v[6:7], v[10:11]
	v_add_f64 v[6:7], v[6:7], v[12:13]
	v_mul_f64 v[8:9], v[4:5], v[6:7]
	v_fmac_f64_e32 v[0:1], v[4:5], v[6:7]
	v_cndmask_b32_e32 v1, v9, v1, vcc
	v_cndmask_b32_e32 v0, v8, v0, vcc
	s_and_b64 vcc, exec, s[16:17]
	s_cbranch_vccz .LBB104_65
; %bb.64:
	v_mad_u64_u32 v[2:3], s[0:1], v18, s6, 0
	v_mov_b32_e32 v4, v3
	v_mad_u64_u32 v[4:5], s[0:1], v18, s7, v[4:5]
	v_mov_b32_e32 v3, v4
	v_lshl_add_u64 v[2:3], v[2:3], 3, s[4:5]
	global_store_dwordx2 v[2:3], v[0:1], off
	s_mov_b64 s[0:1], 0
.LBB104_65:
	s_andn2_b64 vcc, exec, s[0:1]
	s_cbranch_vccnz .LBB104_68
; %bb.66:
	v_cmp_gt_i32_e32 vcc, s33, v18
	s_and_b64 exec, exec, vcc
	s_cbranch_execz .LBB104_68
; %bb.67:
	v_mad_u64_u32 v[2:3], s[0:1], v18, s6, 0
	v_mov_b32_e32 v4, v3
	v_mad_u64_u32 v[4:5], s[0:1], v18, s7, v[4:5]
	v_mov_b32_e32 v3, v4
	v_lshl_add_u64 v[2:3], v[2:3], 3, s[4:5]
	global_store_dwordx2 v[2:3], v[0:1], off
.LBB104_68:
	s_endpgm
.LBB104_69:
	ds_read_b64 v[12:13], v9 offset:32
	v_add_lshl_u32 v8, v7, v18, 3
	s_waitcnt lgkmcnt(0)
	ds_write_b64 v8, v[12:13] offset:1024
	s_or_b64 exec, exec, s[2:3]
	v_cmp_gt_u32_e32 vcc, 8, v10
	s_and_saveexec_b64 s[2:3], vcc
	s_cbranch_execz .LBB104_52
.LBB104_70:
	ds_read_b64 v[12:13], v9 offset:64
	v_add_lshl_u32 v8, v7, v18, 3
	s_waitcnt lgkmcnt(0)
	ds_write_b64 v8, v[12:13] offset:2048
	s_or_b64 exec, exec, s[2:3]
	v_cmp_gt_u32_e32 vcc, 12, v10
	s_and_saveexec_b64 s[2:3], vcc
	s_cbranch_execnz .LBB104_53
	s_branch .LBB104_54
.LBB104_71:
	ds_read_b64 v[12:13], v9 offset:128
	v_add_lshl_u32 v11, v8, v18, 3
	s_waitcnt lgkmcnt(0)
	ds_write_b64 v11, v[12:13]
	s_or_b64 exec, exec, s[2:3]
	v_cmp_gt_u32_e32 vcc, 20, v10
	s_and_saveexec_b64 s[2:3], vcc
	s_cbranch_execz .LBB104_56
.LBB104_72:
	ds_read_b64 v[12:13], v9 offset:160
	s_waitcnt lgkmcnt(0)
	ds_write_b64 v20, v[12:13] offset:5120
	s_or_b64 exec, exec, s[2:3]
	v_cmp_gt_u32_e32 vcc, 24, v10
	s_and_saveexec_b64 s[2:3], vcc
	s_cbranch_execnz .LBB104_57
	s_branch .LBB104_58
	.section	.rodata,"a",@progbits
	.p2align	6, 0x0
	.amdhsa_kernel _ZL58rocblas_symv_kernel_lower_double_buffered_diagonal_genericILi32ELi4E24rocblas_internal_val_ptrIdEPKdPdEvbiT1_lT2_lllS6_lllS5_lT3_lllii
		.amdhsa_group_segment_fixed_size 10496
		.amdhsa_private_segment_fixed_size 0
		.amdhsa_kernarg_size 400
		.amdhsa_user_sgpr_count 2
		.amdhsa_user_sgpr_dispatch_ptr 0
		.amdhsa_user_sgpr_queue_ptr 0
		.amdhsa_user_sgpr_kernarg_segment_ptr 1
		.amdhsa_user_sgpr_dispatch_id 0
		.amdhsa_user_sgpr_kernarg_preload_length 0
		.amdhsa_user_sgpr_kernarg_preload_offset 0
		.amdhsa_user_sgpr_private_segment_size 0
		.amdhsa_uses_dynamic_stack 0
		.amdhsa_enable_private_segment 0
		.amdhsa_system_sgpr_workgroup_id_x 1
		.amdhsa_system_sgpr_workgroup_id_y 0
		.amdhsa_system_sgpr_workgroup_id_z 1
		.amdhsa_system_sgpr_workgroup_info 0
		.amdhsa_system_vgpr_workitem_id 1
		.amdhsa_next_free_vgpr 40
		.amdhsa_next_free_sgpr 38
		.amdhsa_accum_offset 40
		.amdhsa_reserve_vcc 1
		.amdhsa_float_round_mode_32 0
		.amdhsa_float_round_mode_16_64 0
		.amdhsa_float_denorm_mode_32 3
		.amdhsa_float_denorm_mode_16_64 3
		.amdhsa_dx10_clamp 1
		.amdhsa_ieee_mode 1
		.amdhsa_fp16_overflow 0
		.amdhsa_tg_split 0
		.amdhsa_exception_fp_ieee_invalid_op 0
		.amdhsa_exception_fp_denorm_src 0
		.amdhsa_exception_fp_ieee_div_zero 0
		.amdhsa_exception_fp_ieee_overflow 0
		.amdhsa_exception_fp_ieee_underflow 0
		.amdhsa_exception_fp_ieee_inexact 0
		.amdhsa_exception_int_div_zero 0
	.end_amdhsa_kernel
	.section	.text._ZL58rocblas_symv_kernel_lower_double_buffered_diagonal_genericILi32ELi4E24rocblas_internal_val_ptrIdEPKdPdEvbiT1_lT2_lllS6_lllS5_lT3_lllii,"axG",@progbits,_ZL58rocblas_symv_kernel_lower_double_buffered_diagonal_genericILi32ELi4E24rocblas_internal_val_ptrIdEPKdPdEvbiT1_lT2_lllS6_lllS5_lT3_lllii,comdat
.Lfunc_end104:
	.size	_ZL58rocblas_symv_kernel_lower_double_buffered_diagonal_genericILi32ELi4E24rocblas_internal_val_ptrIdEPKdPdEvbiT1_lT2_lllS6_lllS5_lT3_lllii, .Lfunc_end104-_ZL58rocblas_symv_kernel_lower_double_buffered_diagonal_genericILi32ELi4E24rocblas_internal_val_ptrIdEPKdPdEvbiT1_lT2_lllS6_lllS5_lT3_lllii
                                        ; -- End function
	.section	.AMDGPU.csdata,"",@progbits
; Kernel info:
; codeLenInByte = 2968
; NumSgprs: 44
; NumVgprs: 40
; NumAgprs: 0
; TotalNumVgprs: 40
; ScratchSize: 0
; MemoryBound: 0
; FloatMode: 240
; IeeeMode: 1
; LDSByteSize: 10496 bytes/workgroup (compile time only)
; SGPRBlocks: 5
; VGPRBlocks: 4
; NumSGPRsForWavesPerEU: 44
; NumVGPRsForWavesPerEU: 40
; AccumOffset: 40
; Occupancy: 3
; WaveLimiterHint : 0
; COMPUTE_PGM_RSRC2:SCRATCH_EN: 0
; COMPUTE_PGM_RSRC2:USER_SGPR: 2
; COMPUTE_PGM_RSRC2:TRAP_HANDLER: 0
; COMPUTE_PGM_RSRC2:TGID_X_EN: 1
; COMPUTE_PGM_RSRC2:TGID_Y_EN: 0
; COMPUTE_PGM_RSRC2:TGID_Z_EN: 1
; COMPUTE_PGM_RSRC2:TIDIG_COMP_CNT: 1
; COMPUTE_PGM_RSRC3_GFX90A:ACCUM_OFFSET: 9
; COMPUTE_PGM_RSRC3_GFX90A:TG_SPLIT: 0
	.section	.text._ZL62rocblas_symv_kernel_lower_double_buffered_non_diagonal_genericILi32ELi4ELi4E24rocblas_internal_val_ptrIdEPKdPdEvbiT2_lT3_lllS6_lllT4_lllii,"axG",@progbits,_ZL62rocblas_symv_kernel_lower_double_buffered_non_diagonal_genericILi32ELi4ELi4E24rocblas_internal_val_ptrIdEPKdPdEvbiT2_lT3_lllS6_lllT4_lllii,comdat
	.globl	_ZL62rocblas_symv_kernel_lower_double_buffered_non_diagonal_genericILi32ELi4ELi4E24rocblas_internal_val_ptrIdEPKdPdEvbiT2_lT3_lllS6_lllT4_lllii ; -- Begin function _ZL62rocblas_symv_kernel_lower_double_buffered_non_diagonal_genericILi32ELi4ELi4E24rocblas_internal_val_ptrIdEPKdPdEvbiT2_lT3_lllS6_lllT4_lllii
	.p2align	8
	.type	_ZL62rocblas_symv_kernel_lower_double_buffered_non_diagonal_genericILi32ELi4ELi4E24rocblas_internal_val_ptrIdEPKdPdEvbiT2_lT3_lllS6_lllT4_lllii,@function
_ZL62rocblas_symv_kernel_lower_double_buffered_non_diagonal_genericILi32ELi4ELi4E24rocblas_internal_val_ptrIdEPKdPdEvbiT2_lT3_lllS6_lllT4_lllii: ; @_ZL62rocblas_symv_kernel_lower_double_buffered_non_diagonal_genericILi32ELi4ELi4E24rocblas_internal_val_ptrIdEPKdPdEvbiT2_lT3_lllS6_lllT4_lllii
; %bb.0:
	s_load_dword s5, s[0:1], 0x0
	s_load_dwordx16 s[8:23], s[0:1], 0x8
	s_waitcnt lgkmcnt(0)
	s_bitcmp1_b32 s5, 0
	s_cselect_b64 s[6:7], -1, 0
	s_and_b64 vcc, exec, s[6:7]
	v_mov_b64_e32 v[8:9], s[8:9]
	s_cbranch_vccnz .LBB105_2
; %bb.1:
	s_mul_i32 s5, s4, s11
	s_mul_hi_u32 s6, s4, s10
	s_add_i32 s7, s6, s5
	s_mul_i32 s6, s4, s10
	s_lshl_b64 s[6:7], s[6:7], 3
	s_add_u32 s6, s8, s6
	s_addc_u32 s7, s9, s7
	v_mov_b64_e32 v[2:3], s[6:7]
	flat_load_dwordx2 v[8:9], v[2:3]
.LBB105_2:
	s_waitcnt vmcnt(0) lgkmcnt(0)
	v_cmp_neq_f64_e32 vcc, 0, v[8:9]
	s_and_saveexec_b64 s[6:7], vcc
	s_cbranch_execz .LBB105_31
; %bb.3:
	s_load_dwordx2 s[8:9], s[0:1], 0x80
	s_waitcnt lgkmcnt(0)
	v_cvt_f32_u32_e32 v1, s9
	s_add_i32 s5, s8, -1
	s_cmp_eq_u32 s2, s5
	v_rcp_iflag_f32_e32 v1, v1
	s_nop 0
	v_mul_f32_e32 v1, 0x4f7ffffe, v1
	v_cvt_u32_f32_e32 v1, v1
	s_nop 0
	v_readfirstlane_b32 s6, v1
	s_cbranch_scc1 .LBB105_31
; %bb.4:
	s_not_b32 s7, s2
	s_load_dwordx4 s[24:27], s[0:1], 0x48
	s_add_i32 s5, s5, s7
	s_sub_i32 s7, 0, s9
	s_mul_i32 s7, s7, s6
	s_mul_hi_u32 s7, s6, s7
	s_add_i32 s6, s6, s7
	s_mul_hi_u32 s33, s5, s6
	s_waitcnt lgkmcnt(0)
	s_mul_i32 s6, s4, s27
	s_mul_hi_u32 s7, s4, s26
	s_add_i32 s7, s7, s6
	s_mul_i32 s6, s4, s26
	s_lshl_b64 s[28:29], s[6:7], 3
	s_add_u32 s6, s20, s28
	s_addc_u32 s7, s21, s29
	s_lshl_b64 s[22:23], s[22:23], 3
	s_add_u32 s10, s6, s22
	s_addc_u32 s11, s7, s23
	s_lshl_b32 s30, s2, 5
	s_ashr_i32 s31, s30, 31
	s_mul_i32 s6, s30, s25
	s_mul_hi_u32 s7, s30, s24
	s_add_i32 s6, s7, s6
	s_mul_i32 s7, s31, s24
	s_add_i32 s7, s6, s7
	s_mul_i32 s6, s30, s24
	s_lshl_b64 s[6:7], s[6:7], 3
	v_and_b32_e32 v76, 0x3ff, v0
	v_bfe_u32 v0, v0, 10, 10
	s_add_u32 s10, s10, s6
	s_addc_u32 s11, s11, s7
	v_cmp_eq_u32_e64 s[6:7], 0, v0
	s_and_saveexec_b64 s[26:27], s[6:7]
	s_cbranch_execz .LBB105_6
; %bb.5:
	v_mad_u64_u32 v[2:3], s[34:35], v76, s24, 0
	v_mov_b32_e32 v4, v3
	v_mad_u64_u32 v[4:5], s[34:35], v76, s25, v[4:5]
	v_mov_b32_e32 v3, v4
	v_lshl_add_u64 v[2:3], v[2:3], 3, s[10:11]
	global_load_dwordx2 v[2:3], v[2:3], off
	v_lshlrev_b32_e32 v1, 3, v76
	s_waitcnt vmcnt(0)
	ds_write_b64 v1, v[2:3] offset:6144
.LBB105_6:
	s_or_b64 exec, exec, s[26:27]
	s_mul_i32 s26, s33, s9
	s_sub_i32 s26, s5, s26
	s_add_i32 s27, s33, 1
	s_sub_i32 s34, s26, s9
	s_cmp_ge_u32 s26, s9
	s_cselect_b32 s27, s27, s33
	s_cselect_b32 s26, s34, s26
	s_add_i32 s33, s27, 1
	s_cmp_ge_u32 s26, s9
	s_cselect_b32 s34, s33, s27
	s_add_i32 s35, s9, -1
	s_cmp_eq_u32 s3, s35
	s_cselect_b64 s[26:27], -1, 0
	s_cmp_lg_u32 s3, s35
	s_mov_b32 s33, s34
	s_cbranch_scc1 .LBB105_8
; %bb.7:
	s_mul_i32 s9, s34, s9
	s_sub_i32 s5, s5, s9
	s_add_i32 s33, s5, s34
.LBB105_8:
	s_cmp_lg_u32 s3, s35
	s_cselect_b64 s[36:37], -1, 0
	s_cmp_eq_u32 s33, 0
	s_cselect_b64 s[38:39], -1, 0
	s_and_b64 s[36:37], s[36:37], s[38:39]
	s_and_b64 vcc, exec, s[36:37]
	s_cbranch_vccnz .LBB105_31
; %bb.9:
	s_mul_i32 s3, s3, s34
	s_lshl_b32 s34, s3, 5
	s_mul_i32 s3, s4, s19
	s_mul_hi_u32 s5, s4, s18
	s_add_i32 s19, s5, s3
	s_mul_i32 s18, s4, s18
	s_ashr_i32 s35, s34, 31
	s_lshl_b64 s[18:19], s[18:19], 3
	s_add_u32 s3, s12, s18
	s_addc_u32 s5, s13, s19
	s_lshl_b64 s[12:13], s[14:15], 3
	s_add_u32 s3, s3, s12
	s_addc_u32 s5, s5, s13
	s_add_u32 s9, s16, 1
	s_addc_u32 s12, s17, 0
	s_mul_i32 s13, s9, s31
	s_mul_hi_u32 s14, s9, s30
	s_add_i32 s13, s14, s13
	s_mul_i32 s12, s12, s30
	s_add_i32 s13, s13, s12
	s_mul_i32 s12, s9, s30
	s_lshl_b64 s[12:13], s[12:13], 3
	s_add_u32 s3, s3, s12
	s_addc_u32 s5, s5, s13
	s_lshl_b64 s[18:19], s[34:35], 3
	s_add_u32 s12, s3, s18
	s_addc_u32 s13, s5, s19
	s_mul_i32 s3, s34, s25
	s_mul_hi_u32 s5, s34, s24
	s_add_i32 s3, s5, s3
	s_mul_i32 s5, s35, s24
	s_add_i32 s15, s3, s5
	s_mul_i32 s14, s34, s24
	v_lshl_add_u32 v0, v0, 5, v76
	s_lshl_b64 s[14:15], s[14:15], 3
	v_lshrrev_b32_e32 v77, 4, v0
	s_load_dwordx2 s[36:37], s[0:1], 0x58
	s_add_u32 s38, s10, s14
	v_and_b32_e32 v10, 15, v76
	v_lshlrev_b32_e32 v78, 2, v77
	v_mov_b32_e32 v11, 0
	s_addc_u32 s39, s11, s15
	v_mad_u64_u32 v[12:13], s[10:11], v78, s16, v[10:11]
	v_mov_b32_e32 v0, v13
	v_mad_u64_u32 v[0:1], s[10:11], v78, s17, v[0:1]
	s_lshl_b64 s[14:15], s[24:25], 5
	s_add_i32 s3, s8, -2
	v_mov_b32_e32 v13, v0
	s_cmp_ge_u32 s2, s3
	s_waitcnt lgkmcnt(0)
	s_barrier
	s_cbranch_scc1 .LBB105_11
; %bb.10:
	v_lshl_add_u64 v[0:1], v[12:13], 3, s[12:13]
	global_load_dwordx2 v[28:29], v[0:1], off offset:256
	v_lshl_add_u64 v[2:3], s[16:17], 3, v[0:1]
	v_lshl_add_u64 v[4:5], s[16:17], 4, v[0:1]
	v_mad_u64_u32 v[0:1], s[8:9], s16, 24, v[0:1]
	global_load_dwordx2 v[30:31], v[2:3], off offset:256
	global_load_dwordx2 v[32:33], v[4:5], off offset:256
	v_mov_b32_e32 v2, v1
	v_mad_u64_u32 v[2:3], s[8:9], s17, 24, v[2:3]
	v_mov_b32_e32 v1, v2
	global_load_dwordx2 v[34:35], v[0:1], off offset:256
	v_mad_u64_u32 v[0:1], s[8:9], v10, s24, 0
	s_lshl_b64 s[2:3], s[14:15], 3
	v_mov_b32_e32 v2, v1
	s_add_u32 s2, s38, s2
	v_mad_u64_u32 v[2:3], s[8:9], v10, s25, v[2:3]
	s_addc_u32 s3, s39, s3
	v_mov_b32_e32 v1, v2
	v_lshl_add_u64 v[0:1], v[0:1], 3, s[2:3]
	global_load_dwordx2 v[26:27], v[0:1], off
	s_branch .LBB105_12
.LBB105_11:
	v_mov_b64_e32 v[26:27], 0
                                        ; implicit-def: $vgpr28_vgpr29
                                        ; implicit-def: $vgpr30_vgpr31
                                        ; implicit-def: $vgpr32_vgpr33
                                        ; implicit-def: $vgpr34_vgpr35
.LBB105_12:
	s_load_dwordx2 s[2:3], s[0:1], 0x70
	s_load_dwordx4 s[8:11], s[0:1], 0x60
	v_mov_b64_e32 v[16:17], 0
	v_lshlrev_b32_e32 v11, 3, v10
	s_waitcnt lgkmcnt(0)
	s_mul_i32 s3, s4, s3
	s_mul_hi_u32 s5, s4, s2
	s_mul_i32 s2, s4, s2
	s_add_i32 s3, s5, s3
	s_lshl_b64 s[2:3], s[2:3], 3
	s_add_u32 s4, s36, s2
	s_addc_u32 s5, s37, s3
	s_lshl_b64 s[2:3], s[8:9], 3
	s_add_u32 s4, s4, s2
	s_addc_u32 s5, s5, s3
	s_mul_i32 s2, s30, s11
	s_mul_hi_u32 s3, s30, s10
	s_add_i32 s2, s3, s2
	s_mul_i32 s3, s31, s10
	s_add_i32 s3, s2, s3
	s_mul_i32 s2, s30, s10
	s_lshl_b64 s[2:3], s[2:3], 3
	s_add_u32 s2, s4, s2
	s_addc_u32 s3, s5, s3
	s_mul_i32 s4, s34, s11
	s_mul_hi_u32 s5, s34, s10
	s_add_i32 s4, s5, s4
	s_mul_i32 s5, s35, s10
	s_add_i32 s5, s4, s5
	s_mul_i32 s4, s34, s10
	s_lshl_b64 s[4:5], s[4:5], 3
	s_add_u32 s34, s2, s4
	s_addc_u32 s35, s3, s5
	s_cmp_lt_i32 s33, 1
	s_cbranch_scc1 .LBB105_20
; %bb.13:
	v_lshl_or_b32 v0, v77, 8, v11
	v_mad_u64_u32 v[38:39], s[8:9], v76, s10, 0
	v_add_u32_e32 v79, 0x1000, v0
	v_mov_b32_e32 v0, v39
	v_mad_u64_u32 v[0:1], s[8:9], v76, s11, v[0:1]
	v_mov_b32_e32 v39, v0
	v_mov_b32_e32 v0, 0x1800
	v_lshl_add_u32 v80, v78, 3, v0
	v_mov_b32_e32 v0, 0x1000
	v_lshl_add_u32 v81, v76, 3, v0
	v_mad_u64_u32 v[0:1], s[8:9], s16, v77, 0
	v_mov_b32_e32 v2, v1
	v_mad_u64_u32 v[2:3], s[8:9], s17, v77, v[2:3]
	v_mov_b32_e32 v1, v2
	v_lshlrev_b64 v[0:1], 5, v[0:1]
	v_lshlrev_b32_e32 v2, 3, v10
	v_mov_b32_e32 v3, 0
	v_lshlrev_b32_e32 v4, 5, v77
	v_lshl_add_u64 v[40:41], v[0:1], 0, v[2:3]
	v_or_b32_e32 v1, 16, v4
	v_mad_u64_u32 v[42:43], s[8:9], s16, v1, v[2:3]
	v_mov_b32_e32 v0, v43
	v_mad_u64_u32 v[0:1], s[8:9], s17, v1, v[0:1]
	v_or_b32_e32 v1, 24, v4
	v_mad_u64_u32 v[44:45], s[8:9], s16, v1, v[2:3]
	v_mov_b32_e32 v43, v0
	v_mov_b32_e32 v0, v45
	v_mad_u64_u32 v[0:1], s[8:9], s17, v1, v[0:1]
	v_or_b32_e32 v1, 8, v4
	v_mad_u64_u32 v[46:47], s[8:9], s16, v1, v[2:3]
	v_mov_b32_e32 v45, v0
	v_mov_b32_e32 v0, v47
	v_mad_u64_u32 v[0:1], s[8:9], s17, v1, v[0:1]
	s_lshl_b64 s[4:5], s[10:11], 8
	s_lshl_b64 s[8:9], s[30:31], 3
	s_add_u32 s18, s18, s8
	s_addc_u32 s19, s19, s9
	s_mul_i32 s8, s24, s19
	s_mul_hi_u32 s9, s24, s18
	s_add_i32 s8, s9, s8
	s_mul_i32 s9, s25, s18
	s_add_i32 s8, s8, s9
	s_mul_i32 s9, s24, s18
	s_add_u32 s9, s28, s9
	s_addc_u32 s8, s29, s8
	s_add_u32 s30, s20, s9
	v_mov_b32_e32 v47, v0
	s_addc_u32 s31, s21, s8
	s_lshl_b64 s[8:9], s[24:25], 8
	v_lshl_add_u64 v[0:1], s[18:19], 0, v[2:3]
	s_mov_b64 s[18:19], 0x180
	v_lshl_add_u64 v[2:3], v[0:1], 0, s[18:19]
	s_add_u32 s18, s20, s28
	s_addc_u32 s19, s21, s29
	v_mov_b64_e32 v[4:5], s[18:19]
	v_mad_u64_u32 v[48:49], s[18:19], s24, v2, v[4:5]
	s_mov_b64 s[18:19], 0x200
	s_nop 0
	v_lshl_add_u64 v[0:1], v[0:1], 0, s[18:19]
	v_mul_lo_u32 v3, s24, v3
	v_mul_lo_u32 v6, s25, v2
	v_mul_lo_u32 v1, s24, v1
	v_mul_lo_u32 v2, s25, v0
	v_mad_u64_u32 v[50:51], s[18:19], s24, v0, v[4:5]
	v_mov_b64_e32 v[14:15], 0
	v_add3_u32 v49, v6, v49, v3
	v_add3_u32 v51, v2, v51, v1
	v_mov_b64_e32 v[22:23], s[34:35]
	v_mov_b64_e32 v[20:21], v[14:15]
	;; [unrolled: 1-line block ×4, first 2 shown]
	s_waitcnt vmcnt(0)
	v_mov_b64_e32 v[36:37], v[26:27]
	v_mov_b64_e32 v[52:53], v[28:29]
	;; [unrolled: 1-line block ×5, first 2 shown]
.LBB105_14:                             ; =>This Inner Loop Header: Depth=1
	v_lshl_add_u64 v[0:1], v[48:49], 0, s[22:23]
	v_lshl_add_u64 v[70:71], s[12:13], 0, v[40:41]
	global_load_dwordx2 v[24:25], v[0:1], off
	v_lshl_add_u64 v[68:69], s[12:13], 0, v[46:47]
	v_lshl_add_u64 v[72:73], s[12:13], 0, v[42:43]
	;; [unrolled: 1-line block ×3, first 2 shown]
	global_load_dwordx2 v[66:67], v[70:71], off offset:384
	global_load_dwordx2 v[64:65], v[68:69], off offset:384
	global_load_dwordx2 v[62:63], v[72:73], off offset:384
	global_load_dwordx2 v[60:61], v[74:75], off offset:384
	ds_read_b128 v[4:7], v80
	ds_read_b128 v[0:3], v80 offset:16
	s_cmp_eq_u32 s33, 1
	s_cbranch_scc1 .LBB105_16
; %bb.15:                               ;   in Loop: Header=BB105_14 Depth=1
	global_load_dwordx2 v[52:53], v[70:71], off offset:512
	global_load_dwordx2 v[54:55], v[68:69], off offset:512
	;; [unrolled: 1-line block ×4, first 2 shown]
	v_lshl_add_u64 v[36:37], v[50:51], 0, s[22:23]
	global_load_dwordx2 v[36:37], v[36:37], off
.LBB105_16:                             ;   in Loop: Header=BB105_14 Depth=1
	s_waitcnt lgkmcnt(1)
	v_fma_f64 v[68:69], v[28:29], v[4:5], 0
	s_waitcnt vmcnt(3)
	v_fma_f64 v[4:5], v[66:67], v[4:5], 0
	v_fmac_f64_e32 v[68:69], v[30:31], v[6:7]
	s_waitcnt vmcnt(2)
	v_fmac_f64_e32 v[4:5], v[64:65], v[6:7]
	s_waitcnt lgkmcnt(0)
	v_fmac_f64_e32 v[68:69], v[32:33], v[0:1]
	s_waitcnt vmcnt(1)
	v_fmac_f64_e32 v[4:5], v[62:63], v[0:1]
	v_fmac_f64_e32 v[68:69], v[34:35], v[2:3]
	s_waitcnt vmcnt(0)
	v_fmac_f64_e32 v[4:5], v[60:61], v[2:3]
	s_barrier
	ds_write2_b64 v79, v[68:69], v[4:5] offset1:16
	s_waitcnt lgkmcnt(0)
	s_barrier
	s_and_saveexec_b64 s[18:19], s[6:7]
	s_cbranch_execz .LBB105_18
; %bb.17:                               ;   in Loop: Header=BB105_14 Depth=1
	ds_read2_b64 v[0:3], v81 offset1:32
	ds_read2_b64 v[4:7], v81 offset0:64 offset1:96
	ds_read2_b64 v[68:71], v81 offset0:128 offset1:160
	;; [unrolled: 1-line block ×3, first 2 shown]
	v_lshl_add_u64 v[22:23], v[22:23], 0, s[4:5]
	s_waitcnt lgkmcnt(3)
	v_add_f64 v[0:1], v[0:1], 0
	v_add_f64 v[0:1], v[0:1], v[2:3]
	s_waitcnt lgkmcnt(2)
	v_add_f64 v[0:1], v[0:1], v[4:5]
	v_add_f64 v[0:1], v[0:1], v[6:7]
	;; [unrolled: 3-line block ×4, first 2 shown]
	v_lshl_add_u64 v[2:3], v[38:39], 3, v[22:23]
	v_mul_f64 v[0:1], v[8:9], v[0:1]
	global_atomic_add_f64 v[2:3], v[0:1], off
.LBB105_18:                             ;   in Loop: Header=BB105_14 Depth=1
	s_or_b64 exec, exec, s[18:19]
	s_add_u32 s12, s12, 0x100
	s_addc_u32 s13, s13, 0
	s_add_i32 s33, s33, -1
	s_add_u32 s30, s30, s8
	s_addc_u32 s31, s31, s9
	s_add_u32 s38, s30, s22
	v_fmac_f64_e32 v[14:15], v[26:27], v[28:29]
	v_fmac_f64_e32 v[20:21], v[26:27], v[30:31]
	;; [unrolled: 1-line block ×4, first 2 shown]
	s_addc_u32 s39, s31, s23
	v_fmac_f64_e32 v[14:15], v[24:25], v[66:67]
	v_fmac_f64_e32 v[20:21], v[24:25], v[64:65]
	;; [unrolled: 1-line block ×4, first 2 shown]
	v_lshl_add_u64 v[48:49], v[48:49], 0, s[8:9]
	s_cmp_eq_u32 s33, 0
	v_lshl_add_u64 v[50:51], v[50:51], 0, s[8:9]
	s_cbranch_scc1 .LBB105_21
; %bb.19:                               ;   in Loop: Header=BB105_14 Depth=1
	v_mov_b64_e32 v[26:27], v[36:37]
	v_mov_b64_e32 v[28:29], v[52:53]
	;; [unrolled: 1-line block ×5, first 2 shown]
	s_branch .LBB105_14
.LBB105_20:
	v_mov_b64_e32 v[22:23], s[34:35]
	v_mov_b64_e32 v[18:19], v[16:17]
	;; [unrolled: 1-line block ×5, first 2 shown]
	s_waitcnt vmcnt(0)
	v_mov_b64_e32 v[36:37], v[26:27]
.LBB105_21:
	s_and_b64 vcc, exec, s[26:27]
	s_cbranch_vccz .LBB105_29
; %bb.22:
	s_load_dword s8, s[0:1], 0x78
	s_lshl_b64 s[0:1], s[14:15], 3
	v_mov_b64_e32 v[0:1], 0
	s_add_u32 s0, s38, s0
	s_addc_u32 s1, s39, s1
	s_waitcnt lgkmcnt(0)
	v_cmp_gt_i32_e32 vcc, s8, v10
	v_mov_b64_e32 v[6:7], v[0:1]
	v_mov_b64_e32 v[26:27], v[0:1]
	v_mov_b64_e32 v[28:29], v[0:1]
	v_mov_b64_e32 v[32:33], v[0:1]
	s_and_saveexec_b64 s[4:5], vcc
	s_cbranch_execz .LBB105_24
; %bb.23:
	v_lshl_add_u64 v[2:3], v[12:13], 3, s[12:13]
	v_lshl_add_u64 v[4:5], s[16:17], 3, v[2:3]
	;; [unrolled: 1-line block ×3, first 2 shown]
	global_load_dwordx2 v[6:7], v[2:3], off offset:256
	global_load_dwordx2 v[26:27], v[4:5], off offset:256
	;; [unrolled: 1-line block ×3, first 2 shown]
	v_mad_u64_u32 v[2:3], s[14:15], s16, 24, v[2:3]
	v_mov_b32_e32 v4, v3
	v_mad_u64_u32 v[4:5], s[14:15], s17, 24, v[4:5]
	v_mov_b32_e32 v3, v4
	global_load_dwordx2 v[32:33], v[2:3], off offset:256
	v_mad_u64_u32 v[2:3], s[14:15], v10, s24, 0
	v_mov_b32_e32 v4, v3
	v_mad_u64_u32 v[4:5], s[14:15], v10, s25, v[4:5]
	v_mov_b32_e32 v3, v4
	v_lshl_add_u64 v[2:3], v[2:3], 3, s[0:1]
	global_load_dwordx2 v[36:37], v[2:3], off
.LBB105_24:
	s_or_b64 exec, exec, s[4:5]
	v_or_b32_e32 v34, 16, v10
	v_cmp_gt_i32_e32 vcc, s8, v34
	v_mov_b64_e32 v[2:3], v[0:1]
	v_mov_b64_e32 v[4:5], v[0:1]
	;; [unrolled: 1-line block ×3, first 2 shown]
	s_and_saveexec_b64 s[4:5], vcc
	s_cbranch_execz .LBB105_26
; %bb.25:
	v_lshl_add_u64 v[12:13], v[12:13], 3, s[12:13]
	s_mov_b64 s[12:13], 0x100
	v_lshl_add_u64 v[24:25], v[12:13], 0, s[12:13]
	v_lshl_add_u64 v[30:31], s[16:17], 3, v[24:25]
	;; [unrolled: 1-line block ×3, first 2 shown]
	global_load_dwordx2 v[0:1], v[12:13], off offset:384
	global_load_dwordx2 v[2:3], v[30:31], off offset:128
	;; [unrolled: 1-line block ×3, first 2 shown]
	v_mad_u64_u32 v[12:13], s[12:13], s16, 24, v[24:25]
	v_mov_b32_e32 v24, v13
	v_mad_u64_u32 v[24:25], s[12:13], s17, 24, v[24:25]
	v_mov_b32_e32 v13, v24
	global_load_dwordx2 v[30:31], v[12:13], off offset:128
	v_mad_u64_u32 v[12:13], s[12:13], v34, s24, 0
	v_mov_b32_e32 v24, v13
	v_mad_u64_u32 v[24:25], s[12:13], v34, s25, v[24:25]
	v_mov_b32_e32 v13, v24
	v_lshl_add_u64 v[12:13], v[12:13], 3, s[0:1]
	global_load_dwordx2 v[24:25], v[12:13], off
.LBB105_26:
	s_or_b64 exec, exec, s[4:5]
	v_lshlrev_b32_e32 v12, 3, v78
	ds_read_b128 v[38:41], v12 offset:6144
	ds_read_b128 v[42:45], v12 offset:6160
	s_waitcnt vmcnt(0)
	v_fmac_f64_e32 v[14:15], v[36:37], v[6:7]
	v_fmac_f64_e32 v[20:21], v[36:37], v[26:27]
	v_cmp_gt_i32_e32 vcc, s8, v76
	s_waitcnt lgkmcnt(1)
	v_fma_f64 v[12:13], v[0:1], v[38:39], 0
	v_fma_f64 v[6:7], v[6:7], v[38:39], 0
	v_fmac_f64_e32 v[12:13], v[2:3], v[40:41]
	v_fmac_f64_e32 v[6:7], v[26:27], v[40:41]
	s_waitcnt lgkmcnt(0)
	v_fmac_f64_e32 v[12:13], v[4:5], v[42:43]
	v_fmac_f64_e32 v[6:7], v[28:29], v[42:43]
	v_lshl_or_b32 v26, v77, 8, v11
	v_fmac_f64_e32 v[18:19], v[36:37], v[28:29]
	v_fmac_f64_e32 v[16:17], v[36:37], v[32:33]
	;; [unrolled: 1-line block ×4, first 2 shown]
	v_add_u32_e32 v26, 0x1000, v26
	s_and_b64 s[4:5], s[6:7], vcc
	s_barrier
	ds_write2_b64 v26, v[6:7], v[12:13] offset1:16
	s_waitcnt lgkmcnt(0)
	s_barrier
	s_and_saveexec_b64 s[0:1], s[4:5]
	s_cbranch_execz .LBB105_28
; %bb.27:
	v_lshlrev_b32_e32 v6, 3, v76
	v_add_u32_e32 v40, 0x1000, v6
	ds_read2_b64 v[26:29], v40 offset1:32
	ds_read2_b64 v[32:35], v40 offset0:64 offset1:96
	ds_read2_b64 v[36:39], v40 offset0:128 offset1:160
	s_lshl_b64 s[4:5], s[10:11], 8
	v_lshl_add_u64 v[6:7], v[22:23], 0, s[4:5]
	v_mad_u64_u32 v[22:23], s[4:5], v76, s10, 0
	s_waitcnt lgkmcnt(2)
	v_add_f64 v[12:13], v[26:27], 0
	v_add_f64 v[12:13], v[12:13], v[28:29]
	ds_read2_b64 v[26:29], v40 offset0:192 offset1:224
	s_waitcnt lgkmcnt(2)
	v_add_f64 v[12:13], v[12:13], v[32:33]
	v_add_f64 v[12:13], v[12:13], v[34:35]
	s_waitcnt lgkmcnt(1)
	v_add_f64 v[12:13], v[12:13], v[36:37]
	v_add_f64 v[12:13], v[12:13], v[38:39]
	s_waitcnt lgkmcnt(0)
	v_add_f64 v[12:13], v[12:13], v[26:27]
	v_mov_b32_e32 v26, v23
	v_mad_u64_u32 v[26:27], s[4:5], v76, s11, v[26:27]
	v_add_f64 v[12:13], v[12:13], v[28:29]
	v_mov_b32_e32 v23, v26
	v_lshl_add_u64 v[6:7], v[22:23], 3, v[6:7]
	v_mul_f64 v[12:13], v[8:9], v[12:13]
	global_atomic_add_f64 v[6:7], v[12:13], off
.LBB105_28:
	s_or_b64 exec, exec, s[0:1]
	v_fmac_f64_e32 v[14:15], v[24:25], v[0:1]
	v_fmac_f64_e32 v[20:21], v[24:25], v[2:3]
	;; [unrolled: 1-line block ×4, first 2 shown]
.LBB105_29:
	v_lshl_or_b32 v0, v77, 9, v11
	ds_write2_b64 v0, v[14:15], v[20:21] offset1:16
	ds_write2_b64 v0, v[18:19], v[16:17] offset0:32 offset1:48
	s_waitcnt lgkmcnt(0)
	s_barrier
	s_and_b64 exec, exec, s[6:7]
	s_cbranch_execz .LBB105_31
; %bb.30:
	v_lshlrev_b32_e32 v14, 4, v76
	v_add_u32_e32 v1, 1, v76
	v_and_or_b32 v1, v1, 15, v14
	v_lshlrev_b32_e32 v2, 3, v1
	v_add_u32_e32 v1, 2, v76
	v_or_b32_e32 v15, v10, v14
	v_and_or_b32 v1, v1, 15, v14
	v_lshlrev_b32_e32 v0, 3, v15
	v_lshlrev_b32_e32 v4, 3, v1
	v_add_u32_e32 v1, 3, v76
	v_and_or_b32 v6, v1, 15, v14
	ds_read_b64 v[0:1], v0
	ds_read_b64 v[2:3], v2
	;; [unrolled: 1-line block ×3, first 2 shown]
	v_lshlrev_b32_e32 v6, 3, v6
	ds_read_b64 v[6:7], v6
	s_waitcnt lgkmcnt(3)
	v_add_f64 v[0:1], v[0:1], 0
	s_waitcnt lgkmcnt(2)
	v_add_f64 v[0:1], v[0:1], v[2:3]
	v_add_u32_e32 v3, 5, v76
	v_and_or_b32 v3, v3, 15, v14
	s_waitcnt lgkmcnt(1)
	v_add_f64 v[0:1], v[0:1], v[4:5]
	v_lshlrev_b32_e32 v4, 3, v3
	v_add_u32_e32 v3, 6, v76
	v_and_or_b32 v3, v3, 15, v14
	v_add_u32_e32 v2, 4, v76
	v_lshlrev_b32_e32 v10, 3, v3
	v_add_u32_e32 v3, 7, v76
	v_and_or_b32 v2, v2, 15, v14
	v_and_or_b32 v3, v3, 15, v14
	v_lshlrev_b32_e32 v2, 3, v2
	v_lshlrev_b32_e32 v12, 3, v3
	ds_read_b64 v[2:3], v2
	ds_read_b64 v[4:5], v4
	;; [unrolled: 1-line block ×4, first 2 shown]
	s_waitcnt lgkmcnt(4)
	v_add_f64 v[0:1], v[0:1], v[6:7]
	s_waitcnt lgkmcnt(3)
	v_add_f64 v[0:1], v[0:1], v[2:3]
	v_add_u32_e32 v3, 9, v76
	v_and_or_b32 v3, v3, 15, v14
	s_waitcnt lgkmcnt(2)
	v_add_f64 v[0:1], v[0:1], v[4:5]
	v_lshlrev_b32_e32 v4, 3, v3
	v_add_u32_e32 v3, 10, v76
	v_xor_b32_e32 v2, 8, v15
	v_and_or_b32 v3, v3, 15, v14
	v_lshlrev_b32_e32 v2, 3, v2
	v_lshlrev_b32_e32 v6, 3, v3
	v_add_u32_e32 v3, 11, v76
	s_waitcnt lgkmcnt(1)
	v_add_f64 v[0:1], v[0:1], v[10:11]
	v_and_or_b32 v10, v3, 15, v14
	ds_read_b64 v[2:3], v2
	ds_read_b64 v[4:5], v4
	;; [unrolled: 1-line block ×3, first 2 shown]
	s_waitcnt lgkmcnt(3)
	v_add_f64 v[0:1], v[0:1], v[12:13]
	v_lshlrev_b32_e32 v10, 3, v10
	s_waitcnt lgkmcnt(2)
	v_add_f64 v[0:1], v[0:1], v[2:3]
	v_add_u32_e32 v3, 13, v76
	v_and_or_b32 v3, v3, 15, v14
	s_waitcnt lgkmcnt(1)
	v_add_f64 v[0:1], v[0:1], v[4:5]
	v_lshlrev_b32_e32 v4, 3, v3
	v_add_u32_e32 v3, 14, v76
	ds_read_b64 v[10:11], v10
	v_and_or_b32 v3, v3, 15, v14
	s_waitcnt lgkmcnt(1)
	v_add_f64 v[0:1], v[0:1], v[6:7]
	v_add_u32_e32 v2, 12, v76
	v_lshlrev_b32_e32 v6, 3, v3
	v_add_u32_e32 v3, -1, v76
	v_and_or_b32 v2, v2, 15, v14
	v_and_or_b32 v3, v3, 15, v14
	v_lshlrev_b32_e32 v2, 3, v2
	v_lshlrev_b32_e32 v12, 3, v3
	ds_read_b64 v[2:3], v2
	ds_read_b64 v[4:5], v4
	;; [unrolled: 1-line block ×4, first 2 shown]
	s_waitcnt lgkmcnt(4)
	v_add_f64 v[0:1], v[0:1], v[10:11]
	s_waitcnt lgkmcnt(3)
	v_add_f64 v[0:1], v[0:1], v[2:3]
	v_mad_u64_u32 v[2:3], s[0:1], v76, s10, 0
	s_waitcnt lgkmcnt(2)
	v_add_f64 v[0:1], v[0:1], v[4:5]
	v_mov_b32_e32 v4, v3
	s_waitcnt lgkmcnt(1)
	v_add_f64 v[0:1], v[0:1], v[6:7]
	v_mad_u64_u32 v[4:5], s[0:1], v76, s11, v[4:5]
	s_waitcnt lgkmcnt(0)
	v_add_f64 v[0:1], v[0:1], v[12:13]
	v_mov_b32_e32 v3, v4
	v_lshl_add_u64 v[2:3], v[2:3], 3, s[2:3]
	v_mul_f64 v[0:1], v[8:9], v[0:1]
	global_atomic_add_f64 v[2:3], v[0:1], off
.LBB105_31:
	s_endpgm
	.section	.rodata,"a",@progbits
	.p2align	6, 0x0
	.amdhsa_kernel _ZL62rocblas_symv_kernel_lower_double_buffered_non_diagonal_genericILi32ELi4ELi4E24rocblas_internal_val_ptrIdEPKdPdEvbiT2_lT3_lllS6_lllT4_lllii
		.amdhsa_group_segment_fixed_size 6400
		.amdhsa_private_segment_fixed_size 0
		.amdhsa_kernarg_size 384
		.amdhsa_user_sgpr_count 2
		.amdhsa_user_sgpr_dispatch_ptr 0
		.amdhsa_user_sgpr_queue_ptr 0
		.amdhsa_user_sgpr_kernarg_segment_ptr 1
		.amdhsa_user_sgpr_dispatch_id 0
		.amdhsa_user_sgpr_kernarg_preload_length 0
		.amdhsa_user_sgpr_kernarg_preload_offset 0
		.amdhsa_user_sgpr_private_segment_size 0
		.amdhsa_uses_dynamic_stack 0
		.amdhsa_enable_private_segment 0
		.amdhsa_system_sgpr_workgroup_id_x 1
		.amdhsa_system_sgpr_workgroup_id_y 1
		.amdhsa_system_sgpr_workgroup_id_z 1
		.amdhsa_system_sgpr_workgroup_info 0
		.amdhsa_system_vgpr_workitem_id 1
		.amdhsa_next_free_vgpr 82
		.amdhsa_next_free_sgpr 40
		.amdhsa_accum_offset 84
		.amdhsa_reserve_vcc 1
		.amdhsa_float_round_mode_32 0
		.amdhsa_float_round_mode_16_64 0
		.amdhsa_float_denorm_mode_32 3
		.amdhsa_float_denorm_mode_16_64 3
		.amdhsa_dx10_clamp 1
		.amdhsa_ieee_mode 1
		.amdhsa_fp16_overflow 0
		.amdhsa_tg_split 0
		.amdhsa_exception_fp_ieee_invalid_op 0
		.amdhsa_exception_fp_denorm_src 0
		.amdhsa_exception_fp_ieee_div_zero 0
		.amdhsa_exception_fp_ieee_overflow 0
		.amdhsa_exception_fp_ieee_underflow 0
		.amdhsa_exception_fp_ieee_inexact 0
		.amdhsa_exception_int_div_zero 0
	.end_amdhsa_kernel
	.section	.text._ZL62rocblas_symv_kernel_lower_double_buffered_non_diagonal_genericILi32ELi4ELi4E24rocblas_internal_val_ptrIdEPKdPdEvbiT2_lT3_lllS6_lllT4_lllii,"axG",@progbits,_ZL62rocblas_symv_kernel_lower_double_buffered_non_diagonal_genericILi32ELi4ELi4E24rocblas_internal_val_ptrIdEPKdPdEvbiT2_lT3_lllS6_lllT4_lllii,comdat
.Lfunc_end105:
	.size	_ZL62rocblas_symv_kernel_lower_double_buffered_non_diagonal_genericILi32ELi4ELi4E24rocblas_internal_val_ptrIdEPKdPdEvbiT2_lT3_lllS6_lllT4_lllii, .Lfunc_end105-_ZL62rocblas_symv_kernel_lower_double_buffered_non_diagonal_genericILi32ELi4ELi4E24rocblas_internal_val_ptrIdEPKdPdEvbiT2_lT3_lllS6_lllT4_lllii
                                        ; -- End function
	.section	.AMDGPU.csdata,"",@progbits
; Kernel info:
; codeLenInByte = 3304
; NumSgprs: 46
; NumVgprs: 82
; NumAgprs: 0
; TotalNumVgprs: 82
; ScratchSize: 0
; MemoryBound: 0
; FloatMode: 240
; IeeeMode: 1
; LDSByteSize: 6400 bytes/workgroup (compile time only)
; SGPRBlocks: 5
; VGPRBlocks: 10
; NumSGPRsForWavesPerEU: 46
; NumVGPRsForWavesPerEU: 82
; AccumOffset: 84
; Occupancy: 5
; WaveLimiterHint : 0
; COMPUTE_PGM_RSRC2:SCRATCH_EN: 0
; COMPUTE_PGM_RSRC2:USER_SGPR: 2
; COMPUTE_PGM_RSRC2:TRAP_HANDLER: 0
; COMPUTE_PGM_RSRC2:TGID_X_EN: 1
; COMPUTE_PGM_RSRC2:TGID_Y_EN: 1
; COMPUTE_PGM_RSRC2:TGID_Z_EN: 1
; COMPUTE_PGM_RSRC2:TIDIG_COMP_CNT: 1
; COMPUTE_PGM_RSRC3_GFX90A:ACCUM_OFFSET: 20
; COMPUTE_PGM_RSRC3_GFX90A:TG_SPLIT: 0
	.section	.text._ZL26rocblas_hemvn_kernel_lowerILb0ELi64ELi4ELi33ELi32ELi16ElPKdS1_PdEviT6_lT7_lT5_lS4_lS5_lS3_lT8_i,"axG",@progbits,_ZL26rocblas_hemvn_kernel_lowerILb0ELi64ELi4ELi33ELi32ELi16ElPKdS1_PdEviT6_lT7_lT5_lS4_lS5_lS3_lT8_i,comdat
	.globl	_ZL26rocblas_hemvn_kernel_lowerILb0ELi64ELi4ELi33ELi32ELi16ElPKdS1_PdEviT6_lT7_lT5_lS4_lS5_lS3_lT8_i ; -- Begin function _ZL26rocblas_hemvn_kernel_lowerILb0ELi64ELi4ELi33ELi32ELi16ElPKdS1_PdEviT6_lT7_lT5_lS4_lS5_lS3_lT8_i
	.p2align	8
	.type	_ZL26rocblas_hemvn_kernel_lowerILb0ELi64ELi4ELi33ELi32ELi16ElPKdS1_PdEviT6_lT7_lT5_lS4_lS5_lS3_lT8_i,@function
_ZL26rocblas_hemvn_kernel_lowerILb0ELi64ELi4ELi33ELi32ELi16ElPKdS1_PdEviT6_lT7_lT5_lS4_lS5_lS3_lT8_i: ; @_ZL26rocblas_hemvn_kernel_lowerILb0ELi64ELi4ELi33ELi32ELi16ElPKdS1_PdEviT6_lT7_lT5_lS4_lS5_lS3_lT8_i
; %bb.0:
	s_load_dwordx2 s[6:7], s[0:1], 0x84
	s_add_u32 s4, s0, 0x78
	s_addc_u32 s5, s1, 0
	s_waitcnt lgkmcnt(0)
	s_lshr_b32 s8, s6, 16
	s_and_b32 s6, s6, 0xffff
	s_and_b32 s7, s7, 0xffff
	s_mul_i32 s6, s8, s6
	s_mul_i32 s6, s6, s7
	s_cmpk_lg_i32 s6, 0x100
	s_cbranch_scc1 .LBB106_76
; %bb.1:
	s_load_dwordx16 s[16:31], s[0:1], 0x8
	s_load_dwordx8 s[36:43], s[0:1], 0x48
	s_waitcnt lgkmcnt(0)
	s_mul_i32 s7, s3, s19
	s_mul_hi_u32 s8, s3, s18
	s_mul_i32 s6, s3, s18
	s_add_i32 s7, s8, s7
	s_lshl_b64 s[6:7], s[6:7], 3
	s_mul_i32 s9, s3, s43
	s_add_u32 s6, s16, s6
	s_mul_hi_u32 s8, s3, s42
	s_addc_u32 s7, s17, s7
	s_add_i32 s9, s8, s9
	s_mul_i32 s8, s3, s42
	s_lshl_b64 s[8:9], s[8:9], 3
	s_add_u32 s8, s40, s8
	s_addc_u32 s9, s41, s9
	s_load_dwordx2 s[6:7], s[6:7], 0x0
	s_waitcnt lgkmcnt(0)
	v_cmp_eq_f64_e64 s[6:7], s[6:7], 0
	s_load_dwordx2 s[8:9], s[8:9], 0x0
	s_waitcnt lgkmcnt(0)
	v_cmp_eq_f64_e64 s[8:9], s[8:9], 1.0
	s_and_b64 s[8:9], s[6:7], s[8:9]
	s_and_b64 vcc, exec, s[8:9]
	s_cbranch_vccnz .LBB106_76
; %bb.2:
	s_and_b64 vcc, exec, s[6:7]
	s_cbranch_vccnz .LBB106_76
; %bb.3:
	s_load_dword s40, s[4:5], 0x0
	s_load_dwordx2 s[34:35], s[0:1], 0x68
	s_load_dword s33, s[0:1], 0x0
	s_mul_i32 s0, s3, s39
	s_mul_hi_u32 s1, s3, s38
	s_add_i32 s1, s1, s0
	s_mul_i32 s0, s3, s38
	s_lshl_b64 s[0:1], s[0:1], 3
	s_add_u32 s4, s28, s0
	s_addc_u32 s5, s29, s1
	s_lshl_b64 s[0:1], s[30:31], 3
	s_add_u32 s0, s4, s0
	s_addc_u32 s1, s5, s1
	s_waitcnt lgkmcnt(0)
	s_ashr_i32 s41, s33, 31
	s_lshr_b32 s5, s41, 26
	s_add_i32 s5, s33, s5
	v_and_b32_e32 v26, 0x3ff, v0
	s_lshl_b32 s30, s2, 6
	s_andn2_b32 s5, s5, 63
	s_add_i32 s4, s40, -1
	s_sub_i32 s5, s33, s5
	v_add_u32_e32 v16, s30, v26
	s_cmp_eq_u32 s2, s4
	v_ashrrev_i32_e32 v17, 31, v16
	v_bfe_u32 v76, v0, 10, 10
	s_cselect_b32 s28, s5, 0
	v_mul_lo_u32 v2, v17, s36
	v_mul_lo_u32 v3, v16, s37
	v_mad_u64_u32 v[0:1], s[4:5], v16, s36, 0
	v_add3_u32 v1, v1, v3, v2
	v_lshl_add_u64 v[20:21], v[0:1], 3, s[0:1]
	v_cmp_ne_u32_e64 s[0:1], 0, v76
	v_cmp_eq_u32_e64 s[16:17], 0, v76
	s_and_saveexec_b64 s[4:5], s[16:17]
	s_cbranch_execz .LBB106_7
; %bb.4:
	s_cmp_eq_u32 s28, 0
	s_cselect_b64 s[6:7], -1, 0
	v_cmp_gt_i32_e32 vcc, s28, v26
	s_or_b64 s[8:9], s[6:7], vcc
	v_mov_b64_e32 v[0:1], 0
	s_and_saveexec_b64 s[6:7], s[8:9]
	s_cbranch_execz .LBB106_6
; %bb.5:
	global_load_dwordx2 v[0:1], v[20:21], off
.LBB106_6:
	s_or_b64 exec, exec, s[6:7]
	v_lshlrev_b32_e32 v2, 3, v26
	s_waitcnt vmcnt(0)
	ds_write_b64 v2, v[0:1] offset:9088
.LBB106_7:
	s_or_b64 exec, exec, s[4:5]
	s_mul_i32 s4, s3, s27
	s_mul_hi_u32 s5, s3, s26
	s_add_i32 s5, s5, s4
	s_mul_i32 s4, s3, s26
	s_lshl_b64 s[4:5], s[4:5], 3
	s_add_u32 s6, s20, s4
	s_addc_u32 s7, s21, s5
	s_lshl_b64 s[4:5], s[22:23], 3
	s_add_u32 s6, s6, s4
	s_addc_u32 s7, s7, s5
	s_ashr_i32 s31, s30, 31
	v_lshl_add_u32 v27, v76, 6, v26
	s_lshl_b64 s[4:5], s[30:31], 3
	v_and_b32_e32 v0, 31, v26
	v_lshrrev_b32_e32 v12, 5, v27
	s_add_u32 s6, s6, s4
	v_mov_b32_e32 v1, 0
	s_addc_u32 s7, s7, s5
	v_mad_u64_u32 v[22:23], s[4:5], v12, s24, v[0:1]
	v_mov_b32_e32 v2, v23
	v_mad_u64_u32 v[2:3], s[4:5], v12, s25, v[2:3]
	s_mul_i32 s4, s30, s25
	s_mul_hi_u32 s5, s30, s24
	s_add_i32 s4, s5, s4
	s_mul_i32 s5, s31, s24
	s_add_i32 s5, s4, s5
	s_mul_i32 s4, s30, s24
	s_lshl_b64 s[22:23], s[4:5], 3
	s_add_u32 s4, s22, s6
	s_addc_u32 s5, s23, s7
	s_cmp_lg_u32 s28, 0
	v_mov_b32_e32 v23, v2
	s_cselect_b64 s[26:27], -1, 0
	s_cmp_eq_u32 s28, 0
	v_lshl_add_u64 v[2:3], v[22:23], 3, s[4:5]
	s_cselect_b64 s[18:19], -1, 0
	s_and_b64 vcc, exec, s[26:27]
	s_cbranch_vccnz .LBB106_9
; %bb.8:
	s_lshl_b64 s[4:5], s[24:25], 6
	v_lshl_add_u64 v[4:5], v[2:3], 0, s[4:5]
	v_mov_b32_e32 v1, 0xc0
	global_load_dwordx2 v[6:7], v[4:5], off
	global_load_dwordx2 v[10:11], v[2:3], off
	v_lshl_add_u64 v[4:5], v[4:5], 0, s[4:5]
	v_mad_u64_u32 v[8:9], s[4:5], s24, v1, v[2:3]
	s_mul_i32 s4, s25, 0xc0
	global_load_dwordx2 v[4:5], v[4:5], off
	v_add_u32_e32 v9, s4, v9
	global_load_dwordx2 v[8:9], v[8:9], off
	v_mul_u32_u24_e32 v1, 33, v12
	v_add_lshl_u32 v1, v1, v0, 3
	s_waitcnt vmcnt(2)
	ds_write_b64 v1, v[10:11]
	ds_write_b64 v1, v[6:7] offset:2112
	s_waitcnt vmcnt(1)
	ds_write_b64 v1, v[4:5] offset:4224
	s_waitcnt vmcnt(0)
	ds_write_b64 v1, v[8:9] offset:6336
	s_cbranch_execz .LBB106_10
	s_branch .LBB106_19
.LBB106_9:
.LBB106_10:
	v_lshlrev_b32_e32 v4, 3, v0
	v_sub_co_u32_e32 v6, vcc, v2, v4
	s_ashr_i32 s29, s28, 31
	s_nop 0
	v_subbrev_co_u32_e32 v7, vcc, 0, v3, vcc
	v_lshl_add_u64 v[6:7], s[28:29], 3, v[6:7]
	v_lshl_add_u64 v[6:7], v[6:7], 0, -8
	v_cmp_gt_i32_e32 vcc, s28, v0
	v_mov_b64_e32 v[8:9], 0
	v_cmp_gt_i32_e64 s[4:5], s28, v12
	v_cndmask_b32_e32 v7, v7, v3, vcc
	v_cndmask_b32_e32 v6, v6, v2, vcc
	v_mov_b64_e32 v[10:11], v[8:9]
	s_and_saveexec_b64 s[6:7], s[4:5]
	s_cbranch_execz .LBB106_12
; %bb.11:
	global_load_dwordx2 v[10:11], v[6:7], off
.LBB106_12:
	s_or_b64 exec, exec, s[6:7]
	v_mul_u32_u24_e32 v1, 33, v12
	v_add_u32_e32 v5, 8, v12
	v_add_lshl_u32 v1, v1, v0, 3
	v_cmp_gt_i32_e64 s[4:5], s28, v5
	s_waitcnt vmcnt(0)
	ds_write_b64 v1, v[10:11]
	s_and_saveexec_b64 s[6:7], s[4:5]
	s_cbranch_execz .LBB106_14
; %bb.13:
	s_lshl_b64 s[4:5], s[24:25], 6
	v_lshl_add_u64 v[8:9], v[6:7], 0, s[4:5]
	global_load_dwordx2 v[8:9], v[8:9], off
.LBB106_14:
	s_or_b64 exec, exec, s[6:7]
	s_waitcnt vmcnt(0)
	ds_write_b64 v1, v[8:9] offset:2112
	v_add_u32_e32 v5, 16, v12
	v_mov_b64_e32 v[8:9], 0
	v_cmp_gt_i32_e64 s[4:5], s28, v5
	v_mov_b64_e32 v[10:11], v[8:9]
	s_and_saveexec_b64 s[6:7], s[4:5]
	s_cbranch_execz .LBB106_16
; %bb.15:
	s_lshl_b64 s[4:5], s[24:25], 7
	v_lshl_add_u64 v[10:11], v[6:7], 0, s[4:5]
	global_load_dwordx2 v[10:11], v[10:11], off
.LBB106_16:
	s_or_b64 exec, exec, s[6:7]
	v_add_u32_e32 v5, 24, v12
	v_cmp_gt_i32_e64 s[4:5], s28, v5
	s_waitcnt vmcnt(0)
	ds_write_b64 v1, v[10:11] offset:4224
	s_and_saveexec_b64 s[6:7], s[4:5]
	s_cbranch_execz .LBB106_18
; %bb.17:
	v_mov_b32_e32 v5, 0xc0
	v_mad_u64_u32 v[8:9], s[4:5], s24, v5, v[6:7]
	s_mul_i32 s4, s25, 0xc0
	s_nop 0
	v_add_u32_e32 v9, s4, v9
	global_load_dwordx2 v[8:9], v[8:9], off
.LBB106_18:
	s_or_b64 exec, exec, s[6:7]
	v_mov_b32_e32 v5, 0
	v_lshl_add_u64 v[4:5], v[6:7], 0, v[4:5]
	s_lshl_b64 s[4:5], s[28:29], 3
	s_waitcnt vmcnt(0)
	ds_write_b64 v1, v[8:9] offset:6336
	v_mov_b32_e32 v1, s5
	v_subrev_co_u32_e64 v4, s[4:5], s4, v4
	s_nop 1
	v_subb_co_u32_e64 v5, s[4:5], v5, v1, s[4:5]
	v_lshl_add_u64 v[4:5], v[4:5], 0, 8
	v_cndmask_b32_e32 v3, v5, v3, vcc
	v_cndmask_b32_e32 v2, v4, v2, vcc
.LBB106_19:
	v_lshlrev_b32_e32 v4, 2, v12
	v_mul_u32_u24_e32 v28, 33, v0
	v_cmp_lt_u32_e64 s[6:7], v4, v0
	v_add_lshl_u32 v30, v4, v28, 3
	s_waitcnt lgkmcnt(0)
	s_barrier
	s_and_saveexec_b64 s[4:5], s[6:7]
	s_cbranch_execz .LBB106_21
; %bb.20:
	v_mul_u32_u24_e32 v1, 0x84, v12
	v_add_lshl_u32 v1, v1, v0, 3
	ds_read_b64 v[6:7], v1
	s_waitcnt lgkmcnt(0)
	ds_write_b64 v30, v[6:7]
.LBB106_21:
	s_or_b64 exec, exec, s[4:5]
	v_or_b32_e32 v1, 1, v4
	v_cmp_lt_u32_e64 s[8:9], v1, v0
	s_and_saveexec_b64 s[4:5], s[8:9]
	s_cbranch_execz .LBB106_23
; %bb.22:
	v_mul_u32_u24_e32 v1, 33, v1
	v_add_lshl_u32 v1, v1, v0, 3
	ds_read_b64 v[6:7], v1
	s_waitcnt lgkmcnt(0)
	ds_write_b64 v30, v[6:7] offset:8
.LBB106_23:
	s_or_b64 exec, exec, s[4:5]
	v_or_b32_e32 v1, 2, v4
	v_cmp_lt_u32_e64 s[10:11], v1, v0
	s_and_saveexec_b64 s[4:5], s[10:11]
	s_cbranch_execz .LBB106_25
; %bb.24:
	v_mul_u32_u24_e32 v1, 33, v1
	v_add_lshl_u32 v1, v1, v0, 3
	ds_read_b64 v[6:7], v1
	s_waitcnt lgkmcnt(0)
	ds_write_b64 v30, v[6:7] offset:16
.LBB106_25:
	s_or_b64 exec, exec, s[4:5]
	v_or_b32_e32 v1, 3, v4
	v_cmp_lt_u32_e64 s[12:13], v1, v0
	v_mad_u32_u24 v1, v1, 33, v0
	v_lshlrev_b32_e32 v1, 3, v1
	s_and_saveexec_b64 s[4:5], s[12:13]
	s_cbranch_execz .LBB106_27
; %bb.26:
	ds_read_b64 v[6:7], v1
	s_waitcnt lgkmcnt(0)
	ds_write_b64 v30, v[6:7] offset:24
.LBB106_27:
	s_or_b64 exec, exec, s[4:5]
	v_mul_u32_u24_e32 v5, 0x84, v12
	v_add_lshl_u32 v14, v5, v0, 3
	s_waitcnt lgkmcnt(0)
	s_barrier
	v_lshlrev_b32_e32 v13, 3, v4
	ds_read_b64 v[24:25], v14
	ds_read_b128 v[4:7], v13 offset:9088
	v_add_u32_e32 v15, 0xfffffdf0, v1
	ds_read2_b64 v[8:11], v15 offset1:33
	ds_read_b128 v[32:35], v13 offset:9104
	ds_read_b64 v[36:37], v1
	v_mov_b64_e32 v[18:19], 0
	v_add_lshl_u32 v29, v12, v28, 3
	s_waitcnt lgkmcnt(3)
	v_fma_f64 v[4:5], v[24:25], v[4:5], 0
	s_waitcnt lgkmcnt(2)
	v_fmac_f64_e32 v[4:5], v[8:9], v[6:7]
	s_waitcnt lgkmcnt(1)
	v_fmac_f64_e32 v[4:5], v[10:11], v[32:33]
	;; [unrolled: 2-line block ×3, first 2 shown]
	v_cmp_gt_u32_e64 s[4:5], 32, v27
	s_barrier
	ds_write_b64 v29, v[4:5]
	s_waitcnt lgkmcnt(0)
	s_barrier
	s_and_saveexec_b64 s[14:15], s[4:5]
	s_cbranch_execz .LBB106_29
; %bb.28:
	v_lshlrev_b32_e32 v24, 3, v28
	ds_read2_b64 v[4:7], v24 offset1:1
	ds_read2_b64 v[8:11], v24 offset0:2 offset1:3
	ds_read2_b64 v[32:35], v24 offset0:4 offset1:5
	s_waitcnt lgkmcnt(2)
	v_add_f64 v[18:19], v[4:5], v[6:7]
	ds_read2_b64 v[4:7], v24 offset0:6 offset1:7
	s_waitcnt lgkmcnt(2)
	v_add_f64 v[8:9], v[18:19], v[8:9]
	v_add_f64 v[8:9], v[8:9], v[10:11]
	s_waitcnt lgkmcnt(1)
	v_add_f64 v[8:9], v[8:9], v[32:33]
	v_add_f64 v[8:9], v[8:9], v[34:35]
	s_waitcnt lgkmcnt(0)
	v_add_f64 v[4:5], v[8:9], v[4:5]
	v_add_f64 v[18:19], v[4:5], v[6:7]
.LBB106_29:
	s_or_b64 exec, exec, s[14:15]
	s_lshl_b64 s[20:21], s[24:25], 8
	v_lshl_add_u64 v[4:5], v[2:3], 0, s[20:21]
	s_mov_b64 s[38:39], 0x100
	v_cndmask_b32_e64 v2, 0, 1, s[18:19]
	v_cmp_ne_u32_e64 s[14:15], 1, v2
	s_andn2_b64 vcc, exec, s[18:19]
	v_lshl_add_u64 v[2:3], v[4:5], 0, s[38:39]
	s_barrier
	s_cbranch_vccnz .LBB106_31
; %bb.30:
	s_lshl_b64 s[18:19], s[24:25], 6
	v_lshl_add_u64 v[6:7], v[4:5], 0, s[18:19]
	v_mov_b32_e32 v10, 0xc0
	v_lshl_add_u64 v[8:9], v[6:7], 0, s[18:19]
	v_mad_u64_u32 v[10:11], s[18:19], s24, v10, v[4:5]
	s_mul_i32 s18, s25, 0xc0
	s_nop 0
	v_add_u32_e32 v11, s18, v11
	global_load_dwordx2 v[24:25], v[4:5], off offset:256
	global_load_dwordx2 v[32:33], v[6:7], off offset:256
	;; [unrolled: 1-line block ×4, first 2 shown]
	v_mul_u32_u24_e32 v4, 33, v12
	v_add_lshl_u32 v4, v4, v0, 3
	s_waitcnt vmcnt(3)
	ds_write_b64 v4, v[24:25]
	s_waitcnt vmcnt(2)
	ds_write_b64 v4, v[32:33] offset:2112
	s_waitcnt vmcnt(1)
	ds_write_b64 v4, v[34:35] offset:4224
	;; [unrolled: 2-line block ×3, first 2 shown]
	s_cbranch_execz .LBB106_32
	s_branch .LBB106_41
.LBB106_31:
.LBB106_32:
	v_lshlrev_b32_e32 v4, 3, v0
	v_sub_co_u32_e32 v6, vcc, v2, v4
	s_ashr_i32 s29, s28, 31
	s_nop 0
	v_subbrev_co_u32_e32 v7, vcc, 0, v3, vcc
	s_movk_i32 s18, 0xfef8
	v_or_b32_e32 v5, 32, v0
	v_lshl_add_u64 v[6:7], s[28:29], 3, v[6:7]
	s_mov_b32 s19, -1
	v_lshl_add_u64 v[6:7], v[6:7], 0, s[18:19]
	v_cmp_gt_i32_e32 vcc, s28, v5
	s_sub_i32 s42, s28, 32
	v_mov_b64_e32 v[8:9], 0
	v_cndmask_b32_e32 v7, v7, v3, vcc
	v_cndmask_b32_e32 v6, v6, v2, vcc
	v_cmp_gt_i32_e64 s[18:19], s42, v12
	v_mov_b64_e32 v[10:11], v[8:9]
	s_and_saveexec_b64 s[38:39], s[18:19]
	s_cbranch_execz .LBB106_34
; %bb.33:
	global_load_dwordx2 v[10:11], v[6:7], off
.LBB106_34:
	s_or_b64 exec, exec, s[38:39]
	v_mul_u32_u24_e32 v5, 33, v12
	v_add_lshl_u32 v5, v5, v0, 3
	s_waitcnt vmcnt(0)
	ds_write_b64 v5, v[10:11]
	v_add_u32_e32 v10, 8, v12
	v_cmp_gt_i32_e64 s[18:19], s42, v10
	s_and_saveexec_b64 s[38:39], s[18:19]
	s_cbranch_execz .LBB106_36
; %bb.35:
	s_lshl_b64 s[18:19], s[24:25], 6
	v_lshl_add_u64 v[8:9], v[6:7], 0, s[18:19]
	global_load_dwordx2 v[8:9], v[8:9], off
.LBB106_36:
	s_or_b64 exec, exec, s[38:39]
	s_waitcnt vmcnt(0)
	ds_write_b64 v5, v[8:9] offset:2112
	v_add_u32_e32 v8, 16, v12
	v_cmp_gt_i32_e64 s[18:19], s42, v8
	v_mov_b64_e32 v[8:9], 0
	v_mov_b64_e32 v[10:11], v[8:9]
	s_and_saveexec_b64 s[38:39], s[18:19]
	s_cbranch_execz .LBB106_38
; %bb.37:
	s_lshl_b64 s[18:19], s[24:25], 7
	v_lshl_add_u64 v[10:11], v[6:7], 0, s[18:19]
	global_load_dwordx2 v[10:11], v[10:11], off
.LBB106_38:
	s_or_b64 exec, exec, s[38:39]
	s_waitcnt vmcnt(0)
	ds_write_b64 v5, v[10:11] offset:4224
	v_add_u32_e32 v10, 24, v12
	v_cmp_gt_i32_e64 s[18:19], s42, v10
	s_and_saveexec_b64 s[38:39], s[18:19]
	s_cbranch_execz .LBB106_40
; %bb.39:
	v_mov_b32_e32 v8, 0xc0
	v_mad_u64_u32 v[8:9], s[18:19], s24, v8, v[6:7]
	s_mul_i32 s18, s25, 0xc0
	s_nop 0
	v_add_u32_e32 v9, s18, v9
	global_load_dwordx2 v[8:9], v[8:9], off
.LBB106_40:
	s_or_b64 exec, exec, s[38:39]
	s_waitcnt vmcnt(0)
	ds_write_b64 v5, v[8:9] offset:6336
	v_mov_b32_e32 v5, 0
	v_lshl_add_u64 v[4:5], v[6:7], 0, v[4:5]
	s_lshl_b64 s[18:19], s[28:29], 3
	v_mov_b32_e32 v6, s19
	v_subrev_co_u32_e64 v4, s[18:19], s18, v4
	s_nop 1
	v_subb_co_u32_e64 v5, s[18:19], v5, v6, s[18:19]
	s_mov_b64 s[18:19], 0x108
	s_nop 0
	v_lshl_add_u64 v[4:5], v[4:5], 0, s[18:19]
	v_cndmask_b32_e32 v3, v5, v3, vcc
	v_cndmask_b32_e32 v2, v4, v2, vcc
.LBB106_41:
	v_add_u32_e32 v13, 0x2380, v13
	s_lshl_b64 s[18:19], s[24:25], 5
	s_waitcnt lgkmcnt(0)
	s_barrier
	s_and_saveexec_b64 s[38:39], s[6:7]
	s_cbranch_execnz .LBB106_50
; %bb.42:
	s_or_b64 exec, exec, s[38:39]
	s_and_saveexec_b64 s[6:7], s[8:9]
	s_cbranch_execnz .LBB106_51
.LBB106_43:
	s_or_b64 exec, exec, s[6:7]
	s_and_saveexec_b64 s[6:7], s[10:11]
	s_cbranch_execnz .LBB106_52
.LBB106_44:
	s_or_b64 exec, exec, s[6:7]
	s_and_saveexec_b64 s[6:7], s[12:13]
	s_cbranch_execz .LBB106_46
.LBB106_45:
	ds_read_b64 v[4:5], v1
	s_waitcnt lgkmcnt(0)
	ds_write_b64 v30, v[4:5] offset:24
.LBB106_46:
	s_or_b64 exec, exec, s[6:7]
	s_waitcnt lgkmcnt(0)
	s_barrier
	ds_read_b64 v[24:25], v14
	ds_read_b128 v[4:7], v13 offset:256
	ds_read2_b64 v[8:11], v15 offset1:33
	ds_read_b128 v[32:35], v13 offset:272
	ds_read_b64 v[14:15], v1
	v_cmp_eq_u32_e64 s[6:7], 1, v12
	s_waitcnt lgkmcnt(3)
	v_fma_f64 v[4:5], v[24:25], v[4:5], 0
	s_waitcnt lgkmcnt(2)
	v_fmac_f64_e32 v[4:5], v[8:9], v[6:7]
	s_waitcnt lgkmcnt(1)
	v_fmac_f64_e32 v[4:5], v[10:11], v[32:33]
	s_waitcnt lgkmcnt(0)
	v_fmac_f64_e32 v[4:5], v[14:15], v[34:35]
	s_barrier
	ds_write_b64 v29, v[4:5]
	s_waitcnt lgkmcnt(0)
	s_barrier
	s_and_saveexec_b64 s[8:9], s[6:7]
	s_cbranch_execz .LBB106_48
; %bb.47:
	v_lshlrev_b32_e32 v1, 3, v28
	ds_read2_b64 v[4:7], v1 offset1:1
	ds_read2_b64 v[8:11], v1 offset0:2 offset1:3
	ds_read2_b64 v[32:35], v1 offset0:4 offset1:5
	s_waitcnt lgkmcnt(2)
	v_add_f64 v[14:15], v[4:5], v[6:7]
	ds_read2_b64 v[4:7], v1 offset0:6 offset1:7
	s_waitcnt lgkmcnt(2)
	v_add_f64 v[8:9], v[14:15], v[8:9]
	v_add_f64 v[8:9], v[8:9], v[10:11]
	s_waitcnt lgkmcnt(1)
	v_add_f64 v[8:9], v[8:9], v[32:33]
	v_add_f64 v[8:9], v[8:9], v[34:35]
	;; [unrolled: 3-line block ×3, first 2 shown]
.LBB106_48:
	s_or_b64 exec, exec, s[8:9]
	s_lshl_b64 s[8:9], s[18:19], 3
	v_mov_b32_e32 v1, s9
	v_subrev_co_u32_e64 v24, s[8:9], s8, v2
	s_and_b64 vcc, exec, s[14:15]
	s_nop 0
	v_subb_co_u32_e64 v25, s[8:9], v3, v1, s[8:9]
	s_barrier
	s_cbranch_vccnz .LBB106_53
; %bb.49:
	s_lshl_b64 s[8:9], s[24:25], 6
	v_lshl_add_u64 v[2:3], v[24:25], 0, s[8:9]
	v_mov_b32_e32 v1, 0xc0
	v_lshl_add_u64 v[4:5], v[2:3], 0, s[8:9]
	v_mad_u64_u32 v[6:7], s[8:9], s24, v1, v[24:25]
	s_mul_i32 s8, s25, 0xc0
	s_nop 0
	v_add_u32_e32 v7, s8, v7
	global_load_dwordx2 v[32:33], v[24:25], off
	global_load_dwordx2 v[34:35], v[2:3], off
	global_load_dwordx2 v[36:37], v[4:5], off
	global_load_dwordx2 v[38:39], v[6:7], off
	v_mad_u32_u24 v10, v12, 33, v0
	v_add_u32_e32 v8, 8, v12
	v_add_u32_e32 v9, 16, v12
	;; [unrolled: 1-line block ×3, first 2 shown]
	v_lshlrev_b32_e32 v1, 3, v10
	v_add_u32_e32 v14, 0x108, v10
	v_add_u32_e32 v7, 0x210, v10
	;; [unrolled: 1-line block ×3, first 2 shown]
	s_waitcnt vmcnt(3)
	ds_write_b64 v1, v[32:33]
	s_waitcnt vmcnt(2)
	ds_write_b64 v1, v[34:35] offset:2112
	s_waitcnt vmcnt(1)
	ds_write_b64 v1, v[36:37] offset:4224
	;; [unrolled: 2-line block ×3, first 2 shown]
	s_cbranch_execz .LBB106_54
	s_branch .LBB106_63
.LBB106_50:
	ds_read_b64 v[4:5], v14
	s_waitcnt lgkmcnt(0)
	ds_write_b64 v30, v[4:5]
	s_or_b64 exec, exec, s[38:39]
	s_and_saveexec_b64 s[6:7], s[8:9]
	s_cbranch_execz .LBB106_43
.LBB106_51:
	ds_read_b64 v[4:5], v15
	s_waitcnt lgkmcnt(0)
	ds_write_b64 v30, v[4:5] offset:8
	s_or_b64 exec, exec, s[6:7]
	s_and_saveexec_b64 s[6:7], s[10:11]
	s_cbranch_execz .LBB106_44
.LBB106_52:
	ds_read_b64 v[4:5], v15 offset:264
	s_waitcnt lgkmcnt(0)
	ds_write_b64 v30, v[4:5] offset:16
	s_or_b64 exec, exec, s[6:7]
	s_and_saveexec_b64 s[6:7], s[12:13]
	s_cbranch_execnz .LBB106_45
	s_branch .LBB106_46
.LBB106_53:
                                        ; implicit-def: $vgpr10
                                        ; implicit-def: $vgpr8
                                        ; implicit-def: $vgpr14
                                        ; implicit-def: $vgpr9
                                        ; implicit-def: $vgpr7
                                        ; implicit-def: $vgpr6
                                        ; implicit-def: $vgpr11
.LBB106_54:
	v_lshlrev_b32_e32 v2, 3, v0
	v_sub_co_u32_e32 v4, vcc, v24, v2
	s_ashr_i32 s29, s28, 31
	s_nop 0
	v_subbrev_co_u32_e32 v5, vcc, 0, v25, vcc
	s_movk_i32 s8, 0xfef8
	v_or_b32_e32 v1, 32, v0
	v_lshl_add_u64 v[4:5], s[28:29], 3, v[4:5]
	s_mov_b32 s9, -1
	v_lshl_add_u64 v[4:5], v[4:5], 0, s[8:9]
	v_cmp_gt_i32_e32 vcc, s28, v1
	v_mov_b64_e32 v[6:7], 0
	v_cmp_gt_i32_e64 s[8:9], s28, v12
	v_cndmask_b32_e32 v5, v5, v25, vcc
	v_cndmask_b32_e32 v4, v4, v24, vcc
	v_mov_b64_e32 v[8:9], v[6:7]
	s_and_saveexec_b64 s[10:11], s[8:9]
	s_cbranch_execz .LBB106_56
; %bb.55:
	global_load_dwordx2 v[8:9], v[4:5], off
.LBB106_56:
	s_or_b64 exec, exec, s[10:11]
	v_mad_u32_u24 v10, v12, 33, v0
	v_lshlrev_b32_e32 v3, 3, v10
	s_waitcnt vmcnt(0)
	ds_write_b64 v3, v[8:9]
	v_add_u32_e32 v8, 8, v12
	v_cmp_gt_i32_e64 s[8:9], s28, v8
	s_and_saveexec_b64 s[10:11], s[8:9]
	s_cbranch_execz .LBB106_58
; %bb.57:
	s_lshl_b64 s[8:9], s[24:25], 6
	v_lshl_add_u64 v[0:1], v[4:5], 0, s[8:9]
	global_load_dwordx2 v[6:7], v[0:1], off
.LBB106_58:
	s_or_b64 exec, exec, s[10:11]
	v_add_u32_e32 v9, 16, v12
	v_mov_b64_e32 v[0:1], 0
	s_waitcnt vmcnt(0)
	ds_write_b64 v3, v[6:7] offset:2112
	v_cmp_gt_i32_e64 s[8:9], s28, v9
	v_mov_b64_e32 v[6:7], v[0:1]
	s_and_saveexec_b64 s[10:11], s[8:9]
	s_cbranch_execz .LBB106_60
; %bb.59:
	s_lshl_b64 s[8:9], s[24:25], 7
	v_lshl_add_u64 v[6:7], v[4:5], 0, s[8:9]
	global_load_dwordx2 v[6:7], v[6:7], off
.LBB106_60:
	s_or_b64 exec, exec, s[10:11]
	s_waitcnt vmcnt(0)
	ds_write_b64 v3, v[6:7] offset:4224
	v_add_u32_e32 v6, 24, v12
	v_cmp_gt_i32_e64 s[8:9], s28, v6
	s_and_saveexec_b64 s[10:11], s[8:9]
	s_cbranch_execz .LBB106_62
; %bb.61:
	v_mov_b32_e32 v0, 0xc0
	v_mad_u64_u32 v[0:1], s[8:9], s24, v0, v[4:5]
	s_mul_i32 s8, s25, 0xc0
	s_nop 0
	v_add_u32_e32 v1, s8, v1
	global_load_dwordx2 v[0:1], v[0:1], off
.LBB106_62:
	s_or_b64 exec, exec, s[10:11]
	s_waitcnt vmcnt(0)
	ds_write_b64 v3, v[0:1] offset:6336
	v_mov_b32_e32 v3, 0
	v_lshl_add_u64 v[0:1], v[4:5], 0, v[2:3]
	s_lshl_b64 s[8:9], s[28:29], 3
	v_mov_b32_e32 v2, s9
	v_subrev_co_u32_e64 v0, s[8:9], s8, v0
	v_add_u32_e32 v14, 0x108, v10
	s_nop 0
	v_subb_co_u32_e64 v1, s[8:9], v1, v2, s[8:9]
	s_mov_b64 s[8:9], 0x108
	s_nop 0
	v_lshl_add_u64 v[0:1], v[0:1], 0, s[8:9]
	v_add_u32_e32 v7, 0x210, v10
	v_add_u32_e32 v11, 0x318, v10
	v_cndmask_b32_e32 v25, v1, v25, vcc
	v_cndmask_b32_e32 v24, v0, v24, vcc
.LBB106_63:
	v_lshlrev_b32_e32 v0, 3, v10
	s_waitcnt lgkmcnt(0)
	s_barrier
	v_lshlrev_b32_e32 v1, 3, v12
	v_lshlrev_b32_e32 v2, 3, v14
	;; [unrolled: 1-line block ×3, first 2 shown]
	ds_read_b64 v[32:33], v0
	ds_read_b64 v[34:35], v1 offset:9088
	ds_read_b64 v[36:37], v2
	ds_read_b64 v[38:39], v3 offset:9088
	v_lshlrev_b32_e32 v0, 3, v7
	v_lshlrev_b32_e32 v1, 3, v9
	;; [unrolled: 1-line block ×4, first 2 shown]
	ds_read_b64 v[40:41], v0
	ds_read_b64 v[42:43], v1 offset:9088
	ds_read_b64 v[44:45], v2
	ds_read_b64 v[46:47], v3 offset:9088
	ds_read_b128 v[8:11], v13 offset:256
	ds_read_b128 v[0:3], v13 offset:272
	ds_read2_b64 v[12:15], v30 offset1:1
	ds_read2_b64 v[4:7], v30 offset0:2 offset1:3
	s_waitcnt lgkmcnt(10)
	v_fma_f64 v[30:31], v[32:33], v[34:35], 0
	s_waitcnt lgkmcnt(8)
	v_fmac_f64_e32 v[30:31], v[36:37], v[38:39]
	s_waitcnt lgkmcnt(6)
	v_fmac_f64_e32 v[30:31], v[40:41], v[42:43]
	;; [unrolled: 2-line block ×3, first 2 shown]
	s_waitcnt lgkmcnt(0)
	s_barrier
	ds_write_b64 v29, v[30:31]
	s_waitcnt lgkmcnt(0)
	s_barrier
	s_and_saveexec_b64 s[8:9], s[6:7]
	s_cbranch_execz .LBB106_65
; %bb.64:
	v_lshlrev_b32_e32 v42, 3, v28
	ds_read2_b64 v[30:33], v42 offset1:1
	ds_read2_b64 v[34:37], v42 offset0:2 offset1:3
	ds_read2_b64 v[38:41], v42 offset0:4 offset1:5
	s_waitcnt lgkmcnt(2)
	v_add_f64 v[18:19], v[18:19], v[30:31]
	v_add_f64 v[18:19], v[18:19], v[32:33]
	ds_read2_b64 v[30:33], v42 offset0:6 offset1:7
	s_waitcnt lgkmcnt(2)
	v_add_f64 v[18:19], v[18:19], v[34:35]
	v_add_f64 v[18:19], v[18:19], v[36:37]
	s_waitcnt lgkmcnt(1)
	v_add_f64 v[18:19], v[18:19], v[38:39]
	v_add_f64 v[18:19], v[18:19], v[40:41]
	;; [unrolled: 3-line block ×3, first 2 shown]
.LBB106_65:
	s_or_b64 exec, exec, s[8:9]
	v_fma_f64 v[8:9], v[12:13], v[8:9], 0
	v_fmac_f64_e32 v[8:9], v[14:15], v[10:11]
	v_fmac_f64_e32 v[8:9], v[4:5], v[0:1]
	;; [unrolled: 1-line block ×3, first 2 shown]
	s_barrier
	ds_write_b64 v29, v[8:9]
	s_waitcnt lgkmcnt(0)
	s_barrier
	s_and_saveexec_b64 s[6:7], s[4:5]
	s_cbranch_execz .LBB106_67
; %bb.66:
	v_lshlrev_b32_e32 v14, 3, v28
	ds_read2_b64 v[0:3], v14 offset1:1
	ds_read2_b64 v[4:7], v14 offset0:2 offset1:3
	ds_read2_b64 v[8:11], v14 offset0:4 offset1:5
	s_waitcnt lgkmcnt(2)
	v_add_f64 v[0:1], v[18:19], v[0:1]
	v_add_f64 v[12:13], v[0:1], v[2:3]
	ds_read2_b64 v[0:3], v14 offset0:6 offset1:7
	s_waitcnt lgkmcnt(2)
	v_add_f64 v[4:5], v[12:13], v[4:5]
	v_add_f64 v[4:5], v[4:5], v[6:7]
	s_waitcnt lgkmcnt(1)
	v_add_f64 v[4:5], v[4:5], v[8:9]
	v_add_f64 v[4:5], v[4:5], v[10:11]
	;; [unrolled: 3-line block ×3, first 2 shown]
.LBB106_67:
	s_or_b64 exec, exec, s[6:7]
	s_mul_hi_u32 s4, s33, s3
	s_mul_i32 s41, s41, s3
	s_add_i32 s4, s4, s41
	s_mul_i32 s3, s33, s3
	s_mul_i32 s4, s4, s40
	s_mul_hi_u32 s5, s3, s40
	s_add_i32 s5, s5, s4
	s_mul_i32 s4, s3, s40
	s_lshl_b64 s[4:5], s[4:5], 3
	s_add_u32 s3, s34, s4
	s_mul_i32 s4, s2, s33
	s_addc_u32 s7, s35, s5
	s_ashr_i32 s5, s4, 31
	s_lshl_b64 s[4:5], s[4:5], 3
	s_add_u32 s6, s3, s4
	v_cmp_le_i32_e32 vcc, s28, v26
	s_addc_u32 s7, s7, s5
	s_and_b64 vcc, s[26:27], vcc
	s_cmp_lt_i32 s2, 1
	v_lshlrev_b32_e32 v0, 3, v26
	s_barrier
	s_cbranch_scc1 .LBB106_74
; %bb.68:
	s_mul_i32 s3, s30, s37
	s_mul_hi_u32 s4, s30, s36
	s_add_i32 s3, s4, s3
	s_mul_i32 s4, s31, s36
	s_add_i32 s5, s3, s4
	s_mul_i32 s4, s30, s36
	s_lshl_b64 s[4:5], s[4:5], 3
	v_mov_b32_e32 v1, s5
	v_subrev_co_u32_e64 v2, s[4:5], s4, v20
	v_mov_b32_e32 v4, s23
	s_nop 0
	v_subb_co_u32_e64 v3, s[4:5], v21, v1, s[4:5]
	v_subrev_co_u32_e64 v6, s[4:5], s22, v24
	v_lshlrev_b32_e32 v1, 2, v76
	s_nop 0
	v_subb_co_u32_e64 v7, s[4:5], v25, v4, s[4:5]
	v_lshlrev_b64 v[4:5], 3, v[22:23]
	v_sub_co_u32_e64 v4, s[4:5], v6, v4
	s_ashr_i32 s29, s28, 31
	s_nop 0
	v_subb_co_u32_e64 v5, s[4:5], v7, v5, s[4:5]
	v_mad_u64_u32 v[6:7], s[4:5], v1, s24, 0
	v_mov_b32_e32 v8, v7
	v_mad_u64_u32 v[8:9], s[4:5], v1, s25, v[8:9]
	v_mov_b32_e32 v7, v8
	v_lshl_add_u64 v[6:7], v[6:7], 3, v[4:5]
	s_movk_i32 s4, 0xfef8
	v_lshl_add_u64 v[4:5], s[28:29], 3, v[6:7]
	s_mov_b32 s5, -1
	v_lshl_add_u64 v[8:9], v[4:5], 0, s[4:5]
	v_mov_b32_e32 v5, 0
	v_mov_b32_e32 v1, v5
	s_movk_i32 s4, 0xff00
	v_lshl_add_u64 v[6:7], v[6:7], 0, v[0:1]
	s_mov_b32 s5, -1
	v_lshl_add_u64 v[6:7], v[6:7], 0, s[4:5]
	v_and_b32_e32 v4, 48, v26
	v_and_b32_e32 v10, 15, v26
	v_cndmask_b32_e32 v6, v6, v8, vcc
	v_lshlrev_b32_e32 v8, 3, v4
	s_movk_i32 s3, 0x218
	v_lshrrev_b32_e32 v11, 4, v27
	v_mad_u32_u24 v78, v10, s3, v8
	v_or_b32_e32 v8, 0x78, v0
	v_mad_u32_u24 v79, v10, s3, v8
	v_lshlrev_b32_e32 v8, 5, v11
	v_mad_u32_u24 v80, v10, s3, v8
	v_mov_b32_e32 v8, 0x2180
	v_lshl_add_u32 v81, v76, 5, v8
	v_lshlrev_b32_e32 v8, 3, v11
	v_mad_u32_u24 v83, v10, s3, v8
	s_mul_i32 s3, s25, 24
	s_mul_hi_u32 s14, s24, 24
	s_add_i32 s15, s14, s3
	s_mul_i32 s3, s25, 0x90
	s_mul_hi_u32 s18, s24, 0x90
	s_add_i32 s19, s18, s3
	;; [unrolled: 3-line block ×9, first 2 shown]
	s_mul_i32 s3, s25, 0x108
	s_mul_hi_u32 s33, s24, 0x108
	s_movk_i32 s8, 0x860
	s_add_i32 s43, s33, s3
	s_mul_i32 s3, s25, 0x88
	s_mul_hi_u32 s33, s24, 0x88
	v_cndmask_b32_e32 v7, v7, v9, vcc
	v_add_u32_e32 v1, 0x2180, v0
	v_add_u32_e32 v77, 0x2380, v0
	v_cmp_gt_u32_e64 s[4:5], 64, v27
	v_mad_u32_u24 v82, v76, s8, v0
	s_lshl_b64 s[8:9], s[24:25], 3
	s_lshl_b64 s[10:11], s[24:25], 9
	;; [unrolled: 1-line block ×3, first 2 shown]
	s_mul_i32 s14, s24, 24
	s_mul_i32 s18, s24, 0x90
	;; [unrolled: 1-line block ×10, first 2 shown]
	s_add_i32 s45, s33, s3
	s_mul_i32 s44, s24, 0x88
	s_lshl_b64 s[24:25], s[24:25], 7
	v_or_b32_e32 v84, v4, v10
	s_mov_b32 s3, 0
	s_branch .LBB106_70
.LBB106_69:                             ;   in Loop: Header=BB106_70 Depth=1
	s_or_b64 exec, exec, s[46:47]
	v_fmac_f64_e32 v[18:19], v[8:9], v[20:21]
	v_fmac_f64_e32 v[18:19], v[12:13], v[22:23]
	;; [unrolled: 1-line block ×15, first 2 shown]
	s_add_i32 s3, s3, 64
	s_add_i32 s2, s2, -1
	v_fmac_f64_e32 v[18:19], v[60:61], v[74:75]
	s_cmp_eq_u32 s2, 0
	v_lshl_add_u64 v[6:7], v[6:7], 0, s[10:11]
	s_barrier
	s_cbranch_scc1 .LBB106_74
.LBB106_70:                             ; =>This Inner Loop Header: Depth=1
	s_and_saveexec_b64 s[46:47], s[16:17]
	s_cbranch_execz .LBB106_72
; %bb.71:                               ;   in Loop: Header=BB106_70 Depth=1
	s_mul_i32 s33, s3, s37
	s_mul_hi_u32 s48, s3, s36
	s_add_i32 s49, s48, s33
	s_mul_i32 s48, s3, s36
	v_lshl_add_u64 v[8:9], s[48:49], 3, v[2:3]
	global_load_dwordx2 v[8:9], v[8:9], off
	s_waitcnt vmcnt(0)
	ds_write_b64 v1, v[8:9]
.LBB106_72:                             ;   in Loop: Header=BB106_70 Depth=1
	s_or_b64 exec, exec, s[46:47]
	s_waitcnt lgkmcnt(0)
	s_barrier
	global_load_dwordx2 v[8:9], v[6:7], off
	v_lshl_add_u64 v[14:15], v[6:7], 0, s[8:9]
	v_lshl_add_u64 v[20:21], v[6:7], 0, s[12:13]
	global_load_dwordx2 v[12:13], v[14:15], off
	global_load_dwordx2 v[10:11], v[20:21], off
	v_lshl_add_u64 v[14:15], v[6:7], 0, s[14:15]
	global_load_dwordx2 v[14:15], v[14:15], off
	ds_read_b64 v[22:23], v77
	ds_read_b64 v[20:21], v81
	v_lshl_add_u64 v[36:37], v[6:7], 0, s[24:25]
	v_lshl_add_u64 v[38:39], v[6:7], 0, s[44:45]
	;; [unrolled: 1-line block ×12, first 2 shown]
	s_waitcnt vmcnt(3) lgkmcnt(1)
	v_mul_f64 v[24:25], v[8:9], v[22:23]
	ds_write_b64 v82, v[24:25]
	s_waitcnt vmcnt(2)
	v_mul_f64 v[24:25], v[12:13], v[22:23]
	s_waitcnt vmcnt(1)
	v_mul_f64 v[26:27], v[10:11], v[22:23]
	;; [unrolled: 2-line block ×3, first 2 shown]
	ds_read_b64 v[22:23], v81 offset:8
	ds_write_b64 v82, v[24:25] offset:536
	ds_read_b64 v[24:25], v81 offset:16
	ds_write_b64 v82, v[26:27] offset:1072
	;; [unrolled: 2-line block ×3, first 2 shown]
	s_waitcnt lgkmcnt(0)
	s_barrier
	ds_read2_b64 v[68:71], v80 offset1:1
	ds_read2_b64 v[72:75], v80 offset0:2 offset1:3
	s_waitcnt lgkmcnt(0)
	s_barrier
	global_load_dwordx2 v[34:35], v[36:37], off
	global_load_dwordx2 v[32:33], v[38:39], off
	;; [unrolled: 1-line block ×4, first 2 shown]
	ds_read_b64 v[38:39], v77
	ds_read_b64 v[36:37], v81 offset:128
	v_add_f64 v[68:69], v[68:69], 0
	v_add_f64 v[68:69], v[68:69], v[70:71]
	v_add_f64 v[68:69], v[68:69], v[72:73]
	s_waitcnt vmcnt(3) lgkmcnt(1)
	v_mul_f64 v[40:41], v[34:35], v[38:39]
	s_waitcnt vmcnt(2)
	v_mul_f64 v[42:43], v[32:33], v[38:39]
	ds_write_b64 v82, v[40:41]
	s_waitcnt vmcnt(1)
	v_mul_f64 v[44:45], v[30:31], v[38:39]
	s_waitcnt vmcnt(0)
	v_mul_f64 v[46:47], v[28:29], v[38:39]
	ds_read_b64 v[38:39], v81 offset:136
	ds_write_b64 v82, v[42:43] offset:536
	ds_read_b64 v[40:41], v81 offset:144
	ds_write_b64 v82, v[44:45] offset:1072
	;; [unrolled: 2-line block ×3, first 2 shown]
	s_waitcnt lgkmcnt(0)
	s_barrier
	ds_read2_b64 v[86:89], v80 offset1:1
	ds_read2_b64 v[90:93], v80 offset0:2 offset1:3
	s_waitcnt lgkmcnt(0)
	s_barrier
	global_load_dwordx2 v[50:51], v[52:53], off
	global_load_dwordx2 v[48:49], v[54:55], off
	;; [unrolled: 1-line block ×4, first 2 shown]
	ds_read_b64 v[54:55], v77
	ds_read_b64 v[52:53], v81 offset:256
	s_waitcnt vmcnt(3) lgkmcnt(1)
	v_mul_f64 v[56:57], v[50:51], v[54:55]
	s_waitcnt vmcnt(2)
	v_mul_f64 v[58:59], v[48:49], v[54:55]
	ds_write_b64 v82, v[56:57]
	s_waitcnt vmcnt(1)
	v_mul_f64 v[60:61], v[46:47], v[54:55]
	s_waitcnt vmcnt(0)
	v_mul_f64 v[62:63], v[44:45], v[54:55]
	ds_read_b64 v[54:55], v81 offset:264
	ds_write_b64 v82, v[58:59] offset:536
	ds_read_b64 v[56:57], v81 offset:272
	ds_write_b64 v82, v[60:61] offset:1072
	;; [unrolled: 2-line block ×3, first 2 shown]
	s_waitcnt lgkmcnt(0)
	s_barrier
	ds_read2_b64 v[94:97], v80 offset1:1
	ds_read2_b64 v[98:101], v80 offset0:2 offset1:3
	s_waitcnt lgkmcnt(0)
	s_barrier
	global_load_dwordx2 v[66:67], v[102:103], off
	global_load_dwordx2 v[64:65], v[104:105], off
	;; [unrolled: 1-line block ×4, first 2 shown]
	v_add_f64 v[102:103], v[68:69], v[74:75]
	v_add_f64 v[68:69], v[86:87], 0
	;; [unrolled: 1-line block ×5, first 2 shown]
	ds_read_b64 v[70:71], v77
	ds_read_b64 v[68:69], v81 offset:384
	v_add_f64 v[72:73], v[94:95], 0
	v_add_f64 v[72:73], v[72:73], v[96:97]
	;; [unrolled: 1-line block ×4, first 2 shown]
	s_waitcnt vmcnt(3) lgkmcnt(1)
	v_mul_f64 v[72:73], v[66:67], v[70:71]
	s_waitcnt vmcnt(2)
	v_mul_f64 v[74:75], v[64:65], v[70:71]
	ds_write_b64 v82, v[72:73]
	s_waitcnt vmcnt(1)
	v_mul_f64 v[86:87], v[62:63], v[70:71]
	s_waitcnt vmcnt(0)
	v_mul_f64 v[88:89], v[60:61], v[70:71]
	ds_read_b64 v[70:71], v81 offset:392
	ds_write_b64 v82, v[74:75] offset:536
	ds_read_b64 v[72:73], v81 offset:400
	ds_write_b64 v82, v[86:87] offset:1072
	;; [unrolled: 2-line block ×3, first 2 shown]
	s_waitcnt lgkmcnt(0)
	s_barrier
	ds_read2_b64 v[86:89], v80 offset1:1
	ds_read2_b64 v[90:93], v80 offset0:2 offset1:3
	s_waitcnt lgkmcnt(0)
	s_barrier
	v_add_f64 v[86:87], v[86:87], 0
	v_add_f64 v[86:87], v[86:87], v[88:89]
	;; [unrolled: 1-line block ×4, first 2 shown]
	ds_write2_b64 v83, v[102:103], v[104:105] offset1:16
	ds_write2_b64 v83, v[94:95], v[86:87] offset0:32 offset1:48
	s_waitcnt lgkmcnt(0)
	s_barrier
	s_and_saveexec_b64 s[46:47], s[4:5]
	s_cbranch_execz .LBB106_69
; %bb.73:                               ;   in Loop: Header=BB106_70 Depth=1
	ds_read2_b64 v[86:89], v78 offset1:1
	ds_read2_b64 v[90:93], v78 offset0:2 offset1:3
	ds_read2_b64 v[94:97], v78 offset0:4 offset1:5
	;; [unrolled: 1-line block ×3, first 2 shown]
	v_add_u32_e32 v4, s3, v84
	s_waitcnt lgkmcnt(3)
	v_add_f64 v[86:87], v[86:87], v[88:89]
	s_waitcnt lgkmcnt(2)
	v_add_f64 v[86:87], v[86:87], v[90:91]
	v_add_f64 v[86:87], v[86:87], v[92:93]
	s_waitcnt lgkmcnt(1)
	v_add_f64 v[90:91], v[86:87], v[94:95]
	ds_read2_b64 v[86:89], v78 offset0:8 offset1:9
	v_add_f64 v[90:91], v[90:91], v[96:97]
	s_waitcnt lgkmcnt(1)
	v_add_f64 v[94:95], v[90:91], v[98:99]
	ds_read2_b64 v[90:93], v78 offset0:10 offset1:11
	v_add_f64 v[94:95], v[94:95], v[100:101]
	s_waitcnt lgkmcnt(1)
	v_add_f64 v[86:87], v[94:95], v[86:87]
	v_add_f64 v[94:95], v[86:87], v[88:89]
	ds_read2_b64 v[86:89], v78 offset0:12 offset1:13
	s_waitcnt lgkmcnt(1)
	v_add_f64 v[90:91], v[94:95], v[90:91]
	ds_read_b64 v[94:95], v78 offset:112
	ds_read_b64 v[96:97], v79
	v_add_f64 v[90:91], v[90:91], v[92:93]
	s_waitcnt lgkmcnt(2)
	v_add_f64 v[86:87], v[90:91], v[86:87]
	v_add_f64 v[86:87], v[86:87], v[88:89]
	s_waitcnt lgkmcnt(1)
	v_add_f64 v[86:87], v[86:87], v[94:95]
	s_waitcnt lgkmcnt(0)
	v_add_f64 v[86:87], v[86:87], v[96:97]
	v_lshl_add_u64 v[88:89], v[4:5], 3, s[6:7]
	global_store_dwordx2 v[88:89], v[86:87], off
	s_branch .LBB106_69
.LBB106_74:
	s_movk_i32 s2, 0x218
	s_or_b64 s[0:1], s[0:1], vcc
	v_mad_u32_u24 v1, v76, s2, v0
	s_xor_b64 s[0:1], s[0:1], -1
	ds_write_b64 v1, v[18:19]
	s_waitcnt lgkmcnt(0)
	s_barrier
	s_and_saveexec_b64 s[2:3], s[0:1]
	s_cbranch_execz .LBB106_76
; %bb.75:
	ds_read2_b64 v[2:5], v0 offset1:67
	ds_read2_b64 v[6:9], v0 offset0:134 offset1:201
	s_waitcnt lgkmcnt(1)
	v_add_f64 v[0:1], v[2:3], v[4:5]
	s_waitcnt lgkmcnt(0)
	v_add_f64 v[0:1], v[0:1], v[6:7]
	v_add_f64 v[0:1], v[0:1], v[8:9]
	v_lshl_add_u64 v[2:3], v[16:17], 3, s[6:7]
	global_store_dwordx2 v[2:3], v[0:1], off
.LBB106_76:
	s_endpgm
	.section	.rodata,"a",@progbits
	.p2align	6, 0x0
	.amdhsa_kernel _ZL26rocblas_hemvn_kernel_lowerILb0ELi64ELi4ELi33ELi32ELi16ElPKdS1_PdEviT6_lT7_lT5_lS4_lS5_lS3_lT8_i
		.amdhsa_group_segment_fixed_size 9600
		.amdhsa_private_segment_fixed_size 0
		.amdhsa_kernarg_size 376
		.amdhsa_user_sgpr_count 2
		.amdhsa_user_sgpr_dispatch_ptr 0
		.amdhsa_user_sgpr_queue_ptr 0
		.amdhsa_user_sgpr_kernarg_segment_ptr 1
		.amdhsa_user_sgpr_dispatch_id 0
		.amdhsa_user_sgpr_kernarg_preload_length 0
		.amdhsa_user_sgpr_kernarg_preload_offset 0
		.amdhsa_user_sgpr_private_segment_size 0
		.amdhsa_uses_dynamic_stack 0
		.amdhsa_enable_private_segment 0
		.amdhsa_system_sgpr_workgroup_id_x 1
		.amdhsa_system_sgpr_workgroup_id_y 0
		.amdhsa_system_sgpr_workgroup_id_z 1
		.amdhsa_system_sgpr_workgroup_info 0
		.amdhsa_system_vgpr_workitem_id 1
		.amdhsa_next_free_vgpr 110
		.amdhsa_next_free_sgpr 50
		.amdhsa_accum_offset 112
		.amdhsa_reserve_vcc 1
		.amdhsa_float_round_mode_32 0
		.amdhsa_float_round_mode_16_64 0
		.amdhsa_float_denorm_mode_32 3
		.amdhsa_float_denorm_mode_16_64 3
		.amdhsa_dx10_clamp 1
		.amdhsa_ieee_mode 1
		.amdhsa_fp16_overflow 0
		.amdhsa_tg_split 0
		.amdhsa_exception_fp_ieee_invalid_op 0
		.amdhsa_exception_fp_denorm_src 0
		.amdhsa_exception_fp_ieee_div_zero 0
		.amdhsa_exception_fp_ieee_overflow 0
		.amdhsa_exception_fp_ieee_underflow 0
		.amdhsa_exception_fp_ieee_inexact 0
		.amdhsa_exception_int_div_zero 0
	.end_amdhsa_kernel
	.section	.text._ZL26rocblas_hemvn_kernel_lowerILb0ELi64ELi4ELi33ELi32ELi16ElPKdS1_PdEviT6_lT7_lT5_lS4_lS5_lS3_lT8_i,"axG",@progbits,_ZL26rocblas_hemvn_kernel_lowerILb0ELi64ELi4ELi33ELi32ELi16ElPKdS1_PdEviT6_lT7_lT5_lS4_lS5_lS3_lT8_i,comdat
.Lfunc_end106:
	.size	_ZL26rocblas_hemvn_kernel_lowerILb0ELi64ELi4ELi33ELi32ELi16ElPKdS1_PdEviT6_lT7_lT5_lS4_lS5_lS3_lT8_i, .Lfunc_end106-_ZL26rocblas_hemvn_kernel_lowerILb0ELi64ELi4ELi33ELi32ELi16ElPKdS1_PdEviT6_lT7_lT5_lS4_lS5_lS3_lT8_i
                                        ; -- End function
	.section	.AMDGPU.csdata,"",@progbits
; Kernel info:
; codeLenInByte = 6064
; NumSgprs: 56
; NumVgprs: 110
; NumAgprs: 0
; TotalNumVgprs: 110
; ScratchSize: 0
; MemoryBound: 0
; FloatMode: 240
; IeeeMode: 1
; LDSByteSize: 9600 bytes/workgroup (compile time only)
; SGPRBlocks: 6
; VGPRBlocks: 13
; NumSGPRsForWavesPerEU: 56
; NumVGPRsForWavesPerEU: 110
; AccumOffset: 112
; Occupancy: 4
; WaveLimiterHint : 0
; COMPUTE_PGM_RSRC2:SCRATCH_EN: 0
; COMPUTE_PGM_RSRC2:USER_SGPR: 2
; COMPUTE_PGM_RSRC2:TRAP_HANDLER: 0
; COMPUTE_PGM_RSRC2:TGID_X_EN: 1
; COMPUTE_PGM_RSRC2:TGID_Y_EN: 0
; COMPUTE_PGM_RSRC2:TGID_Z_EN: 1
; COMPUTE_PGM_RSRC2:TIDIG_COMP_CNT: 1
; COMPUTE_PGM_RSRC3_GFX90A:ACCUM_OFFSET: 27
; COMPUTE_PGM_RSRC3_GFX90A:TG_SPLIT: 0
	.section	.text._ZL36rocblas_hemvn_kernel_lower_block_sumILi64ElPKdPddEviT1_lS3_lT2_lT0_lPT3_i,"axG",@progbits,_ZL36rocblas_hemvn_kernel_lower_block_sumILi64ElPKdPddEviT1_lS3_lT2_lT0_lPT3_i,comdat
	.globl	_ZL36rocblas_hemvn_kernel_lower_block_sumILi64ElPKdPddEviT1_lS3_lT2_lT0_lPT3_i ; -- Begin function _ZL36rocblas_hemvn_kernel_lower_block_sumILi64ElPKdPddEviT1_lS3_lT2_lT0_lPT3_i
	.p2align	8
	.type	_ZL36rocblas_hemvn_kernel_lower_block_sumILi64ElPKdPddEviT1_lS3_lT2_lT0_lPT3_i,@function
_ZL36rocblas_hemvn_kernel_lower_block_sumILi64ElPKdPddEviT1_lS3_lT2_lT0_lPT3_i: ; @_ZL36rocblas_hemvn_kernel_lower_block_sumILi64ElPKdPddEviT1_lS3_lT2_lT0_lPT3_i
; %bb.0:
	s_load_dwordx8 s[8:15], s[0:1], 0x8
	s_waitcnt lgkmcnt(0)
	s_mul_i32 s4, s3, s11
	s_mul_hi_u32 s5, s3, s10
	s_add_i32 s5, s5, s4
	s_mul_i32 s4, s3, s10
	s_lshl_b64 s[4:5], s[4:5], 3
	s_add_u32 s4, s8, s4
	s_addc_u32 s5, s9, s5
	s_load_dwordx2 s[8:9], s[4:5], 0x0
	s_mul_i32 s4, s3, s15
	s_mul_hi_u32 s5, s3, s14
	s_add_i32 s5, s5, s4
	s_mul_i32 s4, s3, s14
	s_lshl_b64 s[4:5], s[4:5], 3
	s_add_u32 s4, s12, s4
	s_addc_u32 s5, s13, s5
	s_load_dwordx2 s[12:13], s[4:5], 0x0
	s_waitcnt lgkmcnt(0)
	v_cmp_eq_f64_e64 s[4:5], s[8:9], 0
	v_cmp_eq_f64_e64 s[6:7], s[12:13], 1.0
	s_and_b64 s[4:5], s[4:5], s[6:7]
	s_and_b64 vcc, exec, s[4:5]
	s_cbranch_vccnz .LBB107_19
; %bb.1:
	s_load_dwordx2 s[10:11], s[0:1], 0x40
	s_load_dwordx4 s[4:7], s[0:1], 0x30
	s_load_dwordx2 s[14:15], s[0:1], 0x28
	s_load_dword s16, s[0:1], 0x0
	v_lshl_or_b32 v6, s2, 6, v0
	s_waitcnt lgkmcnt(0)
	s_mul_i32 s11, s3, s11
	s_mul_hi_u32 s17, s3, s10
	s_add_i32 s11, s17, s11
	s_mul_i32 s10, s3, s10
	s_lshl_b64 s[10:11], s[10:11], 3
	s_add_u32 s10, s14, s10
	s_addc_u32 s11, s15, s11
	s_lshl_b64 s[4:5], s[4:5], 3
	s_add_u32 s10, s10, s4
	s_addc_u32 s11, s11, s5
	v_cmp_neq_f64_e64 s[4:5], s[8:9], 0
	s_mov_b64 s[14:15], 0
	s_and_b64 vcc, exec, s[4:5]
	v_cmp_gt_i32_e64 s[4:5], s16, v6
	s_cbranch_vccnz .LBB107_6
; %bb.2:
	s_mov_b64 s[18:19], 0
                                        ; implicit-def: $vgpr0_vgpr1
                                        ; implicit-def: $vgpr2_vgpr3
	s_and_saveexec_b64 s[20:21], s[4:5]
	s_cbranch_execz .LBB107_7
; %bb.3:
	v_ashrrev_i32_e32 v2, 31, v6
	v_cmp_eq_f64_e64 s[4:5], s[12:13], 0
	v_mul_lo_u32 v4, v6, s7
	v_mul_lo_u32 v5, v2, s6
	v_mad_u64_u32 v[2:3], s[14:15], v6, s6, 0
	v_mov_b64_e32 v[0:1], 0
	v_add3_u32 v3, v3, v4, v5
	s_and_b64 vcc, exec, s[4:5]
	s_cbranch_vccnz .LBB107_5
; %bb.4:
	v_lshl_add_u64 v[0:1], v[2:3], 3, s[10:11]
	global_load_dwordx2 v[0:1], v[0:1], off
	s_waitcnt vmcnt(0)
	v_mul_f64 v[0:1], s[12:13], v[0:1]
.LBB107_5:
	s_mov_b64 s[14:15], exec
	s_or_b64 exec, exec, s[20:21]
	s_and_b64 vcc, exec, s[18:19]
	s_cbranch_vccnz .LBB107_8
	s_branch .LBB107_17
.LBB107_6:
                                        ; implicit-def: $vgpr0_vgpr1
                                        ; implicit-def: $vgpr2_vgpr3
	s_cbranch_execnz .LBB107_8
	s_branch .LBB107_17
.LBB107_7:
	s_or_b64 exec, exec, s[20:21]
	s_and_b64 vcc, exec, s[18:19]
	s_cbranch_vccz .LBB107_17
.LBB107_8:
	v_cmp_gt_i32_e32 vcc, s16, v6
                                        ; implicit-def: $vgpr0_vgpr1
                                        ; implicit-def: $vgpr2_vgpr3
	s_and_saveexec_b64 s[4:5], vcc
	s_cbranch_execz .LBB107_16
; %bb.9:
	s_load_dword s18, s[0:1], 0x58
	v_mov_b64_e32 v[4:5], 0
	s_waitcnt lgkmcnt(0)
	s_cmp_ge_i32 s2, s18
	s_cbranch_scc1 .LBB107_12
; %bb.10:
	s_ashr_i32 s17, s16, 31
	s_mul_i32 s19, s2, s16
	s_load_dwordx2 s[0:1], s[0:1], 0x48
	v_add_u32_e32 v0, s19, v6
	s_mul_hi_u32 s19, s16, s3
	s_mul_i32 s20, s17, s3
	s_add_i32 s19, s19, s20
	s_mul_i32 s3, s16, s3
	s_mul_i32 s19, s19, s18
	s_mul_hi_u32 s20, s3, s18
	s_add_i32 s21, s20, s19
	s_mul_i32 s20, s3, s18
	s_lshl_b64 s[20:21], s[20:21], 3
	s_waitcnt lgkmcnt(0)
	s_add_u32 s0, s0, s20
	v_ashrrev_i32_e32 v1, 31, v0
	s_addc_u32 s1, s1, s21
	v_lshl_add_u64 v[0:1], v[0:1], 3, s[0:1]
	s_lshl_b64 s[0:1], s[16:17], 3
	v_mov_b64_e32 v[4:5], 0
.LBB107_11:                             ; =>This Inner Loop Header: Depth=1
	global_load_dwordx2 v[2:3], v[0:1], off
	s_add_i32 s2, s2, 1
	v_lshl_add_u64 v[0:1], v[0:1], 0, s[0:1]
	s_cmp_ge_i32 s2, s18
	s_waitcnt vmcnt(0)
	v_add_f64 v[4:5], v[4:5], v[2:3]
	s_cbranch_scc0 .LBB107_11
.LBB107_12:
	v_cmp_eq_f64_e64 s[2:3], s[12:13], 0
	v_ashrrev_i32_e32 v0, 31, v6
	s_mov_b64 s[0:1], 0
	s_and_b64 vcc, exec, s[2:3]
	v_mul_lo_u32 v7, v6, s7
	v_mul_lo_u32 v8, v0, s6
	s_cbranch_vccz .LBB107_20
; %bb.13:
	v_mad_u64_u32 v[2:3], s[2:3], v6, s6, 0
	v_mul_f64 v[0:1], s[8:9], v[4:5]
	v_add3_u32 v3, v3, v7, v8
	s_andn2_b64 vcc, exec, s[0:1]
	s_cbranch_vccnz .LBB107_15
.LBB107_14:
	v_mad_u64_u32 v[2:3], s[0:1], v6, s6, 0
	v_add3_u32 v3, v3, v7, v8
	v_lshl_add_u64 v[0:1], v[2:3], 3, s[10:11]
	global_load_dwordx2 v[0:1], v[0:1], off
	s_waitcnt vmcnt(0)
	v_mul_f64 v[0:1], s[12:13], v[0:1]
	v_fmac_f64_e32 v[0:1], s[8:9], v[4:5]
.LBB107_15:
	s_or_b64 s[14:15], s[14:15], exec
.LBB107_16:
	s_or_b64 exec, exec, s[4:5]
.LBB107_17:
	s_and_saveexec_b64 s[0:1], s[14:15]
	s_cbranch_execz .LBB107_19
; %bb.18:
	v_lshl_add_u64 v[2:3], v[2:3], 3, s[10:11]
	global_store_dwordx2 v[2:3], v[0:1], off
.LBB107_19:
	s_endpgm
.LBB107_20:
                                        ; implicit-def: $vgpr0_vgpr1
                                        ; implicit-def: $vgpr2_vgpr3
	s_branch .LBB107_14
	.section	.rodata,"a",@progbits
	.p2align	6, 0x0
	.amdhsa_kernel _ZL36rocblas_hemvn_kernel_lower_block_sumILi64ElPKdPddEviT1_lS3_lT2_lT0_lPT3_i
		.amdhsa_group_segment_fixed_size 0
		.amdhsa_private_segment_fixed_size 0
		.amdhsa_kernarg_size 344
		.amdhsa_user_sgpr_count 2
		.amdhsa_user_sgpr_dispatch_ptr 0
		.amdhsa_user_sgpr_queue_ptr 0
		.amdhsa_user_sgpr_kernarg_segment_ptr 1
		.amdhsa_user_sgpr_dispatch_id 0
		.amdhsa_user_sgpr_kernarg_preload_length 0
		.amdhsa_user_sgpr_kernarg_preload_offset 0
		.amdhsa_user_sgpr_private_segment_size 0
		.amdhsa_uses_dynamic_stack 0
		.amdhsa_enable_private_segment 0
		.amdhsa_system_sgpr_workgroup_id_x 1
		.amdhsa_system_sgpr_workgroup_id_y 0
		.amdhsa_system_sgpr_workgroup_id_z 1
		.amdhsa_system_sgpr_workgroup_info 0
		.amdhsa_system_vgpr_workitem_id 0
		.amdhsa_next_free_vgpr 9
		.amdhsa_next_free_sgpr 22
		.amdhsa_accum_offset 12
		.amdhsa_reserve_vcc 1
		.amdhsa_float_round_mode_32 0
		.amdhsa_float_round_mode_16_64 0
		.amdhsa_float_denorm_mode_32 3
		.amdhsa_float_denorm_mode_16_64 3
		.amdhsa_dx10_clamp 1
		.amdhsa_ieee_mode 1
		.amdhsa_fp16_overflow 0
		.amdhsa_tg_split 0
		.amdhsa_exception_fp_ieee_invalid_op 0
		.amdhsa_exception_fp_denorm_src 0
		.amdhsa_exception_fp_ieee_div_zero 0
		.amdhsa_exception_fp_ieee_overflow 0
		.amdhsa_exception_fp_ieee_underflow 0
		.amdhsa_exception_fp_ieee_inexact 0
		.amdhsa_exception_int_div_zero 0
	.end_amdhsa_kernel
	.section	.text._ZL36rocblas_hemvn_kernel_lower_block_sumILi64ElPKdPddEviT1_lS3_lT2_lT0_lPT3_i,"axG",@progbits,_ZL36rocblas_hemvn_kernel_lower_block_sumILi64ElPKdPddEviT1_lS3_lT2_lT0_lPT3_i,comdat
.Lfunc_end107:
	.size	_ZL36rocblas_hemvn_kernel_lower_block_sumILi64ElPKdPddEviT1_lS3_lT2_lT0_lPT3_i, .Lfunc_end107-_ZL36rocblas_hemvn_kernel_lower_block_sumILi64ElPKdPddEviT1_lS3_lT2_lT0_lPT3_i
                                        ; -- End function
	.section	.AMDGPU.csdata,"",@progbits
; Kernel info:
; codeLenInByte = 688
; NumSgprs: 28
; NumVgprs: 9
; NumAgprs: 0
; TotalNumVgprs: 9
; ScratchSize: 0
; MemoryBound: 0
; FloatMode: 240
; IeeeMode: 1
; LDSByteSize: 0 bytes/workgroup (compile time only)
; SGPRBlocks: 3
; VGPRBlocks: 1
; NumSGPRsForWavesPerEU: 28
; NumVGPRsForWavesPerEU: 9
; AccumOffset: 12
; Occupancy: 8
; WaveLimiterHint : 0
; COMPUTE_PGM_RSRC2:SCRATCH_EN: 0
; COMPUTE_PGM_RSRC2:USER_SGPR: 2
; COMPUTE_PGM_RSRC2:TRAP_HANDLER: 0
; COMPUTE_PGM_RSRC2:TGID_X_EN: 1
; COMPUTE_PGM_RSRC2:TGID_Y_EN: 0
; COMPUTE_PGM_RSRC2:TGID_Z_EN: 1
; COMPUTE_PGM_RSRC2:TIDIG_COMP_CNT: 0
; COMPUTE_PGM_RSRC3_GFX90A:ACCUM_OFFSET: 2
; COMPUTE_PGM_RSRC3_GFX90A:TG_SPLIT: 0
	.section	.text._ZL26rocblas_hemvn_kernel_lowerILb0ELi64ELi4ELi33ELi32ELi16EiPKdS1_PdEviT6_lT7_lT5_lS4_lS5_lS3_lT8_i,"axG",@progbits,_ZL26rocblas_hemvn_kernel_lowerILb0ELi64ELi4ELi33ELi32ELi16EiPKdS1_PdEviT6_lT7_lT5_lS4_lS5_lS3_lT8_i,comdat
	.globl	_ZL26rocblas_hemvn_kernel_lowerILb0ELi64ELi4ELi33ELi32ELi16EiPKdS1_PdEviT6_lT7_lT5_lS4_lS5_lS3_lT8_i ; -- Begin function _ZL26rocblas_hemvn_kernel_lowerILb0ELi64ELi4ELi33ELi32ELi16EiPKdS1_PdEviT6_lT7_lT5_lS4_lS5_lS3_lT8_i
	.p2align	8
	.type	_ZL26rocblas_hemvn_kernel_lowerILb0ELi64ELi4ELi33ELi32ELi16EiPKdS1_PdEviT6_lT7_lT5_lS4_lS5_lS3_lT8_i,@function
_ZL26rocblas_hemvn_kernel_lowerILb0ELi64ELi4ELi33ELi32ELi16EiPKdS1_PdEviT6_lT7_lT5_lS4_lS5_lS3_lT8_i: ; @_ZL26rocblas_hemvn_kernel_lowerILb0ELi64ELi4ELi33ELi32ELi16EiPKdS1_PdEviT6_lT7_lT5_lS4_lS5_lS3_lT8_i
; %bb.0:
	s_load_dwordx2 s[4:5], s[0:1], 0x84
	s_add_u32 s12, s0, 0x78
	s_addc_u32 s13, s1, 0
	s_waitcnt lgkmcnt(0)
	s_lshr_b32 s6, s4, 16
	s_and_b32 s4, s4, 0xffff
	s_and_b32 s5, s5, 0xffff
	s_mul_i32 s4, s6, s4
	s_mul_i32 s4, s4, s5
	s_cmpk_lg_i32 s4, 0x100
	s_cbranch_scc1 .LBB108_76
; %bb.1:
	s_load_dwordx8 s[4:11], s[0:1], 0x8
	s_load_dwordx8 s[16:23], s[0:1], 0x50
	s_waitcnt lgkmcnt(0)
	s_mul_i32 s7, s3, s7
	s_mul_hi_u32 s14, s3, s6
	s_mul_i32 s6, s3, s6
	s_add_i32 s7, s14, s7
	s_lshl_b64 s[6:7], s[6:7], 3
	s_mul_i32 s15, s3, s21
	s_add_u32 s4, s4, s6
	s_mul_hi_u32 s6, s3, s20
	s_addc_u32 s5, s5, s7
	s_add_i32 s7, s6, s15
	s_mul_i32 s6, s3, s20
	s_lshl_b64 s[6:7], s[6:7], 3
	s_add_u32 s6, s18, s6
	s_addc_u32 s7, s19, s7
	s_load_dwordx2 s[4:5], s[4:5], 0x0
	s_waitcnt lgkmcnt(0)
	v_cmp_eq_f64_e64 s[4:5], s[4:5], 0
	s_load_dwordx2 s[6:7], s[6:7], 0x0
	s_waitcnt lgkmcnt(0)
	v_cmp_eq_f64_e64 s[6:7], s[6:7], 1.0
	s_and_b64 s[6:7], s[4:5], s[6:7]
	s_and_b64 vcc, exec, s[6:7]
	s_cbranch_vccnz .LBB108_76
; %bb.2:
	s_and_b64 vcc, exec, s[4:5]
	s_cbranch_vccnz .LBB108_76
; %bb.3:
	s_load_dword s39, s[12:13], 0x0
	s_load_dword s38, s[0:1], 0x0
	s_load_dwordx4 s[4:7], s[0:1], 0x30
	s_load_dwordx2 s[14:15], s[0:1], 0x40
	s_load_dword s33, s[0:1], 0x48
	s_mul_i32 s12, s3, s17
	s_mul_hi_u32 s13, s3, s16
	s_add_i32 s13, s13, s12
	s_mul_i32 s12, s3, s16
	s_lshl_b64 s[12:13], s[12:13], 3
	s_waitcnt lgkmcnt(0)
	s_add_u32 s12, s6, s12
	s_addc_u32 s13, s7, s13
	s_lshl_b64 s[6:7], s[14:15], 3
	s_add_u32 s6, s12, s6
	s_addc_u32 s7, s13, s7
	s_ashr_i32 s40, s38, 31
	s_lshr_b32 s13, s40, 26
	v_and_b32_e32 v26, 0x3ff, v0
	s_lshl_b32 s26, s2, 6
	s_add_i32 s13, s38, s13
	s_andn2_b32 s13, s13, 63
	v_add_u32_e32 v16, s26, v26
	v_bfe_u32 v17, v0, 10, 10
	s_add_i32 s12, s39, -1
	s_sub_i32 s13, s38, s13
	v_mul_lo_u32 v0, v16, s33
	s_cmp_eq_u32 s2, s12
	v_ashrrev_i32_e32 v1, 31, v0
	s_cselect_b32 s24, s13, 0
	v_lshl_add_u64 v[20:21], v[0:1], 3, s[6:7]
	v_cmp_ne_u32_e64 s[16:17], 0, v17
	v_cmp_eq_u32_e64 s[18:19], 0, v17
	s_and_saveexec_b64 s[6:7], s[18:19]
	s_cbranch_execz .LBB108_7
; %bb.4:
	s_cmp_eq_u32 s24, 0
	s_cselect_b64 s[12:13], -1, 0
	v_cmp_gt_i32_e32 vcc, s24, v26
	s_or_b64 s[14:15], s[12:13], vcc
	v_mov_b64_e32 v[0:1], 0
	s_and_saveexec_b64 s[12:13], s[14:15]
	s_cbranch_execz .LBB108_6
; %bb.5:
	global_load_dwordx2 v[0:1], v[20:21], off
.LBB108_6:
	s_or_b64 exec, exec, s[12:13]
	v_lshlrev_b32_e32 v2, 3, v26
	s_waitcnt vmcnt(0)
	ds_write_b64 v2, v[0:1] offset:9088
.LBB108_7:
	s_or_b64 exec, exec, s[6:7]
	s_mul_i32 s5, s3, s5
	s_mul_hi_u32 s6, s3, s4
	s_add_i32 s5, s6, s5
	s_mul_i32 s4, s3, s4
	s_lshl_b64 s[4:5], s[4:5], 3
	s_add_u32 s6, s8, s4
	s_addc_u32 s7, s9, s5
	s_lshl_b64 s[4:5], s[10:11], 3
	s_load_dword s20, s[0:1], 0x28
	s_add_u32 s4, s6, s4
	s_addc_u32 s5, s7, s5
	s_ashr_i32 s27, s26, 31
	v_lshl_add_u32 v27, v17, 6, v26
	s_lshl_b64 s[0:1], s[26:27], 3
	v_and_b32_e32 v0, 31, v26
	v_lshrrev_b32_e32 v12, 5, v27
	s_add_u32 s4, s4, s0
	s_addc_u32 s5, s5, s1
	s_waitcnt lgkmcnt(0)
	v_mad_u64_u32 v[22:23], s[0:1], v12, s20, v[0:1]
	s_mul_i32 s0, s26, s20
	s_ashr_i32 s1, s0, 31
	s_lshl_b64 s[28:29], s[0:1], 3
	s_add_u32 s0, s28, s4
	s_addc_u32 s1, s29, s5
	s_cmp_lg_u32 s24, 0
	v_ashrrev_i32_e32 v23, 31, v22
	s_cselect_b64 s[30:31], -1, 0
	s_cmp_eq_u32 s24, 0
	v_lshl_add_u64 v[2:3], v[22:23], 3, s[0:1]
	s_cselect_b64 s[34:35], -1, 0
	s_and_b64 vcc, exec, s[30:31]
	s_cbranch_vccnz .LBB108_9
; %bb.8:
	s_lshl_b32 s0, s20, 3
	s_ashr_i32 s1, s0, 31
	s_ashr_i32 s21, s20, 31
	global_load_dwordx2 v[4:5], v[2:3], off
	v_lshl_add_u64 v[6:7], s[0:1], 3, v[2:3]
	global_load_dwordx2 v[8:9], v[6:7], off
	s_lshl_b64 s[0:1], s[20:21], 6
	v_lshl_add_u64 v[6:7], v[6:7], 0, s[0:1]
	global_load_dwordx2 v[10:11], v[6:7], off
	v_lshl_add_u64 v[6:7], v[6:7], 0, s[0:1]
	global_load_dwordx2 v[6:7], v[6:7], off
	v_mul_u32_u24_e32 v1, 33, v12
	v_add_lshl_u32 v1, v1, v0, 3
	s_waitcnt vmcnt(3)
	ds_write_b64 v1, v[4:5]
	s_waitcnt vmcnt(2)
	ds_write_b64 v1, v[8:9] offset:2112
	s_waitcnt vmcnt(1)
	ds_write_b64 v1, v[10:11] offset:4224
	;; [unrolled: 2-line block ×3, first 2 shown]
	s_cbranch_execz .LBB108_10
	s_branch .LBB108_19
.LBB108_9:
.LBB108_10:
	v_lshlrev_b32_e32 v4, 3, v0
	v_sub_co_u32_e32 v6, vcc, v2, v4
	s_ashr_i32 s25, s24, 31
	s_nop 0
	v_subbrev_co_u32_e32 v7, vcc, 0, v3, vcc
	v_lshl_add_u64 v[6:7], s[24:25], 3, v[6:7]
	v_lshl_add_u64 v[6:7], v[6:7], 0, -8
	v_cmp_gt_i32_e32 vcc, s24, v0
	v_mov_b64_e32 v[8:9], 0
	v_cmp_gt_i32_e64 s[0:1], s24, v12
	v_cndmask_b32_e32 v7, v7, v3, vcc
	v_cndmask_b32_e32 v6, v6, v2, vcc
	v_mov_b64_e32 v[10:11], v[8:9]
	s_and_saveexec_b64 s[4:5], s[0:1]
	s_cbranch_execz .LBB108_12
; %bb.11:
	global_load_dwordx2 v[10:11], v[6:7], off
.LBB108_12:
	s_or_b64 exec, exec, s[4:5]
	v_mul_u32_u24_e32 v1, 33, v12
	v_add_u32_e32 v5, 8, v12
	v_add_lshl_u32 v1, v1, v0, 3
	v_cmp_gt_i32_e64 s[0:1], s24, v5
	s_waitcnt vmcnt(0)
	ds_write_b64 v1, v[10:11]
	s_and_saveexec_b64 s[4:5], s[0:1]
	s_cbranch_execz .LBB108_14
; %bb.13:
	s_lshl_b32 s0, s20, 3
	s_ashr_i32 s1, s0, 31
	v_lshl_add_u64 v[8:9], s[0:1], 3, v[6:7]
	global_load_dwordx2 v[8:9], v[8:9], off
.LBB108_14:
	s_or_b64 exec, exec, s[4:5]
	s_waitcnt vmcnt(0)
	ds_write_b64 v1, v[8:9] offset:2112
	v_add_u32_e32 v5, 16, v12
	v_mov_b64_e32 v[8:9], 0
	v_cmp_gt_i32_e64 s[0:1], s24, v5
	v_mov_b64_e32 v[10:11], v[8:9]
	s_and_saveexec_b64 s[4:5], s[0:1]
	s_cbranch_execz .LBB108_16
; %bb.15:
	s_lshl_b32 s0, s20, 4
	s_ashr_i32 s1, s0, 31
	v_lshl_add_u64 v[10:11], s[0:1], 3, v[6:7]
	global_load_dwordx2 v[10:11], v[10:11], off
.LBB108_16:
	s_or_b64 exec, exec, s[4:5]
	v_add_u32_e32 v5, 24, v12
	v_cmp_gt_i32_e64 s[0:1], s24, v5
	s_waitcnt vmcnt(0)
	ds_write_b64 v1, v[10:11] offset:4224
	s_and_saveexec_b64 s[4:5], s[0:1]
	s_cbranch_execz .LBB108_18
; %bb.17:
	s_mul_i32 s0, s20, 24
	s_ashr_i32 s1, s0, 31
	v_lshl_add_u64 v[8:9], s[0:1], 3, v[6:7]
	global_load_dwordx2 v[8:9], v[8:9], off
.LBB108_18:
	s_or_b64 exec, exec, s[4:5]
	v_mov_b32_e32 v5, 0
	v_lshl_add_u64 v[4:5], v[6:7], 0, v[4:5]
	s_lshl_b64 s[0:1], s[24:25], 3
	s_waitcnt vmcnt(0)
	ds_write_b64 v1, v[8:9] offset:6336
	v_mov_b32_e32 v1, s1
	v_subrev_co_u32_e64 v4, s[0:1], s0, v4
	s_nop 1
	v_subb_co_u32_e64 v5, s[0:1], v5, v1, s[0:1]
	v_lshl_add_u64 v[4:5], v[4:5], 0, 8
	v_cndmask_b32_e32 v3, v5, v3, vcc
	v_cndmask_b32_e32 v2, v4, v2, vcc
.LBB108_19:
	v_lshlrev_b32_e32 v4, 2, v12
	v_mul_u32_u24_e32 v28, 33, v0
	v_cmp_lt_u32_e64 s[6:7], v4, v0
	v_add_lshl_u32 v30, v4, v28, 3
	s_waitcnt lgkmcnt(0)
	s_barrier
	s_and_saveexec_b64 s[0:1], s[6:7]
	s_cbranch_execz .LBB108_21
; %bb.20:
	v_mul_u32_u24_e32 v1, 0x84, v12
	v_add_lshl_u32 v1, v1, v0, 3
	ds_read_b64 v[6:7], v1
	s_waitcnt lgkmcnt(0)
	ds_write_b64 v30, v[6:7]
.LBB108_21:
	s_or_b64 exec, exec, s[0:1]
	v_or_b32_e32 v1, 1, v4
	v_cmp_lt_u32_e64 s[8:9], v1, v0
	s_and_saveexec_b64 s[0:1], s[8:9]
	s_cbranch_execz .LBB108_23
; %bb.22:
	v_mul_u32_u24_e32 v1, 33, v1
	v_add_lshl_u32 v1, v1, v0, 3
	ds_read_b64 v[6:7], v1
	s_waitcnt lgkmcnt(0)
	ds_write_b64 v30, v[6:7] offset:8
.LBB108_23:
	s_or_b64 exec, exec, s[0:1]
	v_or_b32_e32 v1, 2, v4
	v_cmp_lt_u32_e64 s[10:11], v1, v0
	s_and_saveexec_b64 s[0:1], s[10:11]
	s_cbranch_execz .LBB108_25
; %bb.24:
	v_mul_u32_u24_e32 v1, 33, v1
	v_add_lshl_u32 v1, v1, v0, 3
	ds_read_b64 v[6:7], v1
	s_waitcnt lgkmcnt(0)
	ds_write_b64 v30, v[6:7] offset:16
.LBB108_25:
	s_or_b64 exec, exec, s[0:1]
	v_or_b32_e32 v1, 3, v4
	v_cmp_lt_u32_e64 s[12:13], v1, v0
	v_mad_u32_u24 v1, v1, 33, v0
	v_lshlrev_b32_e32 v1, 3, v1
	s_and_saveexec_b64 s[0:1], s[12:13]
	s_cbranch_execz .LBB108_27
; %bb.26:
	ds_read_b64 v[6:7], v1
	s_waitcnt lgkmcnt(0)
	ds_write_b64 v30, v[6:7] offset:24
.LBB108_27:
	s_or_b64 exec, exec, s[0:1]
	v_mul_u32_u24_e32 v5, 0x84, v12
	v_add_lshl_u32 v14, v5, v0, 3
	s_waitcnt lgkmcnt(0)
	s_barrier
	v_lshlrev_b32_e32 v13, 3, v4
	ds_read_b64 v[24:25], v14
	ds_read_b128 v[4:7], v13 offset:9088
	v_add_u32_e32 v15, 0xfffffdf0, v1
	ds_read2_b64 v[8:11], v15 offset1:33
	ds_read_b128 v[32:35], v13 offset:9104
	ds_read_b64 v[36:37], v1
	v_mov_b64_e32 v[18:19], 0
	v_add_lshl_u32 v29, v12, v28, 3
	s_waitcnt lgkmcnt(3)
	v_fma_f64 v[4:5], v[24:25], v[4:5], 0
	s_waitcnt lgkmcnt(2)
	v_fmac_f64_e32 v[4:5], v[8:9], v[6:7]
	s_waitcnt lgkmcnt(1)
	v_fmac_f64_e32 v[4:5], v[10:11], v[32:33]
	;; [unrolled: 2-line block ×3, first 2 shown]
	v_cmp_gt_u32_e64 s[4:5], 32, v27
	s_barrier
	ds_write_b64 v29, v[4:5]
	s_waitcnt lgkmcnt(0)
	s_barrier
	s_and_saveexec_b64 s[0:1], s[4:5]
	s_cbranch_execz .LBB108_29
; %bb.28:
	v_lshlrev_b32_e32 v24, 3, v28
	ds_read2_b64 v[4:7], v24 offset1:1
	ds_read2_b64 v[8:11], v24 offset0:2 offset1:3
	ds_read2_b64 v[32:35], v24 offset0:4 offset1:5
	s_waitcnt lgkmcnt(2)
	v_add_f64 v[18:19], v[4:5], v[6:7]
	ds_read2_b64 v[4:7], v24 offset0:6 offset1:7
	s_waitcnt lgkmcnt(2)
	v_add_f64 v[8:9], v[18:19], v[8:9]
	v_add_f64 v[8:9], v[8:9], v[10:11]
	s_waitcnt lgkmcnt(1)
	v_add_f64 v[8:9], v[8:9], v[32:33]
	v_add_f64 v[8:9], v[8:9], v[34:35]
	s_waitcnt lgkmcnt(0)
	v_add_f64 v[4:5], v[8:9], v[4:5]
	v_add_f64 v[18:19], v[4:5], v[6:7]
.LBB108_29:
	s_or_b64 exec, exec, s[0:1]
	s_lshl_b32 s36, s20, 5
	s_ashr_i32 s37, s36, 31
	v_lshl_add_u64 v[4:5], s[36:37], 3, v[2:3]
	s_mov_b64 s[0:1], 0x100
	v_cndmask_b32_e64 v2, 0, 1, s[34:35]
	v_cmp_ne_u32_e64 s[14:15], 1, v2
	s_andn2_b64 vcc, exec, s[34:35]
	v_lshl_add_u64 v[2:3], v[4:5], 0, s[0:1]
	s_barrier
	s_cbranch_vccnz .LBB108_31
; %bb.30:
	s_lshl_b32 s0, s20, 3
	s_ashr_i32 s1, s0, 31
	s_ashr_i32 s21, s20, 31
	v_lshl_add_u64 v[6:7], s[0:1], 3, v[4:5]
	s_lshl_b64 s[0:1], s[20:21], 6
	v_lshl_add_u64 v[8:9], v[6:7], 0, s[0:1]
	v_lshl_add_u64 v[10:11], v[8:9], 0, s[0:1]
	global_load_dwordx2 v[24:25], v[4:5], off offset:256
	global_load_dwordx2 v[32:33], v[6:7], off offset:256
	;; [unrolled: 1-line block ×4, first 2 shown]
	v_mul_u32_u24_e32 v4, 33, v12
	v_add_lshl_u32 v4, v4, v0, 3
	s_waitcnt vmcnt(3)
	ds_write_b64 v4, v[24:25]
	s_waitcnt vmcnt(2)
	ds_write_b64 v4, v[32:33] offset:2112
	s_waitcnt vmcnt(1)
	ds_write_b64 v4, v[34:35] offset:4224
	;; [unrolled: 2-line block ×3, first 2 shown]
	s_cbranch_execz .LBB108_32
	s_branch .LBB108_41
.LBB108_31:
.LBB108_32:
	v_lshlrev_b32_e32 v4, 3, v0
	v_sub_co_u32_e32 v6, vcc, v2, v4
	s_ashr_i32 s25, s24, 31
	s_nop 0
	v_subbrev_co_u32_e32 v7, vcc, 0, v3, vcc
	s_movk_i32 s0, 0xfef8
	v_or_b32_e32 v5, 32, v0
	v_lshl_add_u64 v[6:7], s[24:25], 3, v[6:7]
	s_mov_b32 s1, -1
	v_lshl_add_u64 v[6:7], v[6:7], 0, s[0:1]
	v_cmp_gt_i32_e32 vcc, s24, v5
	s_sub_i32 s21, s24, 32
	v_mov_b64_e32 v[8:9], 0
	v_cndmask_b32_e32 v7, v7, v3, vcc
	v_cndmask_b32_e32 v6, v6, v2, vcc
	v_cmp_gt_i32_e64 s[0:1], s21, v12
	v_mov_b64_e32 v[10:11], v[8:9]
	s_and_saveexec_b64 s[34:35], s[0:1]
	s_cbranch_execz .LBB108_34
; %bb.33:
	global_load_dwordx2 v[10:11], v[6:7], off
.LBB108_34:
	s_or_b64 exec, exec, s[34:35]
	v_mul_u32_u24_e32 v5, 33, v12
	v_add_lshl_u32 v5, v5, v0, 3
	s_waitcnt vmcnt(0)
	ds_write_b64 v5, v[10:11]
	v_add_u32_e32 v10, 8, v12
	v_cmp_gt_i32_e64 s[0:1], s21, v10
	s_and_saveexec_b64 s[34:35], s[0:1]
	s_cbranch_execz .LBB108_36
; %bb.35:
	s_lshl_b32 s0, s20, 3
	s_ashr_i32 s1, s0, 31
	v_lshl_add_u64 v[8:9], s[0:1], 3, v[6:7]
	global_load_dwordx2 v[8:9], v[8:9], off
.LBB108_36:
	s_or_b64 exec, exec, s[34:35]
	s_waitcnt vmcnt(0)
	ds_write_b64 v5, v[8:9] offset:2112
	v_add_u32_e32 v8, 16, v12
	v_cmp_gt_i32_e64 s[0:1], s21, v8
	v_mov_b64_e32 v[8:9], 0
	v_mov_b64_e32 v[10:11], v[8:9]
	s_and_saveexec_b64 s[34:35], s[0:1]
	s_cbranch_execz .LBB108_38
; %bb.37:
	s_lshl_b32 s0, s20, 4
	s_ashr_i32 s1, s0, 31
	v_lshl_add_u64 v[10:11], s[0:1], 3, v[6:7]
	global_load_dwordx2 v[10:11], v[10:11], off
.LBB108_38:
	s_or_b64 exec, exec, s[34:35]
	s_waitcnt vmcnt(0)
	ds_write_b64 v5, v[10:11] offset:4224
	v_add_u32_e32 v10, 24, v12
	v_cmp_gt_i32_e64 s[0:1], s21, v10
	s_and_saveexec_b64 s[34:35], s[0:1]
	s_cbranch_execz .LBB108_40
; %bb.39:
	s_mul_i32 s0, s20, 24
	s_ashr_i32 s1, s0, 31
	v_lshl_add_u64 v[8:9], s[0:1], 3, v[6:7]
	global_load_dwordx2 v[8:9], v[8:9], off
.LBB108_40:
	s_or_b64 exec, exec, s[34:35]
	s_waitcnt vmcnt(0)
	ds_write_b64 v5, v[8:9] offset:6336
	v_mov_b32_e32 v5, 0
	v_lshl_add_u64 v[4:5], v[6:7], 0, v[4:5]
	s_lshl_b64 s[0:1], s[24:25], 3
	v_mov_b32_e32 v6, s1
	v_subrev_co_u32_e64 v4, s[0:1], s0, v4
	s_nop 1
	v_subb_co_u32_e64 v5, s[0:1], v5, v6, s[0:1]
	s_mov_b64 s[0:1], 0x108
	s_nop 0
	v_lshl_add_u64 v[4:5], v[4:5], 0, s[0:1]
	v_cndmask_b32_e32 v3, v5, v3, vcc
	v_cndmask_b32_e32 v2, v4, v2, vcc
.LBB108_41:
	v_add_u32_e32 v13, 0x2380, v13
	s_waitcnt lgkmcnt(0)
	s_barrier
	s_and_saveexec_b64 s[0:1], s[6:7]
	s_cbranch_execnz .LBB108_50
; %bb.42:
	s_or_b64 exec, exec, s[0:1]
	s_and_saveexec_b64 s[0:1], s[8:9]
	s_cbranch_execnz .LBB108_51
.LBB108_43:
	s_or_b64 exec, exec, s[0:1]
	s_and_saveexec_b64 s[0:1], s[10:11]
	s_cbranch_execnz .LBB108_52
.LBB108_44:
	s_or_b64 exec, exec, s[0:1]
	s_and_saveexec_b64 s[0:1], s[12:13]
	s_cbranch_execz .LBB108_46
.LBB108_45:
	ds_read_b64 v[4:5], v1
	s_waitcnt lgkmcnt(0)
	ds_write_b64 v30, v[4:5] offset:24
.LBB108_46:
	s_or_b64 exec, exec, s[0:1]
	s_waitcnt lgkmcnt(0)
	s_barrier
	ds_read_b64 v[24:25], v14
	ds_read_b128 v[4:7], v13 offset:256
	ds_read2_b64 v[8:11], v15 offset1:33
	ds_read_b128 v[32:35], v13 offset:272
	ds_read_b64 v[14:15], v1
	v_cmp_eq_u32_e64 s[6:7], 1, v12
	s_waitcnt lgkmcnt(3)
	v_fma_f64 v[4:5], v[24:25], v[4:5], 0
	s_waitcnt lgkmcnt(2)
	v_fmac_f64_e32 v[4:5], v[8:9], v[6:7]
	s_waitcnt lgkmcnt(1)
	v_fmac_f64_e32 v[4:5], v[10:11], v[32:33]
	;; [unrolled: 2-line block ×3, first 2 shown]
	s_barrier
	ds_write_b64 v29, v[4:5]
	s_waitcnt lgkmcnt(0)
	s_barrier
	s_and_saveexec_b64 s[0:1], s[6:7]
	s_cbranch_execz .LBB108_48
; %bb.47:
	v_lshlrev_b32_e32 v1, 3, v28
	ds_read2_b64 v[4:7], v1 offset1:1
	ds_read2_b64 v[8:11], v1 offset0:2 offset1:3
	ds_read2_b64 v[32:35], v1 offset0:4 offset1:5
	s_waitcnt lgkmcnt(2)
	v_add_f64 v[14:15], v[4:5], v[6:7]
	ds_read2_b64 v[4:7], v1 offset0:6 offset1:7
	s_waitcnt lgkmcnt(2)
	v_add_f64 v[8:9], v[14:15], v[8:9]
	v_add_f64 v[8:9], v[8:9], v[10:11]
	s_waitcnt lgkmcnt(1)
	v_add_f64 v[8:9], v[8:9], v[32:33]
	v_add_f64 v[8:9], v[8:9], v[34:35]
	;; [unrolled: 3-line block ×3, first 2 shown]
.LBB108_48:
	s_or_b64 exec, exec, s[0:1]
	s_lshl_b64 s[0:1], s[36:37], 3
	v_mov_b32_e32 v1, s1
	v_subrev_co_u32_e64 v24, s[0:1], s0, v2
	s_and_b64 vcc, exec, s[14:15]
	s_nop 0
	v_subb_co_u32_e64 v25, s[0:1], v3, v1, s[0:1]
	s_barrier
	s_cbranch_vccnz .LBB108_53
; %bb.49:
	s_lshl_b32 s0, s20, 3
	s_ashr_i32 s1, s0, 31
	s_ashr_i32 s21, s20, 31
	v_lshl_add_u64 v[2:3], s[0:1], 3, v[24:25]
	s_lshl_b64 s[0:1], s[20:21], 6
	v_lshl_add_u64 v[4:5], v[2:3], 0, s[0:1]
	v_lshl_add_u64 v[6:7], v[4:5], 0, s[0:1]
	global_load_dwordx2 v[32:33], v[24:25], off
	global_load_dwordx2 v[34:35], v[2:3], off
	;; [unrolled: 1-line block ×4, first 2 shown]
	v_mad_u32_u24 v10, v12, 33, v0
	v_add_u32_e32 v8, 8, v12
	v_add_u32_e32 v9, 16, v12
	;; [unrolled: 1-line block ×3, first 2 shown]
	v_lshlrev_b32_e32 v1, 3, v10
	v_add_u32_e32 v14, 0x108, v10
	v_add_u32_e32 v7, 0x210, v10
	;; [unrolled: 1-line block ×3, first 2 shown]
	s_waitcnt vmcnt(3)
	ds_write_b64 v1, v[32:33]
	s_waitcnt vmcnt(2)
	ds_write_b64 v1, v[34:35] offset:2112
	s_waitcnt vmcnt(1)
	ds_write_b64 v1, v[36:37] offset:4224
	s_waitcnt vmcnt(0)
	ds_write_b64 v1, v[38:39] offset:6336
	s_cbranch_execz .LBB108_54
	s_branch .LBB108_63
.LBB108_50:
	ds_read_b64 v[4:5], v14
	s_waitcnt lgkmcnt(0)
	ds_write_b64 v30, v[4:5]
	s_or_b64 exec, exec, s[0:1]
	s_and_saveexec_b64 s[0:1], s[8:9]
	s_cbranch_execz .LBB108_43
.LBB108_51:
	ds_read_b64 v[4:5], v15
	s_waitcnt lgkmcnt(0)
	ds_write_b64 v30, v[4:5] offset:8
	s_or_b64 exec, exec, s[0:1]
	s_and_saveexec_b64 s[0:1], s[10:11]
	s_cbranch_execz .LBB108_44
.LBB108_52:
	ds_read_b64 v[4:5], v15 offset:264
	s_waitcnt lgkmcnt(0)
	ds_write_b64 v30, v[4:5] offset:16
	s_or_b64 exec, exec, s[0:1]
	s_and_saveexec_b64 s[0:1], s[12:13]
	s_cbranch_execnz .LBB108_45
	s_branch .LBB108_46
.LBB108_53:
                                        ; implicit-def: $vgpr10
                                        ; implicit-def: $vgpr8
                                        ; implicit-def: $vgpr14
                                        ; implicit-def: $vgpr9
                                        ; implicit-def: $vgpr7
                                        ; implicit-def: $vgpr6
                                        ; implicit-def: $vgpr11
.LBB108_54:
	v_lshlrev_b32_e32 v2, 3, v0
	v_sub_co_u32_e32 v4, vcc, v24, v2
	s_ashr_i32 s25, s24, 31
	s_nop 0
	v_subbrev_co_u32_e32 v5, vcc, 0, v25, vcc
	s_movk_i32 s0, 0xfef8
	v_or_b32_e32 v1, 32, v0
	v_lshl_add_u64 v[4:5], s[24:25], 3, v[4:5]
	s_mov_b32 s1, -1
	v_lshl_add_u64 v[4:5], v[4:5], 0, s[0:1]
	v_cmp_gt_i32_e32 vcc, s24, v1
	v_mov_b64_e32 v[6:7], 0
	v_cmp_gt_i32_e64 s[0:1], s24, v12
	v_cndmask_b32_e32 v5, v5, v25, vcc
	v_cndmask_b32_e32 v4, v4, v24, vcc
	v_mov_b64_e32 v[8:9], v[6:7]
	s_and_saveexec_b64 s[8:9], s[0:1]
	s_cbranch_execz .LBB108_56
; %bb.55:
	global_load_dwordx2 v[8:9], v[4:5], off
.LBB108_56:
	s_or_b64 exec, exec, s[8:9]
	v_mad_u32_u24 v10, v12, 33, v0
	v_lshlrev_b32_e32 v3, 3, v10
	s_waitcnt vmcnt(0)
	ds_write_b64 v3, v[8:9]
	v_add_u32_e32 v8, 8, v12
	v_cmp_gt_i32_e64 s[0:1], s24, v8
	s_and_saveexec_b64 s[8:9], s[0:1]
	s_cbranch_execz .LBB108_58
; %bb.57:
	s_lshl_b32 s0, s20, 3
	s_ashr_i32 s1, s0, 31
	v_lshl_add_u64 v[0:1], s[0:1], 3, v[4:5]
	global_load_dwordx2 v[6:7], v[0:1], off
.LBB108_58:
	s_or_b64 exec, exec, s[8:9]
	v_add_u32_e32 v9, 16, v12
	v_mov_b64_e32 v[0:1], 0
	s_waitcnt vmcnt(0)
	ds_write_b64 v3, v[6:7] offset:2112
	v_cmp_gt_i32_e64 s[0:1], s24, v9
	v_mov_b64_e32 v[6:7], v[0:1]
	s_and_saveexec_b64 s[8:9], s[0:1]
	s_cbranch_execz .LBB108_60
; %bb.59:
	s_lshl_b32 s0, s20, 4
	s_ashr_i32 s1, s0, 31
	v_lshl_add_u64 v[6:7], s[0:1], 3, v[4:5]
	global_load_dwordx2 v[6:7], v[6:7], off
.LBB108_60:
	s_or_b64 exec, exec, s[8:9]
	s_waitcnt vmcnt(0)
	ds_write_b64 v3, v[6:7] offset:4224
	v_add_u32_e32 v6, 24, v12
	v_cmp_gt_i32_e64 s[0:1], s24, v6
	s_and_saveexec_b64 s[8:9], s[0:1]
	s_cbranch_execz .LBB108_62
; %bb.61:
	s_mul_i32 s0, s20, 24
	s_ashr_i32 s1, s0, 31
	v_lshl_add_u64 v[0:1], s[0:1], 3, v[4:5]
	global_load_dwordx2 v[0:1], v[0:1], off
.LBB108_62:
	s_or_b64 exec, exec, s[8:9]
	s_waitcnt vmcnt(0)
	ds_write_b64 v3, v[0:1] offset:6336
	v_mov_b32_e32 v3, 0
	v_lshl_add_u64 v[0:1], v[4:5], 0, v[2:3]
	s_lshl_b64 s[0:1], s[24:25], 3
	v_mov_b32_e32 v2, s1
	v_subrev_co_u32_e64 v0, s[0:1], s0, v0
	v_add_u32_e32 v14, 0x108, v10
	s_nop 0
	v_subb_co_u32_e64 v1, s[0:1], v1, v2, s[0:1]
	s_mov_b64 s[0:1], 0x108
	s_nop 0
	v_lshl_add_u64 v[0:1], v[0:1], 0, s[0:1]
	v_add_u32_e32 v7, 0x210, v10
	v_add_u32_e32 v11, 0x318, v10
	v_cndmask_b32_e32 v25, v1, v25, vcc
	v_cndmask_b32_e32 v24, v0, v24, vcc
.LBB108_63:
	v_lshlrev_b32_e32 v0, 3, v10
	s_waitcnt lgkmcnt(0)
	s_barrier
	v_lshlrev_b32_e32 v1, 3, v12
	v_lshlrev_b32_e32 v2, 3, v14
	;; [unrolled: 1-line block ×3, first 2 shown]
	ds_read_b64 v[32:33], v0
	ds_read_b64 v[34:35], v1 offset:9088
	ds_read_b64 v[36:37], v2
	ds_read_b64 v[38:39], v3 offset:9088
	v_lshlrev_b32_e32 v0, 3, v7
	v_lshlrev_b32_e32 v1, 3, v9
	;; [unrolled: 1-line block ×4, first 2 shown]
	ds_read_b64 v[40:41], v0
	ds_read_b64 v[42:43], v1 offset:9088
	ds_read_b64 v[44:45], v2
	ds_read_b64 v[46:47], v3 offset:9088
	ds_read_b128 v[8:11], v13 offset:256
	ds_read_b128 v[0:3], v13 offset:272
	ds_read2_b64 v[12:15], v30 offset1:1
	ds_read2_b64 v[4:7], v30 offset0:2 offset1:3
	s_waitcnt lgkmcnt(10)
	v_fma_f64 v[30:31], v[32:33], v[34:35], 0
	s_waitcnt lgkmcnt(8)
	v_fmac_f64_e32 v[30:31], v[36:37], v[38:39]
	s_waitcnt lgkmcnt(6)
	v_fmac_f64_e32 v[30:31], v[40:41], v[42:43]
	;; [unrolled: 2-line block ×3, first 2 shown]
	s_waitcnt lgkmcnt(0)
	s_barrier
	ds_write_b64 v29, v[30:31]
	s_waitcnt lgkmcnt(0)
	s_barrier
	s_and_saveexec_b64 s[0:1], s[6:7]
	s_cbranch_execz .LBB108_65
; %bb.64:
	v_lshlrev_b32_e32 v42, 3, v28
	ds_read2_b64 v[30:33], v42 offset1:1
	ds_read2_b64 v[34:37], v42 offset0:2 offset1:3
	ds_read2_b64 v[38:41], v42 offset0:4 offset1:5
	s_waitcnt lgkmcnt(2)
	v_add_f64 v[18:19], v[18:19], v[30:31]
	v_add_f64 v[18:19], v[18:19], v[32:33]
	ds_read2_b64 v[30:33], v42 offset0:6 offset1:7
	s_waitcnt lgkmcnt(2)
	v_add_f64 v[18:19], v[18:19], v[34:35]
	v_add_f64 v[18:19], v[18:19], v[36:37]
	s_waitcnt lgkmcnt(1)
	v_add_f64 v[18:19], v[18:19], v[38:39]
	v_add_f64 v[18:19], v[18:19], v[40:41]
	;; [unrolled: 3-line block ×3, first 2 shown]
.LBB108_65:
	s_or_b64 exec, exec, s[0:1]
	v_fma_f64 v[8:9], v[12:13], v[8:9], 0
	v_fmac_f64_e32 v[8:9], v[14:15], v[10:11]
	v_fmac_f64_e32 v[8:9], v[4:5], v[0:1]
	;; [unrolled: 1-line block ×3, first 2 shown]
	s_barrier
	ds_write_b64 v29, v[8:9]
	s_waitcnt lgkmcnt(0)
	s_barrier
	s_and_saveexec_b64 s[0:1], s[4:5]
	s_cbranch_execz .LBB108_67
; %bb.66:
	v_lshlrev_b32_e32 v14, 3, v28
	ds_read2_b64 v[0:3], v14 offset1:1
	ds_read2_b64 v[4:7], v14 offset0:2 offset1:3
	ds_read2_b64 v[8:11], v14 offset0:4 offset1:5
	s_waitcnt lgkmcnt(2)
	v_add_f64 v[0:1], v[18:19], v[0:1]
	v_add_f64 v[12:13], v[0:1], v[2:3]
	ds_read2_b64 v[0:3], v14 offset0:6 offset1:7
	s_waitcnt lgkmcnt(2)
	v_add_f64 v[4:5], v[12:13], v[4:5]
	v_add_f64 v[4:5], v[4:5], v[6:7]
	s_waitcnt lgkmcnt(1)
	v_add_f64 v[4:5], v[4:5], v[8:9]
	v_add_f64 v[4:5], v[4:5], v[10:11]
	;; [unrolled: 3-line block ×3, first 2 shown]
.LBB108_67:
	s_or_b64 exec, exec, s[0:1]
	s_mul_hi_u32 s0, s38, s3
	s_mul_i32 s40, s40, s3
	s_add_i32 s0, s0, s40
	s_mul_i32 s3, s38, s3
	s_mul_i32 s0, s0, s39
	s_mul_hi_u32 s1, s3, s39
	s_add_i32 s1, s1, s0
	s_mul_i32 s0, s3, s39
	s_lshl_b64 s[0:1], s[0:1], 3
	s_add_u32 s3, s22, s0
	s_mul_i32 s0, s2, s38
	s_addc_u32 s4, s23, s1
	s_ashr_i32 s1, s0, 31
	s_lshl_b64 s[0:1], s[0:1], 3
	s_add_u32 s6, s3, s0
	v_cmp_le_i32_e32 vcc, s24, v26
	s_addc_u32 s7, s4, s1
	s_and_b64 vcc, s[30:31], vcc
	s_cmp_lt_i32 s2, 1
	v_lshlrev_b32_e32 v74, 3, v26
	s_barrier
	s_cbranch_scc1 .LBB108_74
; %bb.68:
	s_mul_i32 s0, s26, s33
	s_ashr_i32 s1, s0, 31
	s_lshl_b64 s[0:1], s[0:1], 3
	v_mov_b32_e32 v1, s1
	v_subrev_co_u32_e64 v0, s[0:1], s0, v20
	v_mov_b32_e32 v2, s29
	s_nop 0
	v_subb_co_u32_e64 v1, s[0:1], v21, v1, s[0:1]
	v_subrev_co_u32_e64 v4, s[0:1], s28, v24
	s_ashr_i32 s25, s24, 31
	s_nop 0
	v_subb_co_u32_e64 v5, s[0:1], v25, v2, s[0:1]
	v_lshlrev_b64 v[2:3], 3, v[22:23]
	v_sub_co_u32_e64 v2, s[0:1], v4, v2
	v_mul_lo_u32 v4, v17, s20
	s_nop 0
	v_subb_co_u32_e64 v3, s[0:1], v5, v3, s[0:1]
	v_lshl_add_u32 v4, v4, 2, v26
	v_ashrrev_i32_e32 v5, 31, v4
	s_movk_i32 s0, 0xff00
	v_lshl_add_u64 v[4:5], v[4:5], 3, v[2:3]
	s_mov_b32 s1, -1
	v_lshl_add_u64 v[6:7], v[4:5], 0, s[0:1]
	v_sub_co_u32_e64 v4, s[0:1], v4, v74
	v_and_b32_e32 v2, 48, v26
	s_nop 0
	v_subbrev_co_u32_e64 v5, s[0:1], 0, v5, s[0:1]
	s_movk_i32 s0, 0xfef8
	v_lshl_add_u64 v[4:5], s[24:25], 3, v[4:5]
	s_mov_b32 s1, -1
	v_lshl_add_u64 v[4:5], v[4:5], 0, s[0:1]
	v_and_b32_e32 v8, 15, v26
	v_cndmask_b32_e32 v4, v6, v4, vcc
	v_lshlrev_b32_e32 v6, 3, v2
	s_movk_i32 s0, 0x218
	v_lshrrev_b32_e32 v9, 4, v27
	v_mad_u32_u24 v77, v8, s0, v6
	v_or_b32_e32 v6, 0x78, v74
	v_mad_u32_u24 v78, v8, s0, v6
	v_lshlrev_b32_e32 v6, 5, v9
	v_mad_u32_u24 v79, v8, s0, v6
	v_mov_b32_e32 v6, 0x2180
	s_ashr_i32 s21, s20, 31
	v_lshl_add_u32 v80, v17, 5, v6
	s_movk_i32 s1, 0x860
	v_lshlrev_b32_e32 v6, 3, v9
	v_mov_b32_e32 v3, 0
	v_cndmask_b32_e32 v5, v7, v5, vcc
	s_lshl_b32 s3, s33, 6
	v_add_u32_e32 v75, 0x2180, v74
	v_add_u32_e32 v76, 0x2380, v74
	v_cmp_gt_u32_e64 s[4:5], 64, v27
	v_mad_u32_u24 v81, v17, s1, v74
	v_mad_u32_u24 v82, v8, s0, v6
	s_lshl_b64 s[0:1], s[20:21], 3
	s_lshl_b64 s[8:9], s[20:21], 9
	s_lshl_b64 s[10:11], s[20:21], 4
	s_mul_hi_i32 s13, s20, 24
	s_mul_i32 s12, s20, 24
	s_mul_hi_i32 s15, s20, 0x90
	s_mul_i32 s14, s20, 0x90
	;; [unrolled: 2-line block ×10, first 2 shown]
	s_lshl_b64 s[40:41], s[20:21], 8
	s_mul_hi_i32 s43, s20, 0x88
	s_mul_i32 s42, s20, 0x88
	s_lshl_b64 s[20:21], s[20:21], 7
	v_or_b32_e32 v2, v2, v8
	s_mov_b32 s44, 0
	s_branch .LBB108_70
.LBB108_69:                             ;   in Loop: Header=BB108_70 Depth=1
	s_or_b64 exec, exec, s[46:47]
	v_fmac_f64_e32 v[18:19], v[6:7], v[14:15]
	v_fmac_f64_e32 v[18:19], v[10:11], v[20:21]
	;; [unrolled: 1-line block ×15, first 2 shown]
	s_add_i32 s2, s2, -1
	s_add_i32 s44, s44, s3
	v_fmac_f64_e32 v[18:19], v[58:59], v[72:73]
	v_lshl_add_u64 v[4:5], v[4:5], 0, s[8:9]
	s_cmp_eq_u32 s2, 0
	v_add_u32_e32 v2, 64, v2
	s_barrier
	s_cbranch_scc1 .LBB108_74
.LBB108_70:                             ; =>This Inner Loop Header: Depth=1
	s_and_saveexec_b64 s[46:47], s[18:19]
	s_cbranch_execz .LBB108_72
; %bb.71:                               ;   in Loop: Header=BB108_70 Depth=1
	s_ashr_i32 s45, s44, 31
	v_lshl_add_u64 v[6:7], s[44:45], 3, v[0:1]
	global_load_dwordx2 v[6:7], v[6:7], off
	s_waitcnt vmcnt(0)
	ds_write_b64 v75, v[6:7]
.LBB108_72:                             ;   in Loop: Header=BB108_70 Depth=1
	s_or_b64 exec, exec, s[46:47]
	s_waitcnt lgkmcnt(0)
	s_barrier
	global_load_dwordx2 v[6:7], v[4:5], off
	v_lshl_add_u64 v[12:13], v[4:5], 0, s[0:1]
	v_lshl_add_u64 v[14:15], v[4:5], 0, s[10:11]
	global_load_dwordx2 v[10:11], v[12:13], off
	global_load_dwordx2 v[8:9], v[14:15], off
	v_lshl_add_u64 v[12:13], v[4:5], 0, s[12:13]
	global_load_dwordx2 v[12:13], v[12:13], off
	ds_read_b64 v[20:21], v76
	ds_read_b64 v[14:15], v80
	v_lshl_add_u64 v[34:35], v[4:5], 0, s[20:21]
	v_lshl_add_u64 v[36:37], v[4:5], 0, s[42:43]
	;; [unrolled: 1-line block ×12, first 2 shown]
	s_waitcnt vmcnt(3) lgkmcnt(1)
	v_mul_f64 v[22:23], v[6:7], v[20:21]
	ds_write_b64 v81, v[22:23]
	s_waitcnt vmcnt(2)
	v_mul_f64 v[22:23], v[10:11], v[20:21]
	s_waitcnt vmcnt(1)
	v_mul_f64 v[24:25], v[8:9], v[20:21]
	;; [unrolled: 2-line block ×3, first 2 shown]
	ds_read_b64 v[20:21], v80 offset:8
	ds_write_b64 v81, v[22:23] offset:536
	ds_read_b64 v[22:23], v80 offset:16
	ds_write_b64 v81, v[24:25] offset:1072
	;; [unrolled: 2-line block ×3, first 2 shown]
	s_waitcnt lgkmcnt(0)
	s_barrier
	ds_read2_b64 v[66:69], v79 offset1:1
	ds_read2_b64 v[70:73], v79 offset0:2 offset1:3
	s_waitcnt lgkmcnt(0)
	s_barrier
	global_load_dwordx2 v[32:33], v[34:35], off
	global_load_dwordx2 v[30:31], v[36:37], off
	;; [unrolled: 1-line block ×4, first 2 shown]
	ds_read_b64 v[36:37], v76
	ds_read_b64 v[34:35], v80 offset:128
	v_add_f64 v[66:67], v[66:67], 0
	v_add_f64 v[66:67], v[66:67], v[68:69]
	;; [unrolled: 1-line block ×3, first 2 shown]
	s_waitcnt vmcnt(3) lgkmcnt(1)
	v_mul_f64 v[38:39], v[32:33], v[36:37]
	s_waitcnt vmcnt(2)
	v_mul_f64 v[40:41], v[30:31], v[36:37]
	ds_write_b64 v81, v[38:39]
	s_waitcnt vmcnt(1)
	v_mul_f64 v[42:43], v[28:29], v[36:37]
	s_waitcnt vmcnt(0)
	v_mul_f64 v[44:45], v[26:27], v[36:37]
	ds_read_b64 v[36:37], v80 offset:136
	ds_write_b64 v81, v[40:41] offset:536
	ds_read_b64 v[38:39], v80 offset:144
	ds_write_b64 v81, v[42:43] offset:1072
	;; [unrolled: 2-line block ×3, first 2 shown]
	s_waitcnt lgkmcnt(0)
	s_barrier
	ds_read2_b64 v[84:87], v79 offset1:1
	ds_read2_b64 v[88:91], v79 offset0:2 offset1:3
	s_waitcnt lgkmcnt(0)
	s_barrier
	global_load_dwordx2 v[48:49], v[50:51], off
	global_load_dwordx2 v[46:47], v[52:53], off
	global_load_dwordx2 v[44:45], v[54:55], off
	global_load_dwordx2 v[42:43], v[56:57], off
	ds_read_b64 v[52:53], v76
	ds_read_b64 v[50:51], v80 offset:256
	s_waitcnt vmcnt(3) lgkmcnt(1)
	v_mul_f64 v[54:55], v[48:49], v[52:53]
	s_waitcnt vmcnt(2)
	v_mul_f64 v[56:57], v[46:47], v[52:53]
	ds_write_b64 v81, v[54:55]
	s_waitcnt vmcnt(1)
	v_mul_f64 v[58:59], v[44:45], v[52:53]
	s_waitcnt vmcnt(0)
	v_mul_f64 v[60:61], v[42:43], v[52:53]
	ds_read_b64 v[52:53], v80 offset:264
	ds_write_b64 v81, v[56:57] offset:536
	ds_read_b64 v[54:55], v80 offset:272
	ds_write_b64 v81, v[58:59] offset:1072
	;; [unrolled: 2-line block ×3, first 2 shown]
	s_waitcnt lgkmcnt(0)
	s_barrier
	ds_read2_b64 v[92:95], v79 offset1:1
	ds_read2_b64 v[96:99], v79 offset0:2 offset1:3
	s_waitcnt lgkmcnt(0)
	s_barrier
	global_load_dwordx2 v[64:65], v[100:101], off
	global_load_dwordx2 v[62:63], v[102:103], off
	;; [unrolled: 1-line block ×4, first 2 shown]
	v_add_f64 v[100:101], v[66:67], v[72:73]
	v_add_f64 v[66:67], v[84:85], 0
	;; [unrolled: 1-line block ×5, first 2 shown]
	ds_read_b64 v[68:69], v76
	ds_read_b64 v[66:67], v80 offset:384
	v_add_f64 v[70:71], v[92:93], 0
	v_add_f64 v[70:71], v[70:71], v[94:95]
	;; [unrolled: 1-line block ×4, first 2 shown]
	s_waitcnt vmcnt(3) lgkmcnt(1)
	v_mul_f64 v[70:71], v[64:65], v[68:69]
	s_waitcnt vmcnt(2)
	v_mul_f64 v[72:73], v[62:63], v[68:69]
	ds_write_b64 v81, v[70:71]
	s_waitcnt vmcnt(1)
	v_mul_f64 v[84:85], v[60:61], v[68:69]
	s_waitcnt vmcnt(0)
	v_mul_f64 v[86:87], v[58:59], v[68:69]
	ds_read_b64 v[68:69], v80 offset:392
	ds_write_b64 v81, v[72:73] offset:536
	ds_read_b64 v[70:71], v80 offset:400
	ds_write_b64 v81, v[84:85] offset:1072
	;; [unrolled: 2-line block ×3, first 2 shown]
	s_waitcnt lgkmcnt(0)
	s_barrier
	ds_read2_b64 v[84:87], v79 offset1:1
	ds_read2_b64 v[88:91], v79 offset0:2 offset1:3
	s_waitcnt lgkmcnt(0)
	s_barrier
	v_add_f64 v[84:85], v[84:85], 0
	v_add_f64 v[84:85], v[84:85], v[86:87]
	;; [unrolled: 1-line block ×4, first 2 shown]
	ds_write2_b64 v82, v[100:101], v[102:103] offset1:16
	ds_write2_b64 v82, v[92:93], v[84:85] offset0:32 offset1:48
	s_waitcnt lgkmcnt(0)
	s_barrier
	s_and_saveexec_b64 s[46:47], s[4:5]
	s_cbranch_execz .LBB108_69
; %bb.73:                               ;   in Loop: Header=BB108_70 Depth=1
	ds_read2_b64 v[84:87], v77 offset1:1
	ds_read2_b64 v[88:91], v77 offset0:2 offset1:3
	ds_read2_b64 v[92:95], v77 offset0:4 offset1:5
	;; [unrolled: 1-line block ×3, first 2 shown]
	s_waitcnt lgkmcnt(3)
	v_add_f64 v[84:85], v[84:85], v[86:87]
	s_waitcnt lgkmcnt(2)
	v_add_f64 v[84:85], v[84:85], v[88:89]
	v_add_f64 v[84:85], v[84:85], v[90:91]
	s_waitcnt lgkmcnt(1)
	v_add_f64 v[88:89], v[84:85], v[92:93]
	ds_read2_b64 v[84:87], v77 offset0:8 offset1:9
	v_add_f64 v[88:89], v[88:89], v[94:95]
	s_waitcnt lgkmcnt(1)
	v_add_f64 v[92:93], v[88:89], v[96:97]
	ds_read2_b64 v[88:91], v77 offset0:10 offset1:11
	v_add_f64 v[92:93], v[92:93], v[98:99]
	s_waitcnt lgkmcnt(1)
	v_add_f64 v[84:85], v[92:93], v[84:85]
	v_add_f64 v[92:93], v[84:85], v[86:87]
	ds_read2_b64 v[84:87], v77 offset0:12 offset1:13
	s_waitcnt lgkmcnt(1)
	v_add_f64 v[88:89], v[92:93], v[88:89]
	ds_read_b64 v[92:93], v77 offset:112
	ds_read_b64 v[94:95], v78
	v_add_f64 v[88:89], v[88:89], v[90:91]
	s_waitcnt lgkmcnt(2)
	v_add_f64 v[84:85], v[88:89], v[84:85]
	v_add_f64 v[84:85], v[84:85], v[86:87]
	s_waitcnt lgkmcnt(1)
	v_add_f64 v[84:85], v[84:85], v[92:93]
	s_waitcnt lgkmcnt(0)
	v_add_f64 v[84:85], v[84:85], v[94:95]
	v_lshl_add_u64 v[86:87], v[2:3], 3, s[6:7]
	global_store_dwordx2 v[86:87], v[84:85], off
	s_branch .LBB108_69
.LBB108_74:
	s_movk_i32 s0, 0x218
	v_mad_u32_u24 v0, v17, s0, v74
	s_or_b64 s[0:1], s[16:17], vcc
	s_xor_b64 s[0:1], s[0:1], -1
	ds_write_b64 v0, v[18:19]
	s_waitcnt lgkmcnt(0)
	s_barrier
	s_and_saveexec_b64 s[2:3], s[0:1]
	s_cbranch_execz .LBB108_76
; %bb.75:
	ds_read2_b64 v[0:3], v74 offset1:67
	ds_read2_b64 v[4:7], v74 offset0:134 offset1:201
	v_ashrrev_i32_e32 v17, 31, v16
	s_waitcnt lgkmcnt(1)
	v_add_f64 v[0:1], v[0:1], v[2:3]
	s_waitcnt lgkmcnt(0)
	v_add_f64 v[0:1], v[0:1], v[4:5]
	v_add_f64 v[0:1], v[0:1], v[6:7]
	v_lshl_add_u64 v[2:3], v[16:17], 3, s[6:7]
	global_store_dwordx2 v[2:3], v[0:1], off
.LBB108_76:
	s_endpgm
	.section	.rodata,"a",@progbits
	.p2align	6, 0x0
	.amdhsa_kernel _ZL26rocblas_hemvn_kernel_lowerILb0ELi64ELi4ELi33ELi32ELi16EiPKdS1_PdEviT6_lT7_lT5_lS4_lS5_lS3_lT8_i
		.amdhsa_group_segment_fixed_size 9600
		.amdhsa_private_segment_fixed_size 0
		.amdhsa_kernarg_size 376
		.amdhsa_user_sgpr_count 2
		.amdhsa_user_sgpr_dispatch_ptr 0
		.amdhsa_user_sgpr_queue_ptr 0
		.amdhsa_user_sgpr_kernarg_segment_ptr 1
		.amdhsa_user_sgpr_dispatch_id 0
		.amdhsa_user_sgpr_kernarg_preload_length 0
		.amdhsa_user_sgpr_kernarg_preload_offset 0
		.amdhsa_user_sgpr_private_segment_size 0
		.amdhsa_uses_dynamic_stack 0
		.amdhsa_enable_private_segment 0
		.amdhsa_system_sgpr_workgroup_id_x 1
		.amdhsa_system_sgpr_workgroup_id_y 0
		.amdhsa_system_sgpr_workgroup_id_z 1
		.amdhsa_system_sgpr_workgroup_info 0
		.amdhsa_system_vgpr_workitem_id 1
		.amdhsa_next_free_vgpr 108
		.amdhsa_next_free_sgpr 48
		.amdhsa_accum_offset 108
		.amdhsa_reserve_vcc 1
		.amdhsa_float_round_mode_32 0
		.amdhsa_float_round_mode_16_64 0
		.amdhsa_float_denorm_mode_32 3
		.amdhsa_float_denorm_mode_16_64 3
		.amdhsa_dx10_clamp 1
		.amdhsa_ieee_mode 1
		.amdhsa_fp16_overflow 0
		.amdhsa_tg_split 0
		.amdhsa_exception_fp_ieee_invalid_op 0
		.amdhsa_exception_fp_denorm_src 0
		.amdhsa_exception_fp_ieee_div_zero 0
		.amdhsa_exception_fp_ieee_overflow 0
		.amdhsa_exception_fp_ieee_underflow 0
		.amdhsa_exception_fp_ieee_inexact 0
		.amdhsa_exception_int_div_zero 0
	.end_amdhsa_kernel
	.section	.text._ZL26rocblas_hemvn_kernel_lowerILb0ELi64ELi4ELi33ELi32ELi16EiPKdS1_PdEviT6_lT7_lT5_lS4_lS5_lS3_lT8_i,"axG",@progbits,_ZL26rocblas_hemvn_kernel_lowerILb0ELi64ELi4ELi33ELi32ELi16EiPKdS1_PdEviT6_lT7_lT5_lS4_lS5_lS3_lT8_i,comdat
.Lfunc_end108:
	.size	_ZL26rocblas_hemvn_kernel_lowerILb0ELi64ELi4ELi33ELi32ELi16EiPKdS1_PdEviT6_lT7_lT5_lS4_lS5_lS3_lT8_i, .Lfunc_end108-_ZL26rocblas_hemvn_kernel_lowerILb0ELi64ELi4ELi33ELi32ELi16EiPKdS1_PdEviT6_lT7_lT5_lS4_lS5_lS3_lT8_i
                                        ; -- End function
	.section	.AMDGPU.csdata,"",@progbits
; Kernel info:
; codeLenInByte = 5844
; NumSgprs: 54
; NumVgprs: 108
; NumAgprs: 0
; TotalNumVgprs: 108
; ScratchSize: 0
; MemoryBound: 0
; FloatMode: 240
; IeeeMode: 1
; LDSByteSize: 9600 bytes/workgroup (compile time only)
; SGPRBlocks: 6
; VGPRBlocks: 13
; NumSGPRsForWavesPerEU: 54
; NumVGPRsForWavesPerEU: 108
; AccumOffset: 108
; Occupancy: 4
; WaveLimiterHint : 1
; COMPUTE_PGM_RSRC2:SCRATCH_EN: 0
; COMPUTE_PGM_RSRC2:USER_SGPR: 2
; COMPUTE_PGM_RSRC2:TRAP_HANDLER: 0
; COMPUTE_PGM_RSRC2:TGID_X_EN: 1
; COMPUTE_PGM_RSRC2:TGID_Y_EN: 0
; COMPUTE_PGM_RSRC2:TGID_Z_EN: 1
; COMPUTE_PGM_RSRC2:TIDIG_COMP_CNT: 1
; COMPUTE_PGM_RSRC3_GFX90A:ACCUM_OFFSET: 26
; COMPUTE_PGM_RSRC3_GFX90A:TG_SPLIT: 0
	.section	.text._ZL36rocblas_hemvn_kernel_lower_block_sumILi64EiPKdPddEviT1_lS3_lT2_lT0_lPT3_i,"axG",@progbits,_ZL36rocblas_hemvn_kernel_lower_block_sumILi64EiPKdPddEviT1_lS3_lT2_lT0_lPT3_i,comdat
	.globl	_ZL36rocblas_hemvn_kernel_lower_block_sumILi64EiPKdPddEviT1_lS3_lT2_lT0_lPT3_i ; -- Begin function _ZL36rocblas_hemvn_kernel_lower_block_sumILi64EiPKdPddEviT1_lS3_lT2_lT0_lPT3_i
	.p2align	8
	.type	_ZL36rocblas_hemvn_kernel_lower_block_sumILi64EiPKdPddEviT1_lS3_lT2_lT0_lPT3_i,@function
_ZL36rocblas_hemvn_kernel_lower_block_sumILi64EiPKdPddEviT1_lS3_lT2_lT0_lPT3_i: ; @_ZL36rocblas_hemvn_kernel_lower_block_sumILi64EiPKdPddEviT1_lS3_lT2_lT0_lPT3_i
; %bb.0:
	s_load_dwordx8 s[4:11], s[0:1], 0x8
	s_waitcnt lgkmcnt(0)
	s_mul_i32 s7, s3, s7
	s_mul_hi_u32 s12, s3, s6
	s_add_i32 s7, s12, s7
	s_mul_i32 s6, s3, s6
	s_lshl_b64 s[6:7], s[6:7], 3
	s_add_u32 s4, s4, s6
	s_addc_u32 s5, s5, s7
	s_load_dwordx2 s[6:7], s[4:5], 0x0
	s_mul_i32 s4, s3, s11
	s_mul_hi_u32 s5, s3, s10
	s_add_i32 s5, s5, s4
	s_mul_i32 s4, s3, s10
	s_lshl_b64 s[4:5], s[4:5], 3
	s_add_u32 s4, s8, s4
	s_addc_u32 s5, s9, s5
	s_load_dwordx2 s[10:11], s[4:5], 0x0
	s_waitcnt lgkmcnt(0)
	v_cmp_eq_f64_e64 s[4:5], s[6:7], 0
	v_cmp_eq_f64_e64 s[8:9], s[10:11], 1.0
	s_and_b64 s[4:5], s[4:5], s[8:9]
	s_and_b64 vcc, exec, s[4:5]
	s_cbranch_vccnz .LBB109_19
; %bb.1:
	s_load_dwordx2 s[4:5], s[0:1], 0x40
	s_load_dword s20, s[0:1], 0x38
	s_load_dwordx4 s[16:19], s[0:1], 0x28
	s_load_dword s14, s[0:1], 0x0
	v_lshl_or_b32 v6, s2, 6, v0
	s_waitcnt lgkmcnt(0)
	s_mul_i32 s5, s3, s5
	s_mul_hi_u32 s8, s3, s4
	s_add_i32 s5, s8, s5
	s_mul_i32 s4, s3, s4
	s_lshl_b64 s[4:5], s[4:5], 3
	s_add_u32 s8, s16, s4
	s_addc_u32 s9, s17, s5
	s_lshl_b64 s[4:5], s[18:19], 3
	s_add_u32 s8, s8, s4
	s_addc_u32 s9, s9, s5
	v_cmp_neq_f64_e64 s[4:5], s[6:7], 0
	s_mov_b64 s[12:13], 0
	s_and_b64 vcc, exec, s[4:5]
	v_cmp_gt_i32_e64 s[4:5], s14, v6
	s_cbranch_vccnz .LBB109_6
; %bb.2:
	s_mov_b64 s[16:17], 0
                                        ; implicit-def: $vgpr2_vgpr3
                                        ; implicit-def: $vgpr0_vgpr1
	s_and_saveexec_b64 s[18:19], s[4:5]
	s_cbranch_execz .LBB109_7
; %bb.3:
	v_cmp_eq_f64_e64 s[4:5], s[10:11], 0
	v_mul_lo_u32 v0, v6, s20
	v_mov_b64_e32 v[2:3], 0
	v_ashrrev_i32_e32 v1, 31, v0
	s_and_b64 vcc, exec, s[4:5]
	s_cbranch_vccnz .LBB109_5
; %bb.4:
	v_lshl_add_u64 v[2:3], v[0:1], 3, s[8:9]
	global_load_dwordx2 v[2:3], v[2:3], off
	s_waitcnt vmcnt(0)
	v_mul_f64 v[2:3], s[10:11], v[2:3]
.LBB109_5:
	s_mov_b64 s[12:13], exec
	s_or_b64 exec, exec, s[18:19]
	s_and_b64 vcc, exec, s[16:17]
	s_cbranch_vccnz .LBB109_8
	s_branch .LBB109_17
.LBB109_6:
                                        ; implicit-def: $vgpr2_vgpr3
                                        ; implicit-def: $vgpr0_vgpr1
	s_cbranch_execnz .LBB109_8
	s_branch .LBB109_17
.LBB109_7:
	s_or_b64 exec, exec, s[18:19]
	s_and_b64 vcc, exec, s[16:17]
	s_cbranch_vccz .LBB109_17
.LBB109_8:
	v_cmp_gt_i32_e32 vcc, s14, v6
                                        ; implicit-def: $vgpr2_vgpr3
                                        ; implicit-def: $vgpr0_vgpr1
	s_and_saveexec_b64 s[4:5], vcc
	s_cbranch_execz .LBB109_16
; %bb.9:
	s_load_dword s16, s[0:1], 0x58
	v_mov_b64_e32 v[4:5], 0
	s_waitcnt lgkmcnt(0)
	s_cmp_ge_i32 s2, s16
	s_cbranch_scc1 .LBB109_12
; %bb.10:
	s_ashr_i32 s15, s14, 31
	s_mul_i32 s17, s2, s14
	s_load_dwordx2 s[0:1], s[0:1], 0x48
	v_add_u32_e32 v0, s17, v6
	s_mul_hi_u32 s17, s14, s3
	s_mul_i32 s18, s15, s3
	s_add_i32 s17, s17, s18
	s_mul_i32 s3, s14, s3
	s_mul_i32 s17, s17, s16
	s_mul_hi_u32 s18, s3, s16
	s_add_i32 s19, s18, s17
	s_mul_i32 s18, s3, s16
	s_lshl_b64 s[18:19], s[18:19], 3
	s_waitcnt lgkmcnt(0)
	s_add_u32 s0, s0, s18
	v_ashrrev_i32_e32 v1, 31, v0
	s_addc_u32 s1, s1, s19
	v_lshl_add_u64 v[0:1], v[0:1], 3, s[0:1]
	s_lshl_b64 s[0:1], s[14:15], 3
	v_mov_b64_e32 v[4:5], 0
.LBB109_11:                             ; =>This Inner Loop Header: Depth=1
	global_load_dwordx2 v[2:3], v[0:1], off
	s_add_i32 s2, s2, 1
	v_lshl_add_u64 v[0:1], v[0:1], 0, s[0:1]
	s_cmp_ge_i32 s2, s16
	s_waitcnt vmcnt(0)
	v_add_f64 v[4:5], v[4:5], v[2:3]
	s_cbranch_scc0 .LBB109_11
.LBB109_12:
	v_cmp_eq_f64_e64 s[2:3], s[10:11], 0
	v_mul_lo_u32 v0, v6, s20
	s_mov_b64 s[0:1], 0
	s_and_b64 vcc, exec, s[2:3]
	v_ashrrev_i32_e32 v1, 31, v0
	s_cbranch_vccz .LBB109_20
; %bb.13:
	v_mul_f64 v[2:3], s[6:7], v[4:5]
	s_andn2_b64 vcc, exec, s[0:1]
	s_cbranch_vccnz .LBB109_15
.LBB109_14:
	v_lshl_add_u64 v[2:3], v[0:1], 3, s[8:9]
	global_load_dwordx2 v[2:3], v[2:3], off
	s_waitcnt vmcnt(0)
	v_mul_f64 v[2:3], s[10:11], v[2:3]
	v_fmac_f64_e32 v[2:3], s[6:7], v[4:5]
.LBB109_15:
	s_or_b64 s[12:13], s[12:13], exec
.LBB109_16:
	s_or_b64 exec, exec, s[4:5]
.LBB109_17:
	s_and_saveexec_b64 s[0:1], s[12:13]
	s_cbranch_execz .LBB109_19
; %bb.18:
	v_lshl_add_u64 v[0:1], v[0:1], 3, s[8:9]
	global_store_dwordx2 v[0:1], v[2:3], off
.LBB109_19:
	s_endpgm
.LBB109_20:
                                        ; implicit-def: $vgpr2_vgpr3
	s_branch .LBB109_14
	.section	.rodata,"a",@progbits
	.p2align	6, 0x0
	.amdhsa_kernel _ZL36rocblas_hemvn_kernel_lower_block_sumILi64EiPKdPddEviT1_lS3_lT2_lT0_lPT3_i
		.amdhsa_group_segment_fixed_size 0
		.amdhsa_private_segment_fixed_size 0
		.amdhsa_kernarg_size 344
		.amdhsa_user_sgpr_count 2
		.amdhsa_user_sgpr_dispatch_ptr 0
		.amdhsa_user_sgpr_queue_ptr 0
		.amdhsa_user_sgpr_kernarg_segment_ptr 1
		.amdhsa_user_sgpr_dispatch_id 0
		.amdhsa_user_sgpr_kernarg_preload_length 0
		.amdhsa_user_sgpr_kernarg_preload_offset 0
		.amdhsa_user_sgpr_private_segment_size 0
		.amdhsa_uses_dynamic_stack 0
		.amdhsa_enable_private_segment 0
		.amdhsa_system_sgpr_workgroup_id_x 1
		.amdhsa_system_sgpr_workgroup_id_y 0
		.amdhsa_system_sgpr_workgroup_id_z 1
		.amdhsa_system_sgpr_workgroup_info 0
		.amdhsa_system_vgpr_workitem_id 0
		.amdhsa_next_free_vgpr 7
		.amdhsa_next_free_sgpr 21
		.amdhsa_accum_offset 8
		.amdhsa_reserve_vcc 1
		.amdhsa_float_round_mode_32 0
		.amdhsa_float_round_mode_16_64 0
		.amdhsa_float_denorm_mode_32 3
		.amdhsa_float_denorm_mode_16_64 3
		.amdhsa_dx10_clamp 1
		.amdhsa_ieee_mode 1
		.amdhsa_fp16_overflow 0
		.amdhsa_tg_split 0
		.amdhsa_exception_fp_ieee_invalid_op 0
		.amdhsa_exception_fp_denorm_src 0
		.amdhsa_exception_fp_ieee_div_zero 0
		.amdhsa_exception_fp_ieee_overflow 0
		.amdhsa_exception_fp_ieee_underflow 0
		.amdhsa_exception_fp_ieee_inexact 0
		.amdhsa_exception_int_div_zero 0
	.end_amdhsa_kernel
	.section	.text._ZL36rocblas_hemvn_kernel_lower_block_sumILi64EiPKdPddEviT1_lS3_lT2_lT0_lPT3_i,"axG",@progbits,_ZL36rocblas_hemvn_kernel_lower_block_sumILi64EiPKdPddEviT1_lS3_lT2_lT0_lPT3_i,comdat
.Lfunc_end109:
	.size	_ZL36rocblas_hemvn_kernel_lower_block_sumILi64EiPKdPddEviT1_lS3_lT2_lT0_lPT3_i, .Lfunc_end109-_ZL36rocblas_hemvn_kernel_lower_block_sumILi64EiPKdPddEviT1_lS3_lT2_lT0_lPT3_i
                                        ; -- End function
	.section	.AMDGPU.csdata,"",@progbits
; Kernel info:
; codeLenInByte = 624
; NumSgprs: 27
; NumVgprs: 7
; NumAgprs: 0
; TotalNumVgprs: 7
; ScratchSize: 0
; MemoryBound: 0
; FloatMode: 240
; IeeeMode: 1
; LDSByteSize: 0 bytes/workgroup (compile time only)
; SGPRBlocks: 3
; VGPRBlocks: 0
; NumSGPRsForWavesPerEU: 27
; NumVGPRsForWavesPerEU: 7
; AccumOffset: 8
; Occupancy: 8
; WaveLimiterHint : 0
; COMPUTE_PGM_RSRC2:SCRATCH_EN: 0
; COMPUTE_PGM_RSRC2:USER_SGPR: 2
; COMPUTE_PGM_RSRC2:TRAP_HANDLER: 0
; COMPUTE_PGM_RSRC2:TGID_X_EN: 1
; COMPUTE_PGM_RSRC2:TGID_Y_EN: 0
; COMPUTE_PGM_RSRC2:TGID_Z_EN: 1
; COMPUTE_PGM_RSRC2:TIDIG_COMP_CNT: 0
; COMPUTE_PGM_RSRC3_GFX90A:ACCUM_OFFSET: 1
; COMPUTE_PGM_RSRC3_GFX90A:TG_SPLIT: 0
	.section	.text._ZL26rocblas_hemvn_kernel_lowerILb0ELi64ELi4ELi33ELi32ELi16EldPKdPdEviT6_lT7_lT5_lS4_lS5_lS3_lT8_i,"axG",@progbits,_ZL26rocblas_hemvn_kernel_lowerILb0ELi64ELi4ELi33ELi32ELi16EldPKdPdEviT6_lT7_lT5_lS4_lS5_lS3_lT8_i,comdat
	.globl	_ZL26rocblas_hemvn_kernel_lowerILb0ELi64ELi4ELi33ELi32ELi16EldPKdPdEviT6_lT7_lT5_lS4_lS5_lS3_lT8_i ; -- Begin function _ZL26rocblas_hemvn_kernel_lowerILb0ELi64ELi4ELi33ELi32ELi16EldPKdPdEviT6_lT7_lT5_lS4_lS5_lS3_lT8_i
	.p2align	8
	.type	_ZL26rocblas_hemvn_kernel_lowerILb0ELi64ELi4ELi33ELi32ELi16EldPKdPdEviT6_lT7_lT5_lS4_lS5_lS3_lT8_i,@function
_ZL26rocblas_hemvn_kernel_lowerILb0ELi64ELi4ELi33ELi32ELi16EldPKdPdEviT6_lT7_lT5_lS4_lS5_lS3_lT8_i: ; @_ZL26rocblas_hemvn_kernel_lowerILb0ELi64ELi4ELi33ELi32ELi16EldPKdPdEviT6_lT7_lT5_lS4_lS5_lS3_lT8_i
; %bb.0:
	s_load_dwordx2 s[6:7], s[0:1], 0x84
	s_add_u32 s4, s0, 0x78
	s_addc_u32 s5, s1, 0
	s_waitcnt lgkmcnt(0)
	s_lshr_b32 s8, s6, 16
	s_and_b32 s6, s6, 0xffff
	s_and_b32 s7, s7, 0xffff
	s_mul_i32 s6, s8, s6
	s_mul_i32 s6, s6, s7
	s_cmpk_lg_i32 s6, 0x100
	s_cbranch_scc1 .LBB110_76
; %bb.1:
	s_load_dwordx2 s[6:7], s[0:1], 0x8
	s_load_dwordx2 s[8:9], s[0:1], 0x58
	s_waitcnt lgkmcnt(0)
	v_cmp_eq_f64_e64 s[6:7], s[6:7], 0
	v_cmp_eq_f64_e64 s[8:9], s[8:9], 1.0
	s_and_b64 s[8:9], s[6:7], s[8:9]
	s_and_b64 vcc, exec, s[8:9]
	s_cbranch_vccnz .LBB110_76
; %bb.2:
	s_and_b64 vcc, exec, s[6:7]
	s_cbranch_vccnz .LBB110_76
; %bb.3:
	s_load_dwordx16 s[36:51], s[0:1], 0x18
	s_load_dword s52, s[4:5], 0x0
	s_load_dword s33, s[0:1], 0x0
	v_and_b32_e32 v26, 0x3ff, v0
	v_bfe_u32 v76, v0, 10, 10
	s_waitcnt lgkmcnt(0)
	s_mul_i32 s5, s3, s51
	s_mul_hi_u32 s6, s3, s50
	s_mul_i32 s4, s3, s50
	s_add_i32 s5, s6, s5
	s_lshl_b64 s[4:5], s[4:5], 3
	s_add_u32 s6, s44, s4
	s_addc_u32 s7, s45, s5
	s_lshl_b64 s[4:5], s[46:47], 3
	s_add_u32 s4, s6, s4
	s_addc_u32 s5, s7, s5
	s_ashr_i32 s44, s33, 31
	s_lshr_b32 s7, s44, 26
	s_add_i32 s7, s33, s7
	s_lshl_b32 s26, s2, 6
	s_andn2_b32 s7, s7, 63
	s_add_i32 s6, s52, -1
	s_sub_i32 s7, s33, s7
	v_add_u32_e32 v16, s26, v26
	s_cmp_eq_u32 s2, s6
	v_ashrrev_i32_e32 v17, 31, v16
	s_cselect_b32 s24, s7, 0
	v_mul_lo_u32 v2, v17, s48
	v_mul_lo_u32 v3, v16, s49
	v_mad_u64_u32 v[0:1], s[6:7], v16, s48, 0
	v_add3_u32 v1, v1, v3, v2
	v_lshl_add_u64 v[20:21], v[0:1], 3, s[4:5]
	v_cmp_ne_u32_e64 s[4:5], 0, v76
	v_cmp_eq_u32_e64 s[18:19], 0, v76
	s_and_saveexec_b64 s[6:7], s[18:19]
	s_cbranch_execz .LBB110_7
; %bb.4:
	s_cmp_eq_u32 s24, 0
	s_cselect_b64 s[8:9], -1, 0
	v_cmp_gt_i32_e32 vcc, s24, v26
	s_or_b64 s[10:11], s[8:9], vcc
	v_mov_b64_e32 v[0:1], 0
	s_and_saveexec_b64 s[8:9], s[10:11]
	s_cbranch_execz .LBB110_6
; %bb.5:
	global_load_dwordx2 v[0:1], v[20:21], off
.LBB110_6:
	s_or_b64 exec, exec, s[8:9]
	v_lshlrev_b32_e32 v2, 3, v26
	s_waitcnt vmcnt(0)
	ds_write_b64 v2, v[0:1] offset:9088
.LBB110_7:
	s_or_b64 exec, exec, s[6:7]
	s_mul_i32 s6, s3, s43
	s_mul_hi_u32 s7, s3, s42
	s_add_i32 s7, s7, s6
	s_mul_i32 s6, s3, s42
	s_lshl_b64 s[6:7], s[6:7], 3
	s_add_u32 s8, s36, s6
	s_addc_u32 s9, s37, s7
	s_lshl_b64 s[6:7], s[38:39], 3
	s_add_u32 s8, s8, s6
	s_addc_u32 s9, s9, s7
	s_ashr_i32 s27, s26, 31
	v_lshl_add_u32 v27, v76, 6, v26
	s_lshl_b64 s[6:7], s[26:27], 3
	v_and_b32_e32 v0, 31, v26
	v_lshrrev_b32_e32 v12, 5, v27
	s_add_u32 s8, s8, s6
	v_mov_b32_e32 v1, 0
	s_addc_u32 s9, s9, s7
	v_mad_u64_u32 v[22:23], s[6:7], v12, s40, v[0:1]
	v_mov_b32_e32 v2, v23
	v_mad_u64_u32 v[2:3], s[6:7], v12, s41, v[2:3]
	s_mul_i32 s6, s26, s41
	s_mul_hi_u32 s7, s26, s40
	s_add_i32 s6, s7, s6
	s_mul_i32 s7, s27, s40
	s_add_i32 s7, s6, s7
	s_mul_i32 s6, s26, s40
	s_lshl_b64 s[28:29], s[6:7], 3
	s_add_u32 s6, s28, s8
	s_addc_u32 s7, s29, s9
	s_cmp_lg_u32 s24, 0
	v_mov_b32_e32 v23, v2
	s_cselect_b64 s[30:31], -1, 0
	s_cmp_eq_u32 s24, 0
	v_lshl_add_u64 v[2:3], v[22:23], 3, s[6:7]
	s_cselect_b64 s[20:21], -1, 0
	s_and_b64 vcc, exec, s[30:31]
	s_cbranch_vccnz .LBB110_9
; %bb.8:
	s_lshl_b64 s[6:7], s[40:41], 6
	v_lshl_add_u64 v[4:5], v[2:3], 0, s[6:7]
	v_mov_b32_e32 v1, 0xc0
	global_load_dwordx2 v[6:7], v[4:5], off
	global_load_dwordx2 v[10:11], v[2:3], off
	v_lshl_add_u64 v[4:5], v[4:5], 0, s[6:7]
	v_mad_u64_u32 v[8:9], s[6:7], s40, v1, v[2:3]
	s_mul_i32 s6, s41, 0xc0
	global_load_dwordx2 v[4:5], v[4:5], off
	v_add_u32_e32 v9, s6, v9
	global_load_dwordx2 v[8:9], v[8:9], off
	v_mul_u32_u24_e32 v1, 33, v12
	v_add_lshl_u32 v1, v1, v0, 3
	s_waitcnt vmcnt(2)
	ds_write_b64 v1, v[10:11]
	ds_write_b64 v1, v[6:7] offset:2112
	s_waitcnt vmcnt(1)
	ds_write_b64 v1, v[4:5] offset:4224
	s_waitcnt vmcnt(0)
	ds_write_b64 v1, v[8:9] offset:6336
	s_cbranch_execz .LBB110_10
	s_branch .LBB110_19
.LBB110_9:
.LBB110_10:
	v_lshlrev_b32_e32 v4, 3, v0
	v_sub_co_u32_e32 v6, vcc, v2, v4
	s_ashr_i32 s25, s24, 31
	s_nop 0
	v_subbrev_co_u32_e32 v7, vcc, 0, v3, vcc
	v_lshl_add_u64 v[6:7], s[24:25], 3, v[6:7]
	v_lshl_add_u64 v[6:7], v[6:7], 0, -8
	v_cmp_gt_i32_e32 vcc, s24, v0
	v_mov_b64_e32 v[8:9], 0
	v_cmp_gt_i32_e64 s[6:7], s24, v12
	v_cndmask_b32_e32 v7, v7, v3, vcc
	v_cndmask_b32_e32 v6, v6, v2, vcc
	v_mov_b64_e32 v[10:11], v[8:9]
	s_and_saveexec_b64 s[8:9], s[6:7]
	s_cbranch_execz .LBB110_12
; %bb.11:
	global_load_dwordx2 v[10:11], v[6:7], off
.LBB110_12:
	s_or_b64 exec, exec, s[8:9]
	v_mul_u32_u24_e32 v1, 33, v12
	v_add_u32_e32 v5, 8, v12
	v_add_lshl_u32 v1, v1, v0, 3
	v_cmp_gt_i32_e64 s[6:7], s24, v5
	s_waitcnt vmcnt(0)
	ds_write_b64 v1, v[10:11]
	s_and_saveexec_b64 s[8:9], s[6:7]
	s_cbranch_execz .LBB110_14
; %bb.13:
	s_lshl_b64 s[6:7], s[40:41], 6
	v_lshl_add_u64 v[8:9], v[6:7], 0, s[6:7]
	global_load_dwordx2 v[8:9], v[8:9], off
.LBB110_14:
	s_or_b64 exec, exec, s[8:9]
	s_waitcnt vmcnt(0)
	ds_write_b64 v1, v[8:9] offset:2112
	v_add_u32_e32 v5, 16, v12
	v_mov_b64_e32 v[8:9], 0
	v_cmp_gt_i32_e64 s[6:7], s24, v5
	v_mov_b64_e32 v[10:11], v[8:9]
	s_and_saveexec_b64 s[8:9], s[6:7]
	s_cbranch_execz .LBB110_16
; %bb.15:
	s_lshl_b64 s[6:7], s[40:41], 7
	v_lshl_add_u64 v[10:11], v[6:7], 0, s[6:7]
	global_load_dwordx2 v[10:11], v[10:11], off
.LBB110_16:
	s_or_b64 exec, exec, s[8:9]
	v_add_u32_e32 v5, 24, v12
	v_cmp_gt_i32_e64 s[6:7], s24, v5
	s_waitcnt vmcnt(0)
	ds_write_b64 v1, v[10:11] offset:4224
	s_and_saveexec_b64 s[8:9], s[6:7]
	s_cbranch_execz .LBB110_18
; %bb.17:
	v_mov_b32_e32 v5, 0xc0
	v_mad_u64_u32 v[8:9], s[6:7], s40, v5, v[6:7]
	s_mul_i32 s6, s41, 0xc0
	s_nop 0
	v_add_u32_e32 v9, s6, v9
	global_load_dwordx2 v[8:9], v[8:9], off
.LBB110_18:
	s_or_b64 exec, exec, s[8:9]
	v_mov_b32_e32 v5, 0
	v_lshl_add_u64 v[4:5], v[6:7], 0, v[4:5]
	s_lshl_b64 s[6:7], s[24:25], 3
	s_waitcnt vmcnt(0)
	ds_write_b64 v1, v[8:9] offset:6336
	v_mov_b32_e32 v1, s7
	v_subrev_co_u32_e64 v4, s[6:7], s6, v4
	s_nop 1
	v_subb_co_u32_e64 v5, s[6:7], v5, v1, s[6:7]
	v_lshl_add_u64 v[4:5], v[4:5], 0, 8
	v_cndmask_b32_e32 v3, v5, v3, vcc
	v_cndmask_b32_e32 v2, v4, v2, vcc
.LBB110_19:
	v_lshlrev_b32_e32 v4, 2, v12
	v_mul_u32_u24_e32 v28, 33, v0
	v_cmp_lt_u32_e64 s[8:9], v4, v0
	v_add_lshl_u32 v30, v4, v28, 3
	s_waitcnt lgkmcnt(0)
	s_barrier
	s_and_saveexec_b64 s[6:7], s[8:9]
	s_cbranch_execz .LBB110_21
; %bb.20:
	v_mul_u32_u24_e32 v1, 0x84, v12
	v_add_lshl_u32 v1, v1, v0, 3
	ds_read_b64 v[6:7], v1
	s_waitcnt lgkmcnt(0)
	ds_write_b64 v30, v[6:7]
.LBB110_21:
	s_or_b64 exec, exec, s[6:7]
	v_or_b32_e32 v1, 1, v4
	v_cmp_lt_u32_e64 s[10:11], v1, v0
	s_and_saveexec_b64 s[6:7], s[10:11]
	s_cbranch_execz .LBB110_23
; %bb.22:
	v_mul_u32_u24_e32 v1, 33, v1
	v_add_lshl_u32 v1, v1, v0, 3
	ds_read_b64 v[6:7], v1
	s_waitcnt lgkmcnt(0)
	ds_write_b64 v30, v[6:7] offset:8
.LBB110_23:
	s_or_b64 exec, exec, s[6:7]
	v_or_b32_e32 v1, 2, v4
	v_cmp_lt_u32_e64 s[12:13], v1, v0
	s_and_saveexec_b64 s[6:7], s[12:13]
	s_cbranch_execz .LBB110_25
; %bb.24:
	v_mul_u32_u24_e32 v1, 33, v1
	v_add_lshl_u32 v1, v1, v0, 3
	ds_read_b64 v[6:7], v1
	s_waitcnt lgkmcnt(0)
	ds_write_b64 v30, v[6:7] offset:16
.LBB110_25:
	s_or_b64 exec, exec, s[6:7]
	v_or_b32_e32 v1, 3, v4
	v_cmp_lt_u32_e64 s[14:15], v1, v0
	v_mad_u32_u24 v1, v1, 33, v0
	v_lshlrev_b32_e32 v1, 3, v1
	s_and_saveexec_b64 s[6:7], s[14:15]
	s_cbranch_execz .LBB110_27
; %bb.26:
	ds_read_b64 v[6:7], v1
	s_waitcnt lgkmcnt(0)
	ds_write_b64 v30, v[6:7] offset:24
.LBB110_27:
	s_or_b64 exec, exec, s[6:7]
	v_mul_u32_u24_e32 v5, 0x84, v12
	v_add_lshl_u32 v14, v5, v0, 3
	s_waitcnt lgkmcnt(0)
	s_barrier
	v_lshlrev_b32_e32 v13, 3, v4
	ds_read_b64 v[24:25], v14
	ds_read_b128 v[4:7], v13 offset:9088
	v_add_u32_e32 v15, 0xfffffdf0, v1
	ds_read2_b64 v[8:11], v15 offset1:33
	ds_read_b128 v[32:35], v13 offset:9104
	ds_read_b64 v[36:37], v1
	v_mov_b64_e32 v[18:19], 0
	v_add_lshl_u32 v29, v12, v28, 3
	s_waitcnt lgkmcnt(3)
	v_fma_f64 v[4:5], v[24:25], v[4:5], 0
	s_waitcnt lgkmcnt(2)
	v_fmac_f64_e32 v[4:5], v[8:9], v[6:7]
	s_waitcnt lgkmcnt(1)
	v_fmac_f64_e32 v[4:5], v[10:11], v[32:33]
	;; [unrolled: 2-line block ×3, first 2 shown]
	v_cmp_gt_u32_e64 s[6:7], 32, v27
	s_barrier
	ds_write_b64 v29, v[4:5]
	s_waitcnt lgkmcnt(0)
	s_barrier
	s_and_saveexec_b64 s[16:17], s[6:7]
	s_cbranch_execz .LBB110_29
; %bb.28:
	v_lshlrev_b32_e32 v24, 3, v28
	ds_read2_b64 v[4:7], v24 offset1:1
	ds_read2_b64 v[8:11], v24 offset0:2 offset1:3
	ds_read2_b64 v[32:35], v24 offset0:4 offset1:5
	s_waitcnt lgkmcnt(2)
	v_add_f64 v[18:19], v[4:5], v[6:7]
	ds_read2_b64 v[4:7], v24 offset0:6 offset1:7
	s_waitcnt lgkmcnt(2)
	v_add_f64 v[8:9], v[18:19], v[8:9]
	v_add_f64 v[8:9], v[8:9], v[10:11]
	s_waitcnt lgkmcnt(1)
	v_add_f64 v[8:9], v[8:9], v[32:33]
	v_add_f64 v[8:9], v[8:9], v[34:35]
	s_waitcnt lgkmcnt(0)
	v_add_f64 v[4:5], v[8:9], v[4:5]
	v_add_f64 v[18:19], v[4:5], v[6:7]
.LBB110_29:
	s_or_b64 exec, exec, s[16:17]
	s_lshl_b64 s[22:23], s[40:41], 8
	v_lshl_add_u64 v[4:5], v[2:3], 0, s[22:23]
	s_mov_b64 s[34:35], 0x100
	v_cndmask_b32_e64 v2, 0, 1, s[20:21]
	v_cmp_ne_u32_e64 s[16:17], 1, v2
	s_andn2_b64 vcc, exec, s[20:21]
	v_lshl_add_u64 v[2:3], v[4:5], 0, s[34:35]
	s_barrier
	s_cbranch_vccnz .LBB110_31
; %bb.30:
	s_lshl_b64 s[20:21], s[40:41], 6
	v_lshl_add_u64 v[6:7], v[4:5], 0, s[20:21]
	v_mov_b32_e32 v10, 0xc0
	v_lshl_add_u64 v[8:9], v[6:7], 0, s[20:21]
	v_mad_u64_u32 v[10:11], s[20:21], s40, v10, v[4:5]
	s_mul_i32 s20, s41, 0xc0
	s_nop 0
	v_add_u32_e32 v11, s20, v11
	global_load_dwordx2 v[24:25], v[4:5], off offset:256
	global_load_dwordx2 v[32:33], v[6:7], off offset:256
	;; [unrolled: 1-line block ×4, first 2 shown]
	v_mul_u32_u24_e32 v4, 33, v12
	v_add_lshl_u32 v4, v4, v0, 3
	s_waitcnt vmcnt(3)
	ds_write_b64 v4, v[24:25]
	s_waitcnt vmcnt(2)
	ds_write_b64 v4, v[32:33] offset:2112
	s_waitcnt vmcnt(1)
	ds_write_b64 v4, v[34:35] offset:4224
	;; [unrolled: 2-line block ×3, first 2 shown]
	s_cbranch_execz .LBB110_32
	s_branch .LBB110_41
.LBB110_31:
.LBB110_32:
	v_lshlrev_b32_e32 v4, 3, v0
	v_sub_co_u32_e32 v6, vcc, v2, v4
	s_ashr_i32 s25, s24, 31
	s_nop 0
	v_subbrev_co_u32_e32 v7, vcc, 0, v3, vcc
	s_movk_i32 s20, 0xfef8
	v_or_b32_e32 v5, 32, v0
	v_lshl_add_u64 v[6:7], s[24:25], 3, v[6:7]
	s_mov_b32 s21, -1
	v_lshl_add_u64 v[6:7], v[6:7], 0, s[20:21]
	v_cmp_gt_i32_e32 vcc, s24, v5
	s_sub_i32 s36, s24, 32
	v_mov_b64_e32 v[8:9], 0
	v_cndmask_b32_e32 v7, v7, v3, vcc
	v_cndmask_b32_e32 v6, v6, v2, vcc
	v_cmp_gt_i32_e64 s[20:21], s36, v12
	v_mov_b64_e32 v[10:11], v[8:9]
	s_and_saveexec_b64 s[34:35], s[20:21]
	s_cbranch_execz .LBB110_34
; %bb.33:
	global_load_dwordx2 v[10:11], v[6:7], off
.LBB110_34:
	s_or_b64 exec, exec, s[34:35]
	v_mul_u32_u24_e32 v5, 33, v12
	v_add_lshl_u32 v5, v5, v0, 3
	s_waitcnt vmcnt(0)
	ds_write_b64 v5, v[10:11]
	v_add_u32_e32 v10, 8, v12
	v_cmp_gt_i32_e64 s[20:21], s36, v10
	s_and_saveexec_b64 s[34:35], s[20:21]
	s_cbranch_execz .LBB110_36
; %bb.35:
	s_lshl_b64 s[20:21], s[40:41], 6
	v_lshl_add_u64 v[8:9], v[6:7], 0, s[20:21]
	global_load_dwordx2 v[8:9], v[8:9], off
.LBB110_36:
	s_or_b64 exec, exec, s[34:35]
	s_waitcnt vmcnt(0)
	ds_write_b64 v5, v[8:9] offset:2112
	v_add_u32_e32 v8, 16, v12
	v_cmp_gt_i32_e64 s[20:21], s36, v8
	v_mov_b64_e32 v[8:9], 0
	v_mov_b64_e32 v[10:11], v[8:9]
	s_and_saveexec_b64 s[34:35], s[20:21]
	s_cbranch_execz .LBB110_38
; %bb.37:
	s_lshl_b64 s[20:21], s[40:41], 7
	v_lshl_add_u64 v[10:11], v[6:7], 0, s[20:21]
	global_load_dwordx2 v[10:11], v[10:11], off
.LBB110_38:
	s_or_b64 exec, exec, s[34:35]
	s_waitcnt vmcnt(0)
	ds_write_b64 v5, v[10:11] offset:4224
	v_add_u32_e32 v10, 24, v12
	v_cmp_gt_i32_e64 s[20:21], s36, v10
	s_and_saveexec_b64 s[34:35], s[20:21]
	s_cbranch_execz .LBB110_40
; %bb.39:
	v_mov_b32_e32 v8, 0xc0
	v_mad_u64_u32 v[8:9], s[20:21], s40, v8, v[6:7]
	s_mul_i32 s20, s41, 0xc0
	s_nop 0
	v_add_u32_e32 v9, s20, v9
	global_load_dwordx2 v[8:9], v[8:9], off
.LBB110_40:
	s_or_b64 exec, exec, s[34:35]
	s_waitcnt vmcnt(0)
	ds_write_b64 v5, v[8:9] offset:6336
	v_mov_b32_e32 v5, 0
	v_lshl_add_u64 v[4:5], v[6:7], 0, v[4:5]
	s_lshl_b64 s[20:21], s[24:25], 3
	v_mov_b32_e32 v6, s21
	v_subrev_co_u32_e64 v4, s[20:21], s20, v4
	s_nop 1
	v_subb_co_u32_e64 v5, s[20:21], v5, v6, s[20:21]
	s_mov_b64 s[20:21], 0x108
	s_nop 0
	v_lshl_add_u64 v[4:5], v[4:5], 0, s[20:21]
	v_cndmask_b32_e32 v3, v5, v3, vcc
	v_cndmask_b32_e32 v2, v4, v2, vcc
.LBB110_41:
	v_add_u32_e32 v13, 0x2380, v13
	s_lshl_b64 s[20:21], s[40:41], 5
	s_waitcnt lgkmcnt(0)
	s_barrier
	s_and_saveexec_b64 s[34:35], s[8:9]
	s_cbranch_execnz .LBB110_50
; %bb.42:
	s_or_b64 exec, exec, s[34:35]
	s_and_saveexec_b64 s[8:9], s[10:11]
	s_cbranch_execnz .LBB110_51
.LBB110_43:
	s_or_b64 exec, exec, s[8:9]
	s_and_saveexec_b64 s[8:9], s[12:13]
	s_cbranch_execnz .LBB110_52
.LBB110_44:
	s_or_b64 exec, exec, s[8:9]
	s_and_saveexec_b64 s[8:9], s[14:15]
	s_cbranch_execz .LBB110_46
.LBB110_45:
	ds_read_b64 v[4:5], v1
	s_waitcnt lgkmcnt(0)
	ds_write_b64 v30, v[4:5] offset:24
.LBB110_46:
	s_or_b64 exec, exec, s[8:9]
	s_waitcnt lgkmcnt(0)
	s_barrier
	ds_read_b64 v[24:25], v14
	ds_read_b128 v[4:7], v13 offset:256
	ds_read2_b64 v[8:11], v15 offset1:33
	ds_read_b128 v[32:35], v13 offset:272
	ds_read_b64 v[14:15], v1
	v_cmp_eq_u32_e64 s[8:9], 1, v12
	s_waitcnt lgkmcnt(3)
	v_fma_f64 v[4:5], v[24:25], v[4:5], 0
	s_waitcnt lgkmcnt(2)
	v_fmac_f64_e32 v[4:5], v[8:9], v[6:7]
	s_waitcnt lgkmcnt(1)
	v_fmac_f64_e32 v[4:5], v[10:11], v[32:33]
	;; [unrolled: 2-line block ×3, first 2 shown]
	s_barrier
	ds_write_b64 v29, v[4:5]
	s_waitcnt lgkmcnt(0)
	s_barrier
	s_and_saveexec_b64 s[10:11], s[8:9]
	s_cbranch_execz .LBB110_48
; %bb.47:
	v_lshlrev_b32_e32 v1, 3, v28
	ds_read2_b64 v[4:7], v1 offset1:1
	ds_read2_b64 v[8:11], v1 offset0:2 offset1:3
	ds_read2_b64 v[32:35], v1 offset0:4 offset1:5
	s_waitcnt lgkmcnt(2)
	v_add_f64 v[14:15], v[4:5], v[6:7]
	ds_read2_b64 v[4:7], v1 offset0:6 offset1:7
	s_waitcnt lgkmcnt(2)
	v_add_f64 v[8:9], v[14:15], v[8:9]
	v_add_f64 v[8:9], v[8:9], v[10:11]
	s_waitcnt lgkmcnt(1)
	v_add_f64 v[8:9], v[8:9], v[32:33]
	v_add_f64 v[8:9], v[8:9], v[34:35]
	;; [unrolled: 3-line block ×3, first 2 shown]
.LBB110_48:
	s_or_b64 exec, exec, s[10:11]
	s_lshl_b64 s[10:11], s[20:21], 3
	v_mov_b32_e32 v1, s11
	v_subrev_co_u32_e64 v24, s[10:11], s10, v2
	s_and_b64 vcc, exec, s[16:17]
	s_nop 0
	v_subb_co_u32_e64 v25, s[10:11], v3, v1, s[10:11]
	s_barrier
	s_cbranch_vccnz .LBB110_53
; %bb.49:
	s_lshl_b64 s[10:11], s[40:41], 6
	v_lshl_add_u64 v[2:3], v[24:25], 0, s[10:11]
	v_mov_b32_e32 v1, 0xc0
	v_lshl_add_u64 v[4:5], v[2:3], 0, s[10:11]
	v_mad_u64_u32 v[6:7], s[10:11], s40, v1, v[24:25]
	s_mul_i32 s10, s41, 0xc0
	s_nop 0
	v_add_u32_e32 v7, s10, v7
	global_load_dwordx2 v[32:33], v[24:25], off
	global_load_dwordx2 v[34:35], v[2:3], off
	;; [unrolled: 1-line block ×4, first 2 shown]
	v_mad_u32_u24 v10, v12, 33, v0
	v_add_u32_e32 v8, 8, v12
	v_add_u32_e32 v9, 16, v12
	;; [unrolled: 1-line block ×3, first 2 shown]
	v_lshlrev_b32_e32 v1, 3, v10
	v_add_u32_e32 v14, 0x108, v10
	v_add_u32_e32 v7, 0x210, v10
	;; [unrolled: 1-line block ×3, first 2 shown]
	s_waitcnt vmcnt(3)
	ds_write_b64 v1, v[32:33]
	s_waitcnt vmcnt(2)
	ds_write_b64 v1, v[34:35] offset:2112
	s_waitcnt vmcnt(1)
	ds_write_b64 v1, v[36:37] offset:4224
	;; [unrolled: 2-line block ×3, first 2 shown]
	s_cbranch_execz .LBB110_54
	s_branch .LBB110_63
.LBB110_50:
	ds_read_b64 v[4:5], v14
	s_waitcnt lgkmcnt(0)
	ds_write_b64 v30, v[4:5]
	s_or_b64 exec, exec, s[34:35]
	s_and_saveexec_b64 s[8:9], s[10:11]
	s_cbranch_execz .LBB110_43
.LBB110_51:
	ds_read_b64 v[4:5], v15
	s_waitcnt lgkmcnt(0)
	ds_write_b64 v30, v[4:5] offset:8
	s_or_b64 exec, exec, s[8:9]
	s_and_saveexec_b64 s[8:9], s[12:13]
	s_cbranch_execz .LBB110_44
.LBB110_52:
	ds_read_b64 v[4:5], v15 offset:264
	s_waitcnt lgkmcnt(0)
	ds_write_b64 v30, v[4:5] offset:16
	s_or_b64 exec, exec, s[8:9]
	s_and_saveexec_b64 s[8:9], s[14:15]
	s_cbranch_execnz .LBB110_45
	s_branch .LBB110_46
.LBB110_53:
                                        ; implicit-def: $vgpr10
                                        ; implicit-def: $vgpr8
                                        ; implicit-def: $vgpr14
                                        ; implicit-def: $vgpr9
                                        ; implicit-def: $vgpr7
                                        ; implicit-def: $vgpr6
                                        ; implicit-def: $vgpr11
.LBB110_54:
	v_lshlrev_b32_e32 v2, 3, v0
	v_sub_co_u32_e32 v4, vcc, v24, v2
	s_ashr_i32 s25, s24, 31
	s_nop 0
	v_subbrev_co_u32_e32 v5, vcc, 0, v25, vcc
	s_movk_i32 s10, 0xfef8
	v_or_b32_e32 v1, 32, v0
	v_lshl_add_u64 v[4:5], s[24:25], 3, v[4:5]
	s_mov_b32 s11, -1
	v_lshl_add_u64 v[4:5], v[4:5], 0, s[10:11]
	v_cmp_gt_i32_e32 vcc, s24, v1
	v_mov_b64_e32 v[6:7], 0
	v_cmp_gt_i32_e64 s[10:11], s24, v12
	v_cndmask_b32_e32 v5, v5, v25, vcc
	v_cndmask_b32_e32 v4, v4, v24, vcc
	v_mov_b64_e32 v[8:9], v[6:7]
	s_and_saveexec_b64 s[12:13], s[10:11]
	s_cbranch_execz .LBB110_56
; %bb.55:
	global_load_dwordx2 v[8:9], v[4:5], off
.LBB110_56:
	s_or_b64 exec, exec, s[12:13]
	v_mad_u32_u24 v10, v12, 33, v0
	v_lshlrev_b32_e32 v3, 3, v10
	s_waitcnt vmcnt(0)
	ds_write_b64 v3, v[8:9]
	v_add_u32_e32 v8, 8, v12
	v_cmp_gt_i32_e64 s[10:11], s24, v8
	s_and_saveexec_b64 s[12:13], s[10:11]
	s_cbranch_execz .LBB110_58
; %bb.57:
	s_lshl_b64 s[10:11], s[40:41], 6
	v_lshl_add_u64 v[0:1], v[4:5], 0, s[10:11]
	global_load_dwordx2 v[6:7], v[0:1], off
.LBB110_58:
	s_or_b64 exec, exec, s[12:13]
	v_add_u32_e32 v9, 16, v12
	v_mov_b64_e32 v[0:1], 0
	s_waitcnt vmcnt(0)
	ds_write_b64 v3, v[6:7] offset:2112
	v_cmp_gt_i32_e64 s[10:11], s24, v9
	v_mov_b64_e32 v[6:7], v[0:1]
	s_and_saveexec_b64 s[12:13], s[10:11]
	s_cbranch_execz .LBB110_60
; %bb.59:
	s_lshl_b64 s[10:11], s[40:41], 7
	v_lshl_add_u64 v[6:7], v[4:5], 0, s[10:11]
	global_load_dwordx2 v[6:7], v[6:7], off
.LBB110_60:
	s_or_b64 exec, exec, s[12:13]
	s_waitcnt vmcnt(0)
	ds_write_b64 v3, v[6:7] offset:4224
	v_add_u32_e32 v6, 24, v12
	v_cmp_gt_i32_e64 s[10:11], s24, v6
	s_and_saveexec_b64 s[12:13], s[10:11]
	s_cbranch_execz .LBB110_62
; %bb.61:
	v_mov_b32_e32 v0, 0xc0
	v_mad_u64_u32 v[0:1], s[10:11], s40, v0, v[4:5]
	s_mul_i32 s10, s41, 0xc0
	s_nop 0
	v_add_u32_e32 v1, s10, v1
	global_load_dwordx2 v[0:1], v[0:1], off
.LBB110_62:
	s_or_b64 exec, exec, s[12:13]
	s_waitcnt vmcnt(0)
	ds_write_b64 v3, v[0:1] offset:6336
	v_mov_b32_e32 v3, 0
	v_lshl_add_u64 v[0:1], v[4:5], 0, v[2:3]
	s_lshl_b64 s[10:11], s[24:25], 3
	v_mov_b32_e32 v2, s11
	v_subrev_co_u32_e64 v0, s[10:11], s10, v0
	v_add_u32_e32 v14, 0x108, v10
	s_nop 0
	v_subb_co_u32_e64 v1, s[10:11], v1, v2, s[10:11]
	s_mov_b64 s[10:11], 0x108
	s_nop 0
	v_lshl_add_u64 v[0:1], v[0:1], 0, s[10:11]
	v_add_u32_e32 v7, 0x210, v10
	v_add_u32_e32 v11, 0x318, v10
	v_cndmask_b32_e32 v25, v1, v25, vcc
	v_cndmask_b32_e32 v24, v0, v24, vcc
.LBB110_63:
	v_lshlrev_b32_e32 v0, 3, v10
	s_waitcnt lgkmcnt(0)
	s_barrier
	v_lshlrev_b32_e32 v1, 3, v12
	v_lshlrev_b32_e32 v2, 3, v14
	;; [unrolled: 1-line block ×3, first 2 shown]
	ds_read_b64 v[32:33], v0
	ds_read_b64 v[34:35], v1 offset:9088
	ds_read_b64 v[36:37], v2
	ds_read_b64 v[38:39], v3 offset:9088
	v_lshlrev_b32_e32 v0, 3, v7
	v_lshlrev_b32_e32 v1, 3, v9
	;; [unrolled: 1-line block ×4, first 2 shown]
	ds_read_b64 v[40:41], v0
	ds_read_b64 v[42:43], v1 offset:9088
	ds_read_b64 v[44:45], v2
	ds_read_b64 v[46:47], v3 offset:9088
	ds_read_b128 v[8:11], v13 offset:256
	ds_read_b128 v[0:3], v13 offset:272
	ds_read2_b64 v[12:15], v30 offset1:1
	ds_read2_b64 v[4:7], v30 offset0:2 offset1:3
	s_waitcnt lgkmcnt(10)
	v_fma_f64 v[30:31], v[32:33], v[34:35], 0
	s_waitcnt lgkmcnt(8)
	v_fmac_f64_e32 v[30:31], v[36:37], v[38:39]
	s_waitcnt lgkmcnt(6)
	v_fmac_f64_e32 v[30:31], v[40:41], v[42:43]
	;; [unrolled: 2-line block ×3, first 2 shown]
	s_waitcnt lgkmcnt(0)
	s_barrier
	ds_write_b64 v29, v[30:31]
	s_waitcnt lgkmcnt(0)
	s_barrier
	s_and_saveexec_b64 s[10:11], s[8:9]
	s_cbranch_execz .LBB110_65
; %bb.64:
	v_lshlrev_b32_e32 v42, 3, v28
	ds_read2_b64 v[30:33], v42 offset1:1
	ds_read2_b64 v[34:37], v42 offset0:2 offset1:3
	ds_read2_b64 v[38:41], v42 offset0:4 offset1:5
	s_waitcnt lgkmcnt(2)
	v_add_f64 v[18:19], v[18:19], v[30:31]
	v_add_f64 v[18:19], v[18:19], v[32:33]
	ds_read2_b64 v[30:33], v42 offset0:6 offset1:7
	s_waitcnt lgkmcnt(2)
	v_add_f64 v[18:19], v[18:19], v[34:35]
	v_add_f64 v[18:19], v[18:19], v[36:37]
	s_waitcnt lgkmcnt(1)
	v_add_f64 v[18:19], v[18:19], v[38:39]
	v_add_f64 v[18:19], v[18:19], v[40:41]
	;; [unrolled: 3-line block ×3, first 2 shown]
.LBB110_65:
	s_or_b64 exec, exec, s[10:11]
	v_fma_f64 v[8:9], v[12:13], v[8:9], 0
	v_fmac_f64_e32 v[8:9], v[14:15], v[10:11]
	v_fmac_f64_e32 v[8:9], v[4:5], v[0:1]
	;; [unrolled: 1-line block ×3, first 2 shown]
	s_barrier
	ds_write_b64 v29, v[8:9]
	s_waitcnt lgkmcnt(0)
	s_barrier
	s_and_saveexec_b64 s[8:9], s[6:7]
	s_cbranch_execz .LBB110_67
; %bb.66:
	v_lshlrev_b32_e32 v14, 3, v28
	ds_read2_b64 v[0:3], v14 offset1:1
	ds_read2_b64 v[4:7], v14 offset0:2 offset1:3
	ds_read2_b64 v[8:11], v14 offset0:4 offset1:5
	s_waitcnt lgkmcnt(2)
	v_add_f64 v[0:1], v[18:19], v[0:1]
	v_add_f64 v[12:13], v[0:1], v[2:3]
	ds_read2_b64 v[0:3], v14 offset0:6 offset1:7
	s_waitcnt lgkmcnt(2)
	v_add_f64 v[4:5], v[12:13], v[4:5]
	v_add_f64 v[4:5], v[4:5], v[6:7]
	s_waitcnt lgkmcnt(1)
	v_add_f64 v[4:5], v[4:5], v[8:9]
	v_add_f64 v[4:5], v[4:5], v[10:11]
	;; [unrolled: 3-line block ×3, first 2 shown]
.LBB110_67:
	s_or_b64 exec, exec, s[8:9]
	s_load_dwordx2 s[0:1], s[0:1], 0x68
	s_mul_hi_u32 s6, s33, s3
	s_mul_i32 s44, s44, s3
	s_add_i32 s6, s6, s44
	s_mul_i32 s3, s33, s3
	s_mul_i32 s6, s6, s52
	s_mul_hi_u32 s7, s3, s52
	s_add_i32 s7, s7, s6
	s_mul_i32 s6, s3, s52
	s_lshl_b64 s[6:7], s[6:7], 3
	s_waitcnt lgkmcnt(0)
	s_add_u32 s3, s0, s6
	s_mul_i32 s0, s2, s33
	s_addc_u32 s7, s1, s7
	s_ashr_i32 s1, s0, 31
	s_lshl_b64 s[0:1], s[0:1], 3
	s_add_u32 s6, s3, s0
	v_cmp_le_i32_e32 vcc, s24, v26
	s_addc_u32 s7, s7, s1
	s_and_b64 vcc, s[30:31], vcc
	s_cmp_lt_i32 s2, 1
	v_lshlrev_b32_e32 v0, 3, v26
	s_barrier
	s_cbranch_scc1 .LBB110_74
; %bb.68:
	s_mul_i32 s0, s26, s49
	s_mul_hi_u32 s1, s26, s48
	s_add_i32 s0, s1, s0
	s_mul_i32 s1, s27, s48
	s_add_i32 s1, s0, s1
	s_mul_i32 s0, s26, s48
	s_lshl_b64 s[0:1], s[0:1], 3
	v_mov_b32_e32 v1, s1
	v_subrev_co_u32_e64 v2, s[0:1], s0, v20
	v_mov_b32_e32 v4, s29
	s_nop 0
	v_subb_co_u32_e64 v3, s[0:1], v21, v1, s[0:1]
	v_subrev_co_u32_e64 v6, s[0:1], s28, v24
	v_lshlrev_b32_e32 v1, 2, v76
	s_nop 0
	v_subb_co_u32_e64 v7, s[0:1], v25, v4, s[0:1]
	v_lshlrev_b64 v[4:5], 3, v[22:23]
	v_sub_co_u32_e64 v4, s[0:1], v6, v4
	s_ashr_i32 s25, s24, 31
	s_nop 0
	v_subb_co_u32_e64 v5, s[0:1], v7, v5, s[0:1]
	v_mad_u64_u32 v[6:7], s[0:1], v1, s40, 0
	v_mov_b32_e32 v8, v7
	v_mad_u64_u32 v[8:9], s[0:1], v1, s41, v[8:9]
	v_mov_b32_e32 v7, v8
	v_lshl_add_u64 v[6:7], v[6:7], 3, v[4:5]
	s_movk_i32 s0, 0xfef8
	v_lshl_add_u64 v[4:5], s[24:25], 3, v[6:7]
	s_mov_b32 s1, -1
	v_lshl_add_u64 v[8:9], v[4:5], 0, s[0:1]
	v_mov_b32_e32 v5, 0
	v_mov_b32_e32 v1, v5
	s_movk_i32 s0, 0xff00
	v_lshl_add_u64 v[6:7], v[6:7], 0, v[0:1]
	s_mov_b32 s1, -1
	v_lshl_add_u64 v[6:7], v[6:7], 0, s[0:1]
	v_and_b32_e32 v4, 48, v26
	v_and_b32_e32 v10, 15, v26
	v_cndmask_b32_e32 v6, v6, v8, vcc
	v_lshlrev_b32_e32 v8, 3, v4
	s_movk_i32 s3, 0x218
	v_lshrrev_b32_e32 v11, 4, v27
	v_mad_u32_u24 v78, v10, s3, v8
	v_or_b32_e32 v8, 0x78, v0
	v_mad_u32_u24 v79, v10, s3, v8
	v_lshlrev_b32_e32 v8, 5, v11
	v_mad_u32_u24 v80, v10, s3, v8
	v_mov_b32_e32 v8, 0x2180
	v_lshl_add_u32 v81, v76, 5, v8
	v_lshlrev_b32_e32 v8, 3, v11
	v_mad_u32_u24 v83, v10, s3, v8
	s_mul_i32 s3, s41, 24
	s_mul_hi_u32 s14, s40, 24
	s_add_i32 s15, s14, s3
	s_mul_i32 s3, s41, 0x90
	s_mul_hi_u32 s16, s40, 0x90
	s_add_i32 s17, s16, s3
	;; [unrolled: 3-line block ×9, first 2 shown]
	s_mul_i32 s3, s41, 0x108
	s_mul_hi_u32 s33, s40, 0x108
	s_movk_i32 s8, 0x860
	s_add_i32 s39, s33, s3
	s_mul_i32 s3, s41, 0x88
	s_mul_hi_u32 s33, s40, 0x88
	v_cndmask_b32_e32 v7, v7, v9, vcc
	v_add_u32_e32 v1, 0x2180, v0
	v_add_u32_e32 v77, 0x2380, v0
	v_cmp_gt_u32_e64 s[0:1], 64, v27
	v_mad_u32_u24 v82, v76, s8, v0
	s_lshl_b64 s[8:9], s[40:41], 3
	s_lshl_b64 s[10:11], s[40:41], 9
	;; [unrolled: 1-line block ×3, first 2 shown]
	s_mul_i32 s14, s40, 24
	s_mul_i32 s16, s40, 0x90
	;; [unrolled: 1-line block ×10, first 2 shown]
	s_add_i32 s43, s33, s3
	s_mul_i32 s42, s40, 0x88
	s_lshl_b64 s[40:41], s[40:41], 7
	v_or_b32_e32 v84, v4, v10
	s_mov_b32 s3, 0
	s_branch .LBB110_70
.LBB110_69:                             ;   in Loop: Header=BB110_70 Depth=1
	s_or_b64 exec, exec, s[44:45]
	v_fmac_f64_e32 v[18:19], v[8:9], v[20:21]
	v_fmac_f64_e32 v[18:19], v[12:13], v[22:23]
	;; [unrolled: 1-line block ×15, first 2 shown]
	s_add_i32 s3, s3, 64
	s_add_i32 s2, s2, -1
	v_fmac_f64_e32 v[18:19], v[60:61], v[74:75]
	s_cmp_eq_u32 s2, 0
	v_lshl_add_u64 v[6:7], v[6:7], 0, s[10:11]
	s_barrier
	s_cbranch_scc1 .LBB110_74
.LBB110_70:                             ; =>This Inner Loop Header: Depth=1
	s_and_saveexec_b64 s[44:45], s[18:19]
	s_cbranch_execz .LBB110_72
; %bb.71:                               ;   in Loop: Header=BB110_70 Depth=1
	s_mul_i32 s33, s3, s49
	s_mul_hi_u32 s46, s3, s48
	s_add_i32 s47, s46, s33
	s_mul_i32 s46, s3, s48
	v_lshl_add_u64 v[8:9], s[46:47], 3, v[2:3]
	global_load_dwordx2 v[8:9], v[8:9], off
	s_waitcnt vmcnt(0)
	ds_write_b64 v1, v[8:9]
.LBB110_72:                             ;   in Loop: Header=BB110_70 Depth=1
	s_or_b64 exec, exec, s[44:45]
	s_waitcnt lgkmcnt(0)
	s_barrier
	global_load_dwordx2 v[8:9], v[6:7], off
	v_lshl_add_u64 v[14:15], v[6:7], 0, s[8:9]
	v_lshl_add_u64 v[20:21], v[6:7], 0, s[12:13]
	global_load_dwordx2 v[12:13], v[14:15], off
	global_load_dwordx2 v[10:11], v[20:21], off
	v_lshl_add_u64 v[14:15], v[6:7], 0, s[14:15]
	global_load_dwordx2 v[14:15], v[14:15], off
	ds_read_b64 v[22:23], v77
	ds_read_b64 v[20:21], v81
	v_lshl_add_u64 v[36:37], v[6:7], 0, s[40:41]
	v_lshl_add_u64 v[38:39], v[6:7], 0, s[42:43]
	;; [unrolled: 1-line block ×12, first 2 shown]
	s_waitcnt vmcnt(3) lgkmcnt(1)
	v_mul_f64 v[24:25], v[8:9], v[22:23]
	ds_write_b64 v82, v[24:25]
	s_waitcnt vmcnt(2)
	v_mul_f64 v[24:25], v[12:13], v[22:23]
	s_waitcnt vmcnt(1)
	v_mul_f64 v[26:27], v[10:11], v[22:23]
	;; [unrolled: 2-line block ×3, first 2 shown]
	ds_read_b64 v[22:23], v81 offset:8
	ds_write_b64 v82, v[24:25] offset:536
	ds_read_b64 v[24:25], v81 offset:16
	ds_write_b64 v82, v[26:27] offset:1072
	;; [unrolled: 2-line block ×3, first 2 shown]
	s_waitcnt lgkmcnt(0)
	s_barrier
	ds_read2_b64 v[68:71], v80 offset1:1
	ds_read2_b64 v[72:75], v80 offset0:2 offset1:3
	s_waitcnt lgkmcnt(0)
	s_barrier
	global_load_dwordx2 v[34:35], v[36:37], off
	global_load_dwordx2 v[32:33], v[38:39], off
	;; [unrolled: 1-line block ×4, first 2 shown]
	ds_read_b64 v[38:39], v77
	ds_read_b64 v[36:37], v81 offset:128
	v_add_f64 v[68:69], v[68:69], 0
	v_add_f64 v[68:69], v[68:69], v[70:71]
	;; [unrolled: 1-line block ×3, first 2 shown]
	s_waitcnt vmcnt(3) lgkmcnt(1)
	v_mul_f64 v[40:41], v[34:35], v[38:39]
	s_waitcnt vmcnt(2)
	v_mul_f64 v[42:43], v[32:33], v[38:39]
	ds_write_b64 v82, v[40:41]
	s_waitcnt vmcnt(1)
	v_mul_f64 v[44:45], v[30:31], v[38:39]
	s_waitcnt vmcnt(0)
	v_mul_f64 v[46:47], v[28:29], v[38:39]
	ds_read_b64 v[38:39], v81 offset:136
	ds_write_b64 v82, v[42:43] offset:536
	ds_read_b64 v[40:41], v81 offset:144
	ds_write_b64 v82, v[44:45] offset:1072
	;; [unrolled: 2-line block ×3, first 2 shown]
	s_waitcnt lgkmcnt(0)
	s_barrier
	ds_read2_b64 v[86:89], v80 offset1:1
	ds_read2_b64 v[90:93], v80 offset0:2 offset1:3
	s_waitcnt lgkmcnt(0)
	s_barrier
	global_load_dwordx2 v[50:51], v[52:53], off
	global_load_dwordx2 v[48:49], v[54:55], off
	;; [unrolled: 1-line block ×4, first 2 shown]
	ds_read_b64 v[54:55], v77
	ds_read_b64 v[52:53], v81 offset:256
	s_waitcnt vmcnt(3) lgkmcnt(1)
	v_mul_f64 v[56:57], v[50:51], v[54:55]
	s_waitcnt vmcnt(2)
	v_mul_f64 v[58:59], v[48:49], v[54:55]
	ds_write_b64 v82, v[56:57]
	s_waitcnt vmcnt(1)
	v_mul_f64 v[60:61], v[46:47], v[54:55]
	s_waitcnt vmcnt(0)
	v_mul_f64 v[62:63], v[44:45], v[54:55]
	ds_read_b64 v[54:55], v81 offset:264
	ds_write_b64 v82, v[58:59] offset:536
	ds_read_b64 v[56:57], v81 offset:272
	ds_write_b64 v82, v[60:61] offset:1072
	;; [unrolled: 2-line block ×3, first 2 shown]
	s_waitcnt lgkmcnt(0)
	s_barrier
	ds_read2_b64 v[94:97], v80 offset1:1
	ds_read2_b64 v[98:101], v80 offset0:2 offset1:3
	s_waitcnt lgkmcnt(0)
	s_barrier
	global_load_dwordx2 v[66:67], v[102:103], off
	global_load_dwordx2 v[64:65], v[104:105], off
	;; [unrolled: 1-line block ×4, first 2 shown]
	v_add_f64 v[102:103], v[68:69], v[74:75]
	v_add_f64 v[68:69], v[86:87], 0
	;; [unrolled: 1-line block ×5, first 2 shown]
	ds_read_b64 v[70:71], v77
	ds_read_b64 v[68:69], v81 offset:384
	v_add_f64 v[72:73], v[94:95], 0
	v_add_f64 v[72:73], v[72:73], v[96:97]
	;; [unrolled: 1-line block ×4, first 2 shown]
	s_waitcnt vmcnt(3) lgkmcnt(1)
	v_mul_f64 v[72:73], v[66:67], v[70:71]
	s_waitcnt vmcnt(2)
	v_mul_f64 v[74:75], v[64:65], v[70:71]
	ds_write_b64 v82, v[72:73]
	s_waitcnt vmcnt(1)
	v_mul_f64 v[86:87], v[62:63], v[70:71]
	s_waitcnt vmcnt(0)
	v_mul_f64 v[88:89], v[60:61], v[70:71]
	ds_read_b64 v[70:71], v81 offset:392
	ds_write_b64 v82, v[74:75] offset:536
	ds_read_b64 v[72:73], v81 offset:400
	ds_write_b64 v82, v[86:87] offset:1072
	;; [unrolled: 2-line block ×3, first 2 shown]
	s_waitcnt lgkmcnt(0)
	s_barrier
	ds_read2_b64 v[86:89], v80 offset1:1
	ds_read2_b64 v[90:93], v80 offset0:2 offset1:3
	s_waitcnt lgkmcnt(0)
	s_barrier
	v_add_f64 v[86:87], v[86:87], 0
	v_add_f64 v[86:87], v[86:87], v[88:89]
	;; [unrolled: 1-line block ×4, first 2 shown]
	ds_write2_b64 v83, v[102:103], v[104:105] offset1:16
	ds_write2_b64 v83, v[94:95], v[86:87] offset0:32 offset1:48
	s_waitcnt lgkmcnt(0)
	s_barrier
	s_and_saveexec_b64 s[44:45], s[0:1]
	s_cbranch_execz .LBB110_69
; %bb.73:                               ;   in Loop: Header=BB110_70 Depth=1
	ds_read2_b64 v[86:89], v78 offset1:1
	ds_read2_b64 v[90:93], v78 offset0:2 offset1:3
	ds_read2_b64 v[94:97], v78 offset0:4 offset1:5
	;; [unrolled: 1-line block ×3, first 2 shown]
	v_add_u32_e32 v4, s3, v84
	s_waitcnt lgkmcnt(3)
	v_add_f64 v[86:87], v[86:87], v[88:89]
	s_waitcnt lgkmcnt(2)
	v_add_f64 v[86:87], v[86:87], v[90:91]
	v_add_f64 v[86:87], v[86:87], v[92:93]
	s_waitcnt lgkmcnt(1)
	v_add_f64 v[90:91], v[86:87], v[94:95]
	ds_read2_b64 v[86:89], v78 offset0:8 offset1:9
	v_add_f64 v[90:91], v[90:91], v[96:97]
	s_waitcnt lgkmcnt(1)
	v_add_f64 v[94:95], v[90:91], v[98:99]
	ds_read2_b64 v[90:93], v78 offset0:10 offset1:11
	v_add_f64 v[94:95], v[94:95], v[100:101]
	s_waitcnt lgkmcnt(1)
	v_add_f64 v[86:87], v[94:95], v[86:87]
	v_add_f64 v[94:95], v[86:87], v[88:89]
	ds_read2_b64 v[86:89], v78 offset0:12 offset1:13
	s_waitcnt lgkmcnt(1)
	v_add_f64 v[90:91], v[94:95], v[90:91]
	ds_read_b64 v[94:95], v78 offset:112
	ds_read_b64 v[96:97], v79
	v_add_f64 v[90:91], v[90:91], v[92:93]
	s_waitcnt lgkmcnt(2)
	v_add_f64 v[86:87], v[90:91], v[86:87]
	v_add_f64 v[86:87], v[86:87], v[88:89]
	s_waitcnt lgkmcnt(1)
	v_add_f64 v[86:87], v[86:87], v[94:95]
	s_waitcnt lgkmcnt(0)
	v_add_f64 v[86:87], v[86:87], v[96:97]
	v_lshl_add_u64 v[88:89], v[4:5], 3, s[6:7]
	global_store_dwordx2 v[88:89], v[86:87], off
	s_branch .LBB110_69
.LBB110_74:
	s_movk_i32 s0, 0x218
	v_mad_u32_u24 v1, v76, s0, v0
	s_or_b64 s[0:1], s[4:5], vcc
	s_xor_b64 s[0:1], s[0:1], -1
	ds_write_b64 v1, v[18:19]
	s_waitcnt lgkmcnt(0)
	s_barrier
	s_and_saveexec_b64 s[2:3], s[0:1]
	s_cbranch_execz .LBB110_76
; %bb.75:
	ds_read2_b64 v[2:5], v0 offset1:67
	ds_read2_b64 v[6:9], v0 offset0:134 offset1:201
	s_waitcnt lgkmcnt(1)
	v_add_f64 v[0:1], v[2:3], v[4:5]
	s_waitcnt lgkmcnt(0)
	v_add_f64 v[0:1], v[0:1], v[6:7]
	v_add_f64 v[0:1], v[0:1], v[8:9]
	v_lshl_add_u64 v[2:3], v[16:17], 3, s[6:7]
	global_store_dwordx2 v[2:3], v[0:1], off
.LBB110_76:
	s_endpgm
	.section	.rodata,"a",@progbits
	.p2align	6, 0x0
	.amdhsa_kernel _ZL26rocblas_hemvn_kernel_lowerILb0ELi64ELi4ELi33ELi32ELi16EldPKdPdEviT6_lT7_lT5_lS4_lS5_lS3_lT8_i
		.amdhsa_group_segment_fixed_size 9600
		.amdhsa_private_segment_fixed_size 0
		.amdhsa_kernarg_size 376
		.amdhsa_user_sgpr_count 2
		.amdhsa_user_sgpr_dispatch_ptr 0
		.amdhsa_user_sgpr_queue_ptr 0
		.amdhsa_user_sgpr_kernarg_segment_ptr 1
		.amdhsa_user_sgpr_dispatch_id 0
		.amdhsa_user_sgpr_kernarg_preload_length 0
		.amdhsa_user_sgpr_kernarg_preload_offset 0
		.amdhsa_user_sgpr_private_segment_size 0
		.amdhsa_uses_dynamic_stack 0
		.amdhsa_enable_private_segment 0
		.amdhsa_system_sgpr_workgroup_id_x 1
		.amdhsa_system_sgpr_workgroup_id_y 0
		.amdhsa_system_sgpr_workgroup_id_z 1
		.amdhsa_system_sgpr_workgroup_info 0
		.amdhsa_system_vgpr_workitem_id 1
		.amdhsa_next_free_vgpr 110
		.amdhsa_next_free_sgpr 53
		.amdhsa_accum_offset 112
		.amdhsa_reserve_vcc 1
		.amdhsa_float_round_mode_32 0
		.amdhsa_float_round_mode_16_64 0
		.amdhsa_float_denorm_mode_32 3
		.amdhsa_float_denorm_mode_16_64 3
		.amdhsa_dx10_clamp 1
		.amdhsa_ieee_mode 1
		.amdhsa_fp16_overflow 0
		.amdhsa_tg_split 0
		.amdhsa_exception_fp_ieee_invalid_op 0
		.amdhsa_exception_fp_denorm_src 0
		.amdhsa_exception_fp_ieee_div_zero 0
		.amdhsa_exception_fp_ieee_overflow 0
		.amdhsa_exception_fp_ieee_underflow 0
		.amdhsa_exception_fp_ieee_inexact 0
		.amdhsa_exception_int_div_zero 0
	.end_amdhsa_kernel
	.section	.text._ZL26rocblas_hemvn_kernel_lowerILb0ELi64ELi4ELi33ELi32ELi16EldPKdPdEviT6_lT7_lT5_lS4_lS5_lS3_lT8_i,"axG",@progbits,_ZL26rocblas_hemvn_kernel_lowerILb0ELi64ELi4ELi33ELi32ELi16EldPKdPdEviT6_lT7_lT5_lS4_lS5_lS3_lT8_i,comdat
.Lfunc_end110:
	.size	_ZL26rocblas_hemvn_kernel_lowerILb0ELi64ELi4ELi33ELi32ELi16EldPKdPdEviT6_lT7_lT5_lS4_lS5_lS3_lT8_i, .Lfunc_end110-_ZL26rocblas_hemvn_kernel_lowerILb0ELi64ELi4ELi33ELi32ELi16EldPKdPdEviT6_lT7_lT5_lS4_lS5_lS3_lT8_i
                                        ; -- End function
	.section	.AMDGPU.csdata,"",@progbits
; Kernel info:
; codeLenInByte = 5996
; NumSgprs: 59
; NumVgprs: 110
; NumAgprs: 0
; TotalNumVgprs: 110
; ScratchSize: 0
; MemoryBound: 0
; FloatMode: 240
; IeeeMode: 1
; LDSByteSize: 9600 bytes/workgroup (compile time only)
; SGPRBlocks: 7
; VGPRBlocks: 13
; NumSGPRsForWavesPerEU: 59
; NumVGPRsForWavesPerEU: 110
; AccumOffset: 112
; Occupancy: 4
; WaveLimiterHint : 1
; COMPUTE_PGM_RSRC2:SCRATCH_EN: 0
; COMPUTE_PGM_RSRC2:USER_SGPR: 2
; COMPUTE_PGM_RSRC2:TRAP_HANDLER: 0
; COMPUTE_PGM_RSRC2:TGID_X_EN: 1
; COMPUTE_PGM_RSRC2:TGID_Y_EN: 0
; COMPUTE_PGM_RSRC2:TGID_Z_EN: 1
; COMPUTE_PGM_RSRC2:TIDIG_COMP_CNT: 1
; COMPUTE_PGM_RSRC3_GFX90A:ACCUM_OFFSET: 27
; COMPUTE_PGM_RSRC3_GFX90A:TG_SPLIT: 0
	.section	.text._ZL36rocblas_hemvn_kernel_lower_block_sumILi64EldPddEviT1_lS1_lT2_lT0_lPT3_i,"axG",@progbits,_ZL36rocblas_hemvn_kernel_lower_block_sumILi64EldPddEviT1_lS1_lT2_lT0_lPT3_i,comdat
	.globl	_ZL36rocblas_hemvn_kernel_lower_block_sumILi64EldPddEviT1_lS1_lT2_lT0_lPT3_i ; -- Begin function _ZL36rocblas_hemvn_kernel_lower_block_sumILi64EldPddEviT1_lS1_lT2_lT0_lPT3_i
	.p2align	8
	.type	_ZL36rocblas_hemvn_kernel_lower_block_sumILi64EldPddEviT1_lS1_lT2_lT0_lPT3_i,@function
_ZL36rocblas_hemvn_kernel_lower_block_sumILi64EldPddEviT1_lS1_lT2_lT0_lPT3_i: ; @_ZL36rocblas_hemvn_kernel_lower_block_sumILi64EldPddEviT1_lS1_lT2_lT0_lPT3_i
; %bb.0:
	s_load_dwordx2 s[10:11], s[0:1], 0x8
	s_load_dwordx2 s[12:13], s[0:1], 0x18
	s_waitcnt lgkmcnt(0)
	v_cmp_eq_f64_e64 s[4:5], s[10:11], 0
	v_cmp_eq_f64_e64 s[6:7], s[12:13], 1.0
	s_and_b64 s[4:5], s[4:5], s[6:7]
	s_and_b64 vcc, exec, s[4:5]
	s_cbranch_vccnz .LBB111_19
; %bb.1:
	s_load_dwordx2 s[8:9], s[0:1], 0x40
	s_load_dwordx4 s[4:7], s[0:1], 0x30
	s_load_dwordx2 s[14:15], s[0:1], 0x28
	s_load_dword s16, s[0:1], 0x0
	v_lshl_or_b32 v6, s2, 6, v0
	s_waitcnt lgkmcnt(0)
	s_mul_i32 s9, s3, s9
	s_mul_hi_u32 s17, s3, s8
	s_add_i32 s9, s17, s9
	s_mul_i32 s8, s3, s8
	s_lshl_b64 s[8:9], s[8:9], 3
	s_add_u32 s8, s14, s8
	s_addc_u32 s9, s15, s9
	s_lshl_b64 s[4:5], s[4:5], 3
	s_add_u32 s8, s8, s4
	s_addc_u32 s9, s9, s5
	v_cmp_neq_f64_e64 s[4:5], s[10:11], 0
	s_mov_b64 s[14:15], 0
	s_and_b64 vcc, exec, s[4:5]
	v_cmp_gt_i32_e64 s[4:5], s16, v6
	s_cbranch_vccnz .LBB111_6
; %bb.2:
	s_mov_b64 s[18:19], 0
                                        ; implicit-def: $vgpr0_vgpr1
                                        ; implicit-def: $vgpr2_vgpr3
	s_and_saveexec_b64 s[20:21], s[4:5]
	s_cbranch_execz .LBB111_7
; %bb.3:
	v_ashrrev_i32_e32 v2, 31, v6
	v_cmp_eq_f64_e64 s[4:5], s[12:13], 0
	v_mul_lo_u32 v4, v6, s7
	v_mul_lo_u32 v5, v2, s6
	v_mad_u64_u32 v[2:3], s[14:15], v6, s6, 0
	v_mov_b64_e32 v[0:1], 0
	v_add3_u32 v3, v3, v4, v5
	s_and_b64 vcc, exec, s[4:5]
	s_cbranch_vccnz .LBB111_5
; %bb.4:
	v_lshl_add_u64 v[0:1], v[2:3], 3, s[8:9]
	global_load_dwordx2 v[0:1], v[0:1], off
	s_waitcnt vmcnt(0)
	v_mul_f64 v[0:1], v[0:1], s[12:13]
.LBB111_5:
	s_mov_b64 s[14:15], exec
	s_or_b64 exec, exec, s[20:21]
	s_and_b64 vcc, exec, s[18:19]
	s_cbranch_vccnz .LBB111_8
	s_branch .LBB111_17
.LBB111_6:
                                        ; implicit-def: $vgpr0_vgpr1
                                        ; implicit-def: $vgpr2_vgpr3
	s_cbranch_execnz .LBB111_8
	s_branch .LBB111_17
.LBB111_7:
	s_or_b64 exec, exec, s[20:21]
	s_and_b64 vcc, exec, s[18:19]
	s_cbranch_vccz .LBB111_17
.LBB111_8:
	v_cmp_gt_i32_e32 vcc, s16, v6
                                        ; implicit-def: $vgpr0_vgpr1
                                        ; implicit-def: $vgpr2_vgpr3
	s_and_saveexec_b64 s[4:5], vcc
	s_cbranch_execz .LBB111_16
; %bb.9:
	s_load_dword s18, s[0:1], 0x58
	v_mov_b64_e32 v[4:5], 0
	s_waitcnt lgkmcnt(0)
	s_cmp_ge_i32 s2, s18
	s_cbranch_scc1 .LBB111_12
; %bb.10:
	s_ashr_i32 s17, s16, 31
	s_mul_i32 s19, s2, s16
	s_load_dwordx2 s[0:1], s[0:1], 0x48
	v_add_u32_e32 v0, s19, v6
	s_mul_hi_u32 s19, s16, s3
	s_mul_i32 s20, s17, s3
	s_add_i32 s19, s19, s20
	s_mul_i32 s3, s16, s3
	s_mul_i32 s19, s19, s18
	s_mul_hi_u32 s20, s3, s18
	s_add_i32 s21, s20, s19
	s_mul_i32 s20, s3, s18
	s_lshl_b64 s[20:21], s[20:21], 3
	s_waitcnt lgkmcnt(0)
	s_add_u32 s0, s0, s20
	v_ashrrev_i32_e32 v1, 31, v0
	s_addc_u32 s1, s1, s21
	v_lshl_add_u64 v[0:1], v[0:1], 3, s[0:1]
	s_lshl_b64 s[0:1], s[16:17], 3
	v_mov_b64_e32 v[4:5], 0
.LBB111_11:                             ; =>This Inner Loop Header: Depth=1
	global_load_dwordx2 v[2:3], v[0:1], off
	s_add_i32 s2, s2, 1
	v_lshl_add_u64 v[0:1], v[0:1], 0, s[0:1]
	s_cmp_ge_i32 s2, s18
	s_waitcnt vmcnt(0)
	v_add_f64 v[4:5], v[4:5], v[2:3]
	s_cbranch_scc0 .LBB111_11
.LBB111_12:
	v_cmp_eq_f64_e64 s[2:3], s[12:13], 0
	v_ashrrev_i32_e32 v0, 31, v6
	s_mov_b64 s[0:1], 0
	s_and_b64 vcc, exec, s[2:3]
	v_mul_lo_u32 v7, v6, s7
	v_mul_lo_u32 v8, v0, s6
	s_cbranch_vccz .LBB111_20
; %bb.13:
	v_mad_u64_u32 v[2:3], s[2:3], v6, s6, 0
	v_mul_f64 v[0:1], v[4:5], s[10:11]
	v_add3_u32 v3, v3, v7, v8
	s_andn2_b64 vcc, exec, s[0:1]
	s_cbranch_vccnz .LBB111_15
.LBB111_14:
	v_mad_u64_u32 v[2:3], s[0:1], v6, s6, 0
	v_add3_u32 v3, v3, v7, v8
	v_lshl_add_u64 v[0:1], v[2:3], 3, s[8:9]
	global_load_dwordx2 v[0:1], v[0:1], off
	s_waitcnt vmcnt(0)
	v_mul_f64 v[0:1], v[0:1], s[12:13]
	v_fmac_f64_e32 v[0:1], s[10:11], v[4:5]
.LBB111_15:
	s_or_b64 s[14:15], s[14:15], exec
.LBB111_16:
	s_or_b64 exec, exec, s[4:5]
.LBB111_17:
	s_and_saveexec_b64 s[0:1], s[14:15]
	s_cbranch_execz .LBB111_19
; %bb.18:
	v_lshl_add_u64 v[2:3], v[2:3], 3, s[8:9]
	global_store_dwordx2 v[2:3], v[0:1], off
.LBB111_19:
	s_endpgm
.LBB111_20:
                                        ; implicit-def: $vgpr0_vgpr1
                                        ; implicit-def: $vgpr2_vgpr3
	s_branch .LBB111_14
	.section	.rodata,"a",@progbits
	.p2align	6, 0x0
	.amdhsa_kernel _ZL36rocblas_hemvn_kernel_lower_block_sumILi64EldPddEviT1_lS1_lT2_lT0_lPT3_i
		.amdhsa_group_segment_fixed_size 0
		.amdhsa_private_segment_fixed_size 0
		.amdhsa_kernarg_size 344
		.amdhsa_user_sgpr_count 2
		.amdhsa_user_sgpr_dispatch_ptr 0
		.amdhsa_user_sgpr_queue_ptr 0
		.amdhsa_user_sgpr_kernarg_segment_ptr 1
		.amdhsa_user_sgpr_dispatch_id 0
		.amdhsa_user_sgpr_kernarg_preload_length 0
		.amdhsa_user_sgpr_kernarg_preload_offset 0
		.amdhsa_user_sgpr_private_segment_size 0
		.amdhsa_uses_dynamic_stack 0
		.amdhsa_enable_private_segment 0
		.amdhsa_system_sgpr_workgroup_id_x 1
		.amdhsa_system_sgpr_workgroup_id_y 0
		.amdhsa_system_sgpr_workgroup_id_z 1
		.amdhsa_system_sgpr_workgroup_info 0
		.amdhsa_system_vgpr_workitem_id 0
		.amdhsa_next_free_vgpr 9
		.amdhsa_next_free_sgpr 22
		.amdhsa_accum_offset 12
		.amdhsa_reserve_vcc 1
		.amdhsa_float_round_mode_32 0
		.amdhsa_float_round_mode_16_64 0
		.amdhsa_float_denorm_mode_32 3
		.amdhsa_float_denorm_mode_16_64 3
		.amdhsa_dx10_clamp 1
		.amdhsa_ieee_mode 1
		.amdhsa_fp16_overflow 0
		.amdhsa_tg_split 0
		.amdhsa_exception_fp_ieee_invalid_op 0
		.amdhsa_exception_fp_denorm_src 0
		.amdhsa_exception_fp_ieee_div_zero 0
		.amdhsa_exception_fp_ieee_overflow 0
		.amdhsa_exception_fp_ieee_underflow 0
		.amdhsa_exception_fp_ieee_inexact 0
		.amdhsa_exception_int_div_zero 0
	.end_amdhsa_kernel
	.section	.text._ZL36rocblas_hemvn_kernel_lower_block_sumILi64EldPddEviT1_lS1_lT2_lT0_lPT3_i,"axG",@progbits,_ZL36rocblas_hemvn_kernel_lower_block_sumILi64EldPddEviT1_lS1_lT2_lT0_lPT3_i,comdat
.Lfunc_end111:
	.size	_ZL36rocblas_hemvn_kernel_lower_block_sumILi64EldPddEviT1_lS1_lT2_lT0_lPT3_i, .Lfunc_end111-_ZL36rocblas_hemvn_kernel_lower_block_sumILi64EldPddEviT1_lS1_lT2_lT0_lPT3_i
                                        ; -- End function
	.section	.AMDGPU.csdata,"",@progbits
; Kernel info:
; codeLenInByte = 620
; NumSgprs: 28
; NumVgprs: 9
; NumAgprs: 0
; TotalNumVgprs: 9
; ScratchSize: 0
; MemoryBound: 0
; FloatMode: 240
; IeeeMode: 1
; LDSByteSize: 0 bytes/workgroup (compile time only)
; SGPRBlocks: 3
; VGPRBlocks: 1
; NumSGPRsForWavesPerEU: 28
; NumVGPRsForWavesPerEU: 9
; AccumOffset: 12
; Occupancy: 8
; WaveLimiterHint : 0
; COMPUTE_PGM_RSRC2:SCRATCH_EN: 0
; COMPUTE_PGM_RSRC2:USER_SGPR: 2
; COMPUTE_PGM_RSRC2:TRAP_HANDLER: 0
; COMPUTE_PGM_RSRC2:TGID_X_EN: 1
; COMPUTE_PGM_RSRC2:TGID_Y_EN: 0
; COMPUTE_PGM_RSRC2:TGID_Z_EN: 1
; COMPUTE_PGM_RSRC2:TIDIG_COMP_CNT: 0
; COMPUTE_PGM_RSRC3_GFX90A:ACCUM_OFFSET: 2
; COMPUTE_PGM_RSRC3_GFX90A:TG_SPLIT: 0
	.section	.text._ZL26rocblas_hemvn_kernel_lowerILb0ELi64ELi4ELi33ELi32ELi16EidPKdPdEviT6_lT7_lT5_lS4_lS5_lS3_lT8_i,"axG",@progbits,_ZL26rocblas_hemvn_kernel_lowerILb0ELi64ELi4ELi33ELi32ELi16EidPKdPdEviT6_lT7_lT5_lS4_lS5_lS3_lT8_i,comdat
	.globl	_ZL26rocblas_hemvn_kernel_lowerILb0ELi64ELi4ELi33ELi32ELi16EidPKdPdEviT6_lT7_lT5_lS4_lS5_lS3_lT8_i ; -- Begin function _ZL26rocblas_hemvn_kernel_lowerILb0ELi64ELi4ELi33ELi32ELi16EidPKdPdEviT6_lT7_lT5_lS4_lS5_lS3_lT8_i
	.p2align	8
	.type	_ZL26rocblas_hemvn_kernel_lowerILb0ELi64ELi4ELi33ELi32ELi16EidPKdPdEviT6_lT7_lT5_lS4_lS5_lS3_lT8_i,@function
_ZL26rocblas_hemvn_kernel_lowerILb0ELi64ELi4ELi33ELi32ELi16EidPKdPdEviT6_lT7_lT5_lS4_lS5_lS3_lT8_i: ; @_ZL26rocblas_hemvn_kernel_lowerILb0ELi64ELi4ELi33ELi32ELi16EidPKdPdEviT6_lT7_lT5_lS4_lS5_lS3_lT8_i
; %bb.0:
	s_load_dwordx2 s[4:5], s[0:1], 0x84
	s_add_u32 s12, s0, 0x78
	s_addc_u32 s13, s1, 0
	s_waitcnt lgkmcnt(0)
	s_lshr_b32 s6, s4, 16
	s_and_b32 s4, s4, 0xffff
	s_and_b32 s5, s5, 0xffff
	s_mul_i32 s4, s6, s4
	s_mul_i32 s4, s4, s5
	s_cmpk_lg_i32 s4, 0x100
	s_cbranch_scc1 .LBB112_76
; %bb.1:
	s_load_dwordx2 s[8:9], s[0:1], 0x8
	s_load_dwordx4 s[4:7], s[0:1], 0x50
	s_waitcnt lgkmcnt(0)
	v_cmp_eq_f64_e64 s[8:9], s[8:9], 0
	v_cmp_eq_f64_e64 s[6:7], s[6:7], 1.0
	s_and_b64 s[6:7], s[8:9], s[6:7]
	s_and_b64 vcc, exec, s[6:7]
	s_cbranch_vccnz .LBB112_76
; %bb.2:
	s_and_b64 vcc, exec, s[8:9]
	s_cbranch_vccnz .LBB112_76
; %bb.3:
	s_load_dword s39, s[12:13], 0x0
	s_load_dword s38, s[0:1], 0x0
	s_load_dwordx4 s[8:11], s[0:1], 0x30
	s_load_dwordx2 s[6:7], s[0:1], 0x40
	s_load_dword s33, s[0:1], 0x48
	s_mul_i32 s5, s3, s5
	s_mul_hi_u32 s12, s3, s4
	s_add_i32 s5, s12, s5
	s_mul_i32 s4, s3, s4
	s_lshl_b64 s[4:5], s[4:5], 3
	s_waitcnt lgkmcnt(0)
	s_add_u32 s10, s10, s4
	s_addc_u32 s11, s11, s5
	s_lshl_b64 s[4:5], s[6:7], 3
	s_add_u32 s4, s10, s4
	s_addc_u32 s5, s11, s5
	s_ashr_i32 s40, s38, 31
	s_lshr_b32 s7, s40, 26
	v_and_b32_e32 v26, 0x3ff, v0
	s_lshl_b32 s26, s2, 6
	s_add_i32 s7, s38, s7
	s_andn2_b32 s7, s7, 63
	v_add_u32_e32 v16, s26, v26
	v_bfe_u32 v17, v0, 10, 10
	s_add_i32 s6, s39, -1
	s_sub_i32 s7, s38, s7
	v_mul_lo_u32 v0, v16, s33
	s_cmp_eq_u32 s2, s6
	v_ashrrev_i32_e32 v1, 31, v0
	s_cselect_b32 s24, s7, 0
	v_lshl_add_u64 v[20:21], v[0:1], 3, s[4:5]
	v_cmp_ne_u32_e64 s[4:5], 0, v17
	v_cmp_eq_u32_e64 s[18:19], 0, v17
	s_and_saveexec_b64 s[6:7], s[18:19]
	s_cbranch_execz .LBB112_7
; %bb.4:
	s_cmp_eq_u32 s24, 0
	s_cselect_b64 s[10:11], -1, 0
	v_cmp_gt_i32_e32 vcc, s24, v26
	s_or_b64 s[12:13], s[10:11], vcc
	v_mov_b64_e32 v[0:1], 0
	s_and_saveexec_b64 s[10:11], s[12:13]
	s_cbranch_execz .LBB112_6
; %bb.5:
	global_load_dwordx2 v[0:1], v[20:21], off
.LBB112_6:
	s_or_b64 exec, exec, s[10:11]
	v_lshlrev_b32_e32 v2, 3, v26
	s_waitcnt vmcnt(0)
	ds_write_b64 v2, v[0:1] offset:9088
.LBB112_7:
	s_or_b64 exec, exec, s[6:7]
	s_load_dwordx4 s[12:15], s[0:1], 0x18
	s_load_dword s22, s[0:1], 0x28
	s_mul_i32 s6, s3, s9
	s_mul_hi_u32 s7, s3, s8
	s_add_i32 s7, s7, s6
	s_mul_i32 s6, s3, s8
	s_lshl_b64 s[6:7], s[6:7], 3
	s_waitcnt lgkmcnt(0)
	s_add_u32 s8, s12, s6
	s_addc_u32 s9, s13, s7
	s_lshl_b64 s[6:7], s[14:15], 3
	s_add_u32 s8, s8, s6
	s_addc_u32 s9, s9, s7
	s_ashr_i32 s27, s26, 31
	v_lshl_add_u32 v27, v17, 6, v26
	s_lshl_b64 s[6:7], s[26:27], 3
	v_and_b32_e32 v0, 31, v26
	v_lshrrev_b32_e32 v12, 5, v27
	s_add_u32 s8, s8, s6
	s_addc_u32 s9, s9, s7
	v_mad_u64_u32 v[22:23], s[6:7], v12, s22, v[0:1]
	s_mul_i32 s6, s26, s22
	s_ashr_i32 s7, s6, 31
	s_lshl_b64 s[28:29], s[6:7], 3
	s_add_u32 s6, s28, s8
	s_addc_u32 s7, s29, s9
	s_cmp_lg_u32 s24, 0
	v_ashrrev_i32_e32 v23, 31, v22
	s_cselect_b64 s[30:31], -1, 0
	s_cmp_eq_u32 s24, 0
	v_lshl_add_u64 v[2:3], v[22:23], 3, s[6:7]
	s_cselect_b64 s[20:21], -1, 0
	s_and_b64 vcc, exec, s[30:31]
	s_cbranch_vccnz .LBB112_9
; %bb.8:
	s_lshl_b32 s6, s22, 3
	s_ashr_i32 s7, s6, 31
	s_ashr_i32 s23, s22, 31
	global_load_dwordx2 v[4:5], v[2:3], off
	v_lshl_add_u64 v[6:7], s[6:7], 3, v[2:3]
	global_load_dwordx2 v[8:9], v[6:7], off
	s_lshl_b64 s[6:7], s[22:23], 6
	v_lshl_add_u64 v[6:7], v[6:7], 0, s[6:7]
	global_load_dwordx2 v[10:11], v[6:7], off
	v_lshl_add_u64 v[6:7], v[6:7], 0, s[6:7]
	global_load_dwordx2 v[6:7], v[6:7], off
	v_mul_u32_u24_e32 v1, 33, v12
	v_add_lshl_u32 v1, v1, v0, 3
	s_waitcnt vmcnt(3)
	ds_write_b64 v1, v[4:5]
	s_waitcnt vmcnt(2)
	ds_write_b64 v1, v[8:9] offset:2112
	s_waitcnt vmcnt(1)
	ds_write_b64 v1, v[10:11] offset:4224
	;; [unrolled: 2-line block ×3, first 2 shown]
	s_cbranch_execz .LBB112_10
	s_branch .LBB112_19
.LBB112_9:
.LBB112_10:
	v_lshlrev_b32_e32 v4, 3, v0
	v_sub_co_u32_e32 v6, vcc, v2, v4
	s_ashr_i32 s25, s24, 31
	s_nop 0
	v_subbrev_co_u32_e32 v7, vcc, 0, v3, vcc
	v_lshl_add_u64 v[6:7], s[24:25], 3, v[6:7]
	v_lshl_add_u64 v[6:7], v[6:7], 0, -8
	v_cmp_gt_i32_e32 vcc, s24, v0
	v_mov_b64_e32 v[8:9], 0
	v_cmp_gt_i32_e64 s[6:7], s24, v12
	v_cndmask_b32_e32 v7, v7, v3, vcc
	v_cndmask_b32_e32 v6, v6, v2, vcc
	v_mov_b64_e32 v[10:11], v[8:9]
	s_and_saveexec_b64 s[8:9], s[6:7]
	s_cbranch_execz .LBB112_12
; %bb.11:
	global_load_dwordx2 v[10:11], v[6:7], off
.LBB112_12:
	s_or_b64 exec, exec, s[8:9]
	v_mul_u32_u24_e32 v1, 33, v12
	v_add_u32_e32 v5, 8, v12
	v_add_lshl_u32 v1, v1, v0, 3
	v_cmp_gt_i32_e64 s[6:7], s24, v5
	s_waitcnt vmcnt(0)
	ds_write_b64 v1, v[10:11]
	s_and_saveexec_b64 s[8:9], s[6:7]
	s_cbranch_execz .LBB112_14
; %bb.13:
	s_lshl_b32 s6, s22, 3
	s_ashr_i32 s7, s6, 31
	v_lshl_add_u64 v[8:9], s[6:7], 3, v[6:7]
	global_load_dwordx2 v[8:9], v[8:9], off
.LBB112_14:
	s_or_b64 exec, exec, s[8:9]
	s_waitcnt vmcnt(0)
	ds_write_b64 v1, v[8:9] offset:2112
	v_add_u32_e32 v5, 16, v12
	v_mov_b64_e32 v[8:9], 0
	v_cmp_gt_i32_e64 s[6:7], s24, v5
	v_mov_b64_e32 v[10:11], v[8:9]
	s_and_saveexec_b64 s[8:9], s[6:7]
	s_cbranch_execz .LBB112_16
; %bb.15:
	s_lshl_b32 s6, s22, 4
	s_ashr_i32 s7, s6, 31
	v_lshl_add_u64 v[10:11], s[6:7], 3, v[6:7]
	global_load_dwordx2 v[10:11], v[10:11], off
.LBB112_16:
	s_or_b64 exec, exec, s[8:9]
	v_add_u32_e32 v5, 24, v12
	v_cmp_gt_i32_e64 s[6:7], s24, v5
	s_waitcnt vmcnt(0)
	ds_write_b64 v1, v[10:11] offset:4224
	s_and_saveexec_b64 s[8:9], s[6:7]
	s_cbranch_execz .LBB112_18
; %bb.17:
	s_mul_i32 s6, s22, 24
	s_ashr_i32 s7, s6, 31
	v_lshl_add_u64 v[8:9], s[6:7], 3, v[6:7]
	global_load_dwordx2 v[8:9], v[8:9], off
.LBB112_18:
	s_or_b64 exec, exec, s[8:9]
	v_mov_b32_e32 v5, 0
	v_lshl_add_u64 v[4:5], v[6:7], 0, v[4:5]
	s_lshl_b64 s[6:7], s[24:25], 3
	s_waitcnt vmcnt(0)
	ds_write_b64 v1, v[8:9] offset:6336
	v_mov_b32_e32 v1, s7
	v_subrev_co_u32_e64 v4, s[6:7], s6, v4
	s_nop 1
	v_subb_co_u32_e64 v5, s[6:7], v5, v1, s[6:7]
	v_lshl_add_u64 v[4:5], v[4:5], 0, 8
	v_cndmask_b32_e32 v3, v5, v3, vcc
	v_cndmask_b32_e32 v2, v4, v2, vcc
.LBB112_19:
	v_lshlrev_b32_e32 v4, 2, v12
	v_mul_u32_u24_e32 v28, 33, v0
	v_cmp_lt_u32_e64 s[8:9], v4, v0
	v_add_lshl_u32 v30, v4, v28, 3
	s_waitcnt lgkmcnt(0)
	s_barrier
	s_and_saveexec_b64 s[6:7], s[8:9]
	s_cbranch_execz .LBB112_21
; %bb.20:
	v_mul_u32_u24_e32 v1, 0x84, v12
	v_add_lshl_u32 v1, v1, v0, 3
	ds_read_b64 v[6:7], v1
	s_waitcnt lgkmcnt(0)
	ds_write_b64 v30, v[6:7]
.LBB112_21:
	s_or_b64 exec, exec, s[6:7]
	v_or_b32_e32 v1, 1, v4
	v_cmp_lt_u32_e64 s[10:11], v1, v0
	s_and_saveexec_b64 s[6:7], s[10:11]
	s_cbranch_execz .LBB112_23
; %bb.22:
	v_mul_u32_u24_e32 v1, 33, v1
	v_add_lshl_u32 v1, v1, v0, 3
	ds_read_b64 v[6:7], v1
	s_waitcnt lgkmcnt(0)
	ds_write_b64 v30, v[6:7] offset:8
.LBB112_23:
	s_or_b64 exec, exec, s[6:7]
	v_or_b32_e32 v1, 2, v4
	v_cmp_lt_u32_e64 s[12:13], v1, v0
	s_and_saveexec_b64 s[6:7], s[12:13]
	s_cbranch_execz .LBB112_25
; %bb.24:
	v_mul_u32_u24_e32 v1, 33, v1
	v_add_lshl_u32 v1, v1, v0, 3
	ds_read_b64 v[6:7], v1
	s_waitcnt lgkmcnt(0)
	ds_write_b64 v30, v[6:7] offset:16
.LBB112_25:
	s_or_b64 exec, exec, s[6:7]
	v_or_b32_e32 v1, 3, v4
	v_cmp_lt_u32_e64 s[14:15], v1, v0
	v_mad_u32_u24 v1, v1, 33, v0
	v_lshlrev_b32_e32 v1, 3, v1
	s_and_saveexec_b64 s[6:7], s[14:15]
	s_cbranch_execz .LBB112_27
; %bb.26:
	ds_read_b64 v[6:7], v1
	s_waitcnt lgkmcnt(0)
	ds_write_b64 v30, v[6:7] offset:24
.LBB112_27:
	s_or_b64 exec, exec, s[6:7]
	v_mul_u32_u24_e32 v5, 0x84, v12
	v_add_lshl_u32 v14, v5, v0, 3
	s_waitcnt lgkmcnt(0)
	s_barrier
	v_lshlrev_b32_e32 v13, 3, v4
	ds_read_b64 v[24:25], v14
	ds_read_b128 v[4:7], v13 offset:9088
	v_add_u32_e32 v15, 0xfffffdf0, v1
	ds_read2_b64 v[8:11], v15 offset1:33
	ds_read_b128 v[32:35], v13 offset:9104
	ds_read_b64 v[36:37], v1
	v_mov_b64_e32 v[18:19], 0
	v_add_lshl_u32 v29, v12, v28, 3
	s_waitcnt lgkmcnt(3)
	v_fma_f64 v[4:5], v[24:25], v[4:5], 0
	s_waitcnt lgkmcnt(2)
	v_fmac_f64_e32 v[4:5], v[8:9], v[6:7]
	s_waitcnt lgkmcnt(1)
	v_fmac_f64_e32 v[4:5], v[10:11], v[32:33]
	;; [unrolled: 2-line block ×3, first 2 shown]
	v_cmp_gt_u32_e64 s[6:7], 32, v27
	s_barrier
	ds_write_b64 v29, v[4:5]
	s_waitcnt lgkmcnt(0)
	s_barrier
	s_and_saveexec_b64 s[16:17], s[6:7]
	s_cbranch_execz .LBB112_29
; %bb.28:
	v_lshlrev_b32_e32 v24, 3, v28
	ds_read2_b64 v[4:7], v24 offset1:1
	ds_read2_b64 v[8:11], v24 offset0:2 offset1:3
	ds_read2_b64 v[32:35], v24 offset0:4 offset1:5
	s_waitcnt lgkmcnt(2)
	v_add_f64 v[18:19], v[4:5], v[6:7]
	ds_read2_b64 v[4:7], v24 offset0:6 offset1:7
	s_waitcnt lgkmcnt(2)
	v_add_f64 v[8:9], v[18:19], v[8:9]
	v_add_f64 v[8:9], v[8:9], v[10:11]
	s_waitcnt lgkmcnt(1)
	v_add_f64 v[8:9], v[8:9], v[32:33]
	v_add_f64 v[8:9], v[8:9], v[34:35]
	;; [unrolled: 3-line block ×3, first 2 shown]
.LBB112_29:
	s_or_b64 exec, exec, s[16:17]
	s_lshl_b32 s34, s22, 5
	s_ashr_i32 s35, s34, 31
	v_lshl_add_u64 v[4:5], s[34:35], 3, v[2:3]
	s_mov_b64 s[36:37], 0x100
	v_cndmask_b32_e64 v2, 0, 1, s[20:21]
	v_cmp_ne_u32_e64 s[16:17], 1, v2
	s_andn2_b64 vcc, exec, s[20:21]
	v_lshl_add_u64 v[2:3], v[4:5], 0, s[36:37]
	s_barrier
	s_cbranch_vccnz .LBB112_31
; %bb.30:
	s_lshl_b32 s20, s22, 3
	s_ashr_i32 s21, s20, 31
	s_ashr_i32 s23, s22, 31
	v_lshl_add_u64 v[6:7], s[20:21], 3, v[4:5]
	s_lshl_b64 s[20:21], s[22:23], 6
	v_lshl_add_u64 v[8:9], v[6:7], 0, s[20:21]
	v_lshl_add_u64 v[10:11], v[8:9], 0, s[20:21]
	global_load_dwordx2 v[24:25], v[4:5], off offset:256
	global_load_dwordx2 v[32:33], v[6:7], off offset:256
	;; [unrolled: 1-line block ×4, first 2 shown]
	v_mul_u32_u24_e32 v4, 33, v12
	v_add_lshl_u32 v4, v4, v0, 3
	s_waitcnt vmcnt(3)
	ds_write_b64 v4, v[24:25]
	s_waitcnt vmcnt(2)
	ds_write_b64 v4, v[32:33] offset:2112
	s_waitcnt vmcnt(1)
	ds_write_b64 v4, v[34:35] offset:4224
	s_waitcnt vmcnt(0)
	ds_write_b64 v4, v[36:37] offset:6336
	s_cbranch_execz .LBB112_32
	s_branch .LBB112_41
.LBB112_31:
.LBB112_32:
	v_lshlrev_b32_e32 v4, 3, v0
	v_sub_co_u32_e32 v6, vcc, v2, v4
	s_ashr_i32 s25, s24, 31
	s_nop 0
	v_subbrev_co_u32_e32 v7, vcc, 0, v3, vcc
	s_movk_i32 s20, 0xfef8
	v_or_b32_e32 v5, 32, v0
	v_lshl_add_u64 v[6:7], s[24:25], 3, v[6:7]
	s_mov_b32 s21, -1
	v_lshl_add_u64 v[6:7], v[6:7], 0, s[20:21]
	v_cmp_gt_i32_e32 vcc, s24, v5
	s_sub_i32 s23, s24, 32
	v_mov_b64_e32 v[8:9], 0
	v_cndmask_b32_e32 v7, v7, v3, vcc
	v_cndmask_b32_e32 v6, v6, v2, vcc
	v_cmp_gt_i32_e64 s[20:21], s23, v12
	v_mov_b64_e32 v[10:11], v[8:9]
	s_and_saveexec_b64 s[36:37], s[20:21]
	s_cbranch_execz .LBB112_34
; %bb.33:
	global_load_dwordx2 v[10:11], v[6:7], off
.LBB112_34:
	s_or_b64 exec, exec, s[36:37]
	v_mul_u32_u24_e32 v5, 33, v12
	v_add_lshl_u32 v5, v5, v0, 3
	s_waitcnt vmcnt(0)
	ds_write_b64 v5, v[10:11]
	v_add_u32_e32 v10, 8, v12
	v_cmp_gt_i32_e64 s[20:21], s23, v10
	s_and_saveexec_b64 s[36:37], s[20:21]
	s_cbranch_execz .LBB112_36
; %bb.35:
	s_lshl_b32 s20, s22, 3
	s_ashr_i32 s21, s20, 31
	v_lshl_add_u64 v[8:9], s[20:21], 3, v[6:7]
	global_load_dwordx2 v[8:9], v[8:9], off
.LBB112_36:
	s_or_b64 exec, exec, s[36:37]
	s_waitcnt vmcnt(0)
	ds_write_b64 v5, v[8:9] offset:2112
	v_add_u32_e32 v8, 16, v12
	v_cmp_gt_i32_e64 s[20:21], s23, v8
	v_mov_b64_e32 v[8:9], 0
	v_mov_b64_e32 v[10:11], v[8:9]
	s_and_saveexec_b64 s[36:37], s[20:21]
	s_cbranch_execz .LBB112_38
; %bb.37:
	s_lshl_b32 s20, s22, 4
	s_ashr_i32 s21, s20, 31
	v_lshl_add_u64 v[10:11], s[20:21], 3, v[6:7]
	global_load_dwordx2 v[10:11], v[10:11], off
.LBB112_38:
	s_or_b64 exec, exec, s[36:37]
	s_waitcnt vmcnt(0)
	ds_write_b64 v5, v[10:11] offset:4224
	v_add_u32_e32 v10, 24, v12
	v_cmp_gt_i32_e64 s[20:21], s23, v10
	s_and_saveexec_b64 s[36:37], s[20:21]
	s_cbranch_execz .LBB112_40
; %bb.39:
	s_mul_i32 s20, s22, 24
	s_ashr_i32 s21, s20, 31
	v_lshl_add_u64 v[8:9], s[20:21], 3, v[6:7]
	global_load_dwordx2 v[8:9], v[8:9], off
.LBB112_40:
	s_or_b64 exec, exec, s[36:37]
	s_waitcnt vmcnt(0)
	ds_write_b64 v5, v[8:9] offset:6336
	v_mov_b32_e32 v5, 0
	v_lshl_add_u64 v[4:5], v[6:7], 0, v[4:5]
	s_lshl_b64 s[20:21], s[24:25], 3
	v_mov_b32_e32 v6, s21
	v_subrev_co_u32_e64 v4, s[20:21], s20, v4
	s_nop 1
	v_subb_co_u32_e64 v5, s[20:21], v5, v6, s[20:21]
	s_mov_b64 s[20:21], 0x108
	s_nop 0
	v_lshl_add_u64 v[4:5], v[4:5], 0, s[20:21]
	v_cndmask_b32_e32 v3, v5, v3, vcc
	v_cndmask_b32_e32 v2, v4, v2, vcc
.LBB112_41:
	v_add_u32_e32 v13, 0x2380, v13
	s_waitcnt lgkmcnt(0)
	s_barrier
	s_and_saveexec_b64 s[20:21], s[8:9]
	s_cbranch_execnz .LBB112_50
; %bb.42:
	s_or_b64 exec, exec, s[20:21]
	s_and_saveexec_b64 s[8:9], s[10:11]
	s_cbranch_execnz .LBB112_51
.LBB112_43:
	s_or_b64 exec, exec, s[8:9]
	s_and_saveexec_b64 s[8:9], s[12:13]
	s_cbranch_execnz .LBB112_52
.LBB112_44:
	s_or_b64 exec, exec, s[8:9]
	s_and_saveexec_b64 s[8:9], s[14:15]
	s_cbranch_execz .LBB112_46
.LBB112_45:
	ds_read_b64 v[4:5], v1
	s_waitcnt lgkmcnt(0)
	ds_write_b64 v30, v[4:5] offset:24
.LBB112_46:
	s_or_b64 exec, exec, s[8:9]
	s_waitcnt lgkmcnt(0)
	s_barrier
	ds_read_b64 v[24:25], v14
	ds_read_b128 v[4:7], v13 offset:256
	ds_read2_b64 v[8:11], v15 offset1:33
	ds_read_b128 v[32:35], v13 offset:272
	ds_read_b64 v[14:15], v1
	v_cmp_eq_u32_e64 s[8:9], 1, v12
	s_waitcnt lgkmcnt(3)
	v_fma_f64 v[4:5], v[24:25], v[4:5], 0
	s_waitcnt lgkmcnt(2)
	v_fmac_f64_e32 v[4:5], v[8:9], v[6:7]
	s_waitcnt lgkmcnt(1)
	v_fmac_f64_e32 v[4:5], v[10:11], v[32:33]
	;; [unrolled: 2-line block ×3, first 2 shown]
	s_barrier
	ds_write_b64 v29, v[4:5]
	s_waitcnt lgkmcnt(0)
	s_barrier
	s_and_saveexec_b64 s[10:11], s[8:9]
	s_cbranch_execz .LBB112_48
; %bb.47:
	v_lshlrev_b32_e32 v1, 3, v28
	ds_read2_b64 v[4:7], v1 offset1:1
	ds_read2_b64 v[8:11], v1 offset0:2 offset1:3
	ds_read2_b64 v[32:35], v1 offset0:4 offset1:5
	s_waitcnt lgkmcnt(2)
	v_add_f64 v[14:15], v[4:5], v[6:7]
	ds_read2_b64 v[4:7], v1 offset0:6 offset1:7
	s_waitcnt lgkmcnt(2)
	v_add_f64 v[8:9], v[14:15], v[8:9]
	v_add_f64 v[8:9], v[8:9], v[10:11]
	s_waitcnt lgkmcnt(1)
	v_add_f64 v[8:9], v[8:9], v[32:33]
	v_add_f64 v[8:9], v[8:9], v[34:35]
	;; [unrolled: 3-line block ×3, first 2 shown]
.LBB112_48:
	s_or_b64 exec, exec, s[10:11]
	s_lshl_b64 s[10:11], s[34:35], 3
	v_mov_b32_e32 v1, s11
	v_subrev_co_u32_e64 v24, s[10:11], s10, v2
	s_and_b64 vcc, exec, s[16:17]
	s_nop 0
	v_subb_co_u32_e64 v25, s[10:11], v3, v1, s[10:11]
	s_barrier
	s_cbranch_vccnz .LBB112_53
; %bb.49:
	s_lshl_b32 s10, s22, 3
	s_ashr_i32 s11, s10, 31
	s_ashr_i32 s23, s22, 31
	v_lshl_add_u64 v[2:3], s[10:11], 3, v[24:25]
	s_lshl_b64 s[10:11], s[22:23], 6
	v_lshl_add_u64 v[4:5], v[2:3], 0, s[10:11]
	v_lshl_add_u64 v[6:7], v[4:5], 0, s[10:11]
	global_load_dwordx2 v[32:33], v[24:25], off
	global_load_dwordx2 v[34:35], v[2:3], off
	;; [unrolled: 1-line block ×4, first 2 shown]
	v_mad_u32_u24 v10, v12, 33, v0
	v_add_u32_e32 v8, 8, v12
	v_add_u32_e32 v9, 16, v12
	;; [unrolled: 1-line block ×3, first 2 shown]
	v_lshlrev_b32_e32 v1, 3, v10
	v_add_u32_e32 v14, 0x108, v10
	v_add_u32_e32 v7, 0x210, v10
	;; [unrolled: 1-line block ×3, first 2 shown]
	s_waitcnt vmcnt(3)
	ds_write_b64 v1, v[32:33]
	s_waitcnt vmcnt(2)
	ds_write_b64 v1, v[34:35] offset:2112
	s_waitcnt vmcnt(1)
	ds_write_b64 v1, v[36:37] offset:4224
	;; [unrolled: 2-line block ×3, first 2 shown]
	s_cbranch_execz .LBB112_54
	s_branch .LBB112_63
.LBB112_50:
	ds_read_b64 v[4:5], v14
	s_waitcnt lgkmcnt(0)
	ds_write_b64 v30, v[4:5]
	s_or_b64 exec, exec, s[20:21]
	s_and_saveexec_b64 s[8:9], s[10:11]
	s_cbranch_execz .LBB112_43
.LBB112_51:
	ds_read_b64 v[4:5], v15
	s_waitcnt lgkmcnt(0)
	ds_write_b64 v30, v[4:5] offset:8
	s_or_b64 exec, exec, s[8:9]
	s_and_saveexec_b64 s[8:9], s[12:13]
	s_cbranch_execz .LBB112_44
.LBB112_52:
	ds_read_b64 v[4:5], v15 offset:264
	s_waitcnt lgkmcnt(0)
	ds_write_b64 v30, v[4:5] offset:16
	s_or_b64 exec, exec, s[8:9]
	s_and_saveexec_b64 s[8:9], s[14:15]
	s_cbranch_execnz .LBB112_45
	s_branch .LBB112_46
.LBB112_53:
                                        ; implicit-def: $vgpr10
                                        ; implicit-def: $vgpr8
                                        ; implicit-def: $vgpr14
                                        ; implicit-def: $vgpr9
                                        ; implicit-def: $vgpr7
                                        ; implicit-def: $vgpr6
                                        ; implicit-def: $vgpr11
.LBB112_54:
	v_lshlrev_b32_e32 v2, 3, v0
	v_sub_co_u32_e32 v4, vcc, v24, v2
	s_ashr_i32 s25, s24, 31
	s_nop 0
	v_subbrev_co_u32_e32 v5, vcc, 0, v25, vcc
	s_movk_i32 s10, 0xfef8
	v_or_b32_e32 v1, 32, v0
	v_lshl_add_u64 v[4:5], s[24:25], 3, v[4:5]
	s_mov_b32 s11, -1
	v_lshl_add_u64 v[4:5], v[4:5], 0, s[10:11]
	v_cmp_gt_i32_e32 vcc, s24, v1
	v_mov_b64_e32 v[6:7], 0
	v_cmp_gt_i32_e64 s[10:11], s24, v12
	v_cndmask_b32_e32 v5, v5, v25, vcc
	v_cndmask_b32_e32 v4, v4, v24, vcc
	v_mov_b64_e32 v[8:9], v[6:7]
	s_and_saveexec_b64 s[12:13], s[10:11]
	s_cbranch_execz .LBB112_56
; %bb.55:
	global_load_dwordx2 v[8:9], v[4:5], off
.LBB112_56:
	s_or_b64 exec, exec, s[12:13]
	v_mad_u32_u24 v10, v12, 33, v0
	v_lshlrev_b32_e32 v3, 3, v10
	s_waitcnt vmcnt(0)
	ds_write_b64 v3, v[8:9]
	v_add_u32_e32 v8, 8, v12
	v_cmp_gt_i32_e64 s[10:11], s24, v8
	s_and_saveexec_b64 s[12:13], s[10:11]
	s_cbranch_execz .LBB112_58
; %bb.57:
	s_lshl_b32 s10, s22, 3
	s_ashr_i32 s11, s10, 31
	v_lshl_add_u64 v[0:1], s[10:11], 3, v[4:5]
	global_load_dwordx2 v[6:7], v[0:1], off
.LBB112_58:
	s_or_b64 exec, exec, s[12:13]
	v_add_u32_e32 v9, 16, v12
	v_mov_b64_e32 v[0:1], 0
	s_waitcnt vmcnt(0)
	ds_write_b64 v3, v[6:7] offset:2112
	v_cmp_gt_i32_e64 s[10:11], s24, v9
	v_mov_b64_e32 v[6:7], v[0:1]
	s_and_saveexec_b64 s[12:13], s[10:11]
	s_cbranch_execz .LBB112_60
; %bb.59:
	s_lshl_b32 s10, s22, 4
	s_ashr_i32 s11, s10, 31
	v_lshl_add_u64 v[6:7], s[10:11], 3, v[4:5]
	global_load_dwordx2 v[6:7], v[6:7], off
.LBB112_60:
	s_or_b64 exec, exec, s[12:13]
	s_waitcnt vmcnt(0)
	ds_write_b64 v3, v[6:7] offset:4224
	v_add_u32_e32 v6, 24, v12
	v_cmp_gt_i32_e64 s[10:11], s24, v6
	s_and_saveexec_b64 s[12:13], s[10:11]
	s_cbranch_execz .LBB112_62
; %bb.61:
	s_mul_i32 s10, s22, 24
	s_ashr_i32 s11, s10, 31
	v_lshl_add_u64 v[0:1], s[10:11], 3, v[4:5]
	global_load_dwordx2 v[0:1], v[0:1], off
.LBB112_62:
	s_or_b64 exec, exec, s[12:13]
	s_waitcnt vmcnt(0)
	ds_write_b64 v3, v[0:1] offset:6336
	v_mov_b32_e32 v3, 0
	v_lshl_add_u64 v[0:1], v[4:5], 0, v[2:3]
	s_lshl_b64 s[10:11], s[24:25], 3
	v_mov_b32_e32 v2, s11
	v_subrev_co_u32_e64 v0, s[10:11], s10, v0
	v_add_u32_e32 v14, 0x108, v10
	s_nop 0
	v_subb_co_u32_e64 v1, s[10:11], v1, v2, s[10:11]
	s_mov_b64 s[10:11], 0x108
	s_nop 0
	v_lshl_add_u64 v[0:1], v[0:1], 0, s[10:11]
	v_add_u32_e32 v7, 0x210, v10
	v_add_u32_e32 v11, 0x318, v10
	v_cndmask_b32_e32 v25, v1, v25, vcc
	v_cndmask_b32_e32 v24, v0, v24, vcc
.LBB112_63:
	v_lshlrev_b32_e32 v0, 3, v10
	s_waitcnt lgkmcnt(0)
	s_barrier
	v_lshlrev_b32_e32 v1, 3, v12
	v_lshlrev_b32_e32 v2, 3, v14
	v_lshlrev_b32_e32 v3, 3, v8
	ds_read_b64 v[32:33], v0
	ds_read_b64 v[34:35], v1 offset:9088
	ds_read_b64 v[36:37], v2
	ds_read_b64 v[38:39], v3 offset:9088
	v_lshlrev_b32_e32 v0, 3, v7
	v_lshlrev_b32_e32 v1, 3, v9
	;; [unrolled: 1-line block ×4, first 2 shown]
	ds_read_b64 v[40:41], v0
	ds_read_b64 v[42:43], v1 offset:9088
	ds_read_b64 v[44:45], v2
	ds_read_b64 v[46:47], v3 offset:9088
	ds_read_b128 v[8:11], v13 offset:256
	ds_read_b128 v[0:3], v13 offset:272
	ds_read2_b64 v[12:15], v30 offset1:1
	ds_read2_b64 v[4:7], v30 offset0:2 offset1:3
	s_waitcnt lgkmcnt(10)
	v_fma_f64 v[30:31], v[32:33], v[34:35], 0
	s_waitcnt lgkmcnt(8)
	v_fmac_f64_e32 v[30:31], v[36:37], v[38:39]
	s_waitcnt lgkmcnt(6)
	v_fmac_f64_e32 v[30:31], v[40:41], v[42:43]
	;; [unrolled: 2-line block ×3, first 2 shown]
	s_waitcnt lgkmcnt(0)
	s_barrier
	ds_write_b64 v29, v[30:31]
	s_waitcnt lgkmcnt(0)
	s_barrier
	s_and_saveexec_b64 s[10:11], s[8:9]
	s_cbranch_execz .LBB112_65
; %bb.64:
	v_lshlrev_b32_e32 v42, 3, v28
	ds_read2_b64 v[30:33], v42 offset1:1
	ds_read2_b64 v[34:37], v42 offset0:2 offset1:3
	ds_read2_b64 v[38:41], v42 offset0:4 offset1:5
	s_waitcnt lgkmcnt(2)
	v_add_f64 v[18:19], v[18:19], v[30:31]
	v_add_f64 v[18:19], v[18:19], v[32:33]
	ds_read2_b64 v[30:33], v42 offset0:6 offset1:7
	s_waitcnt lgkmcnt(2)
	v_add_f64 v[18:19], v[18:19], v[34:35]
	v_add_f64 v[18:19], v[18:19], v[36:37]
	s_waitcnt lgkmcnt(1)
	v_add_f64 v[18:19], v[18:19], v[38:39]
	v_add_f64 v[18:19], v[18:19], v[40:41]
	;; [unrolled: 3-line block ×3, first 2 shown]
.LBB112_65:
	s_or_b64 exec, exec, s[10:11]
	v_fma_f64 v[8:9], v[12:13], v[8:9], 0
	v_fmac_f64_e32 v[8:9], v[14:15], v[10:11]
	v_fmac_f64_e32 v[8:9], v[4:5], v[0:1]
	;; [unrolled: 1-line block ×3, first 2 shown]
	s_barrier
	ds_write_b64 v29, v[8:9]
	s_waitcnt lgkmcnt(0)
	s_barrier
	s_and_saveexec_b64 s[8:9], s[6:7]
	s_cbranch_execz .LBB112_67
; %bb.66:
	v_lshlrev_b32_e32 v14, 3, v28
	ds_read2_b64 v[0:3], v14 offset1:1
	ds_read2_b64 v[4:7], v14 offset0:2 offset1:3
	ds_read2_b64 v[8:11], v14 offset0:4 offset1:5
	s_waitcnt lgkmcnt(2)
	v_add_f64 v[0:1], v[18:19], v[0:1]
	v_add_f64 v[12:13], v[0:1], v[2:3]
	ds_read2_b64 v[0:3], v14 offset0:6 offset1:7
	s_waitcnt lgkmcnt(2)
	v_add_f64 v[4:5], v[12:13], v[4:5]
	v_add_f64 v[4:5], v[4:5], v[6:7]
	s_waitcnt lgkmcnt(1)
	v_add_f64 v[4:5], v[4:5], v[8:9]
	v_add_f64 v[4:5], v[4:5], v[10:11]
	;; [unrolled: 3-line block ×3, first 2 shown]
.LBB112_67:
	s_or_b64 exec, exec, s[8:9]
	s_load_dwordx2 s[0:1], s[0:1], 0x68
	s_mul_hi_u32 s6, s38, s3
	s_mul_i32 s40, s40, s3
	s_add_i32 s6, s6, s40
	s_mul_i32 s3, s38, s3
	s_mul_i32 s6, s6, s39
	s_mul_hi_u32 s7, s3, s39
	s_add_i32 s7, s7, s6
	s_mul_i32 s6, s3, s39
	s_lshl_b64 s[6:7], s[6:7], 3
	s_waitcnt lgkmcnt(0)
	s_add_u32 s3, s0, s6
	s_mul_i32 s0, s2, s38
	s_addc_u32 s7, s1, s7
	s_ashr_i32 s1, s0, 31
	s_lshl_b64 s[0:1], s[0:1], 3
	s_add_u32 s6, s3, s0
	v_cmp_le_i32_e32 vcc, s24, v26
	s_addc_u32 s7, s7, s1
	s_and_b64 vcc, s[30:31], vcc
	s_cmp_lt_i32 s2, 1
	v_lshlrev_b32_e32 v74, 3, v26
	s_barrier
	s_cbranch_scc1 .LBB112_74
; %bb.68:
	s_mul_i32 s0, s26, s33
	s_ashr_i32 s1, s0, 31
	s_lshl_b64 s[0:1], s[0:1], 3
	v_mov_b32_e32 v1, s1
	v_subrev_co_u32_e64 v0, s[0:1], s0, v20
	v_mov_b32_e32 v2, s29
	s_nop 0
	v_subb_co_u32_e64 v1, s[0:1], v21, v1, s[0:1]
	v_subrev_co_u32_e64 v4, s[0:1], s28, v24
	s_ashr_i32 s25, s24, 31
	s_nop 0
	v_subb_co_u32_e64 v5, s[0:1], v25, v2, s[0:1]
	v_lshlrev_b64 v[2:3], 3, v[22:23]
	v_sub_co_u32_e64 v2, s[0:1], v4, v2
	v_mul_lo_u32 v4, v17, s22
	s_nop 0
	v_subb_co_u32_e64 v3, s[0:1], v5, v3, s[0:1]
	v_lshl_add_u32 v4, v4, 2, v26
	v_ashrrev_i32_e32 v5, 31, v4
	s_movk_i32 s0, 0xff00
	v_lshl_add_u64 v[4:5], v[4:5], 3, v[2:3]
	s_mov_b32 s1, -1
	v_lshl_add_u64 v[6:7], v[4:5], 0, s[0:1]
	v_sub_co_u32_e64 v4, s[0:1], v4, v74
	v_and_b32_e32 v2, 48, v26
	s_nop 0
	v_subbrev_co_u32_e64 v5, s[0:1], 0, v5, s[0:1]
	s_movk_i32 s0, 0xfef8
	v_lshl_add_u64 v[4:5], s[24:25], 3, v[4:5]
	s_mov_b32 s1, -1
	v_lshl_add_u64 v[4:5], v[4:5], 0, s[0:1]
	v_and_b32_e32 v8, 15, v26
	v_cndmask_b32_e32 v4, v6, v4, vcc
	v_lshlrev_b32_e32 v6, 3, v2
	s_movk_i32 s8, 0x218
	v_lshrrev_b32_e32 v9, 4, v27
	v_mad_u32_u24 v77, v8, s8, v6
	v_or_b32_e32 v6, 0x78, v74
	v_mad_u32_u24 v78, v8, s8, v6
	v_lshlrev_b32_e32 v6, 5, v9
	v_mad_u32_u24 v79, v8, s8, v6
	v_mov_b32_e32 v6, 0x2180
	s_ashr_i32 s23, s22, 31
	v_lshl_add_u32 v80, v17, 5, v6
	s_movk_i32 s9, 0x860
	v_lshlrev_b32_e32 v6, 3, v9
	v_mov_b32_e32 v3, 0
	v_cndmask_b32_e32 v5, v7, v5, vcc
	s_lshl_b32 s3, s33, 6
	v_add_u32_e32 v75, 0x2180, v74
	v_add_u32_e32 v76, 0x2380, v74
	v_cmp_gt_u32_e64 s[0:1], 64, v27
	v_mad_u32_u24 v81, v17, s9, v74
	v_mad_u32_u24 v82, v8, s8, v6
	s_lshl_b64 s[8:9], s[22:23], 3
	s_lshl_b64 s[10:11], s[22:23], 9
	;; [unrolled: 1-line block ×3, first 2 shown]
	s_mul_hi_i32 s15, s22, 24
	s_mul_i32 s14, s22, 24
	s_mul_hi_i32 s17, s22, 0x90
	s_mul_i32 s16, s22, 0x90
	;; [unrolled: 2-line block ×10, first 2 shown]
	s_lshl_b64 s[40:41], s[22:23], 8
	s_mul_hi_i32 s43, s22, 0x88
	s_mul_i32 s42, s22, 0x88
	s_lshl_b64 s[22:23], s[22:23], 7
	v_or_b32_e32 v2, v2, v8
	s_mov_b32 s44, 0
	s_branch .LBB112_70
.LBB112_69:                             ;   in Loop: Header=BB112_70 Depth=1
	s_or_b64 exec, exec, s[46:47]
	v_fmac_f64_e32 v[18:19], v[6:7], v[14:15]
	v_fmac_f64_e32 v[18:19], v[10:11], v[20:21]
	;; [unrolled: 1-line block ×15, first 2 shown]
	s_add_i32 s2, s2, -1
	s_add_i32 s44, s44, s3
	v_fmac_f64_e32 v[18:19], v[58:59], v[72:73]
	v_lshl_add_u64 v[4:5], v[4:5], 0, s[10:11]
	s_cmp_eq_u32 s2, 0
	v_add_u32_e32 v2, 64, v2
	s_barrier
	s_cbranch_scc1 .LBB112_74
.LBB112_70:                             ; =>This Inner Loop Header: Depth=1
	s_and_saveexec_b64 s[46:47], s[18:19]
	s_cbranch_execz .LBB112_72
; %bb.71:                               ;   in Loop: Header=BB112_70 Depth=1
	s_ashr_i32 s45, s44, 31
	v_lshl_add_u64 v[6:7], s[44:45], 3, v[0:1]
	global_load_dwordx2 v[6:7], v[6:7], off
	s_waitcnt vmcnt(0)
	ds_write_b64 v75, v[6:7]
.LBB112_72:                             ;   in Loop: Header=BB112_70 Depth=1
	s_or_b64 exec, exec, s[46:47]
	s_waitcnt lgkmcnt(0)
	s_barrier
	global_load_dwordx2 v[6:7], v[4:5], off
	v_lshl_add_u64 v[12:13], v[4:5], 0, s[8:9]
	v_lshl_add_u64 v[14:15], v[4:5], 0, s[12:13]
	global_load_dwordx2 v[10:11], v[12:13], off
	global_load_dwordx2 v[8:9], v[14:15], off
	v_lshl_add_u64 v[12:13], v[4:5], 0, s[14:15]
	global_load_dwordx2 v[12:13], v[12:13], off
	ds_read_b64 v[20:21], v76
	ds_read_b64 v[14:15], v80
	v_lshl_add_u64 v[34:35], v[4:5], 0, s[22:23]
	v_lshl_add_u64 v[36:37], v[4:5], 0, s[42:43]
	;; [unrolled: 1-line block ×12, first 2 shown]
	s_waitcnt vmcnt(3) lgkmcnt(1)
	v_mul_f64 v[22:23], v[6:7], v[20:21]
	ds_write_b64 v81, v[22:23]
	s_waitcnt vmcnt(2)
	v_mul_f64 v[22:23], v[10:11], v[20:21]
	s_waitcnt vmcnt(1)
	v_mul_f64 v[24:25], v[8:9], v[20:21]
	;; [unrolled: 2-line block ×3, first 2 shown]
	ds_read_b64 v[20:21], v80 offset:8
	ds_write_b64 v81, v[22:23] offset:536
	ds_read_b64 v[22:23], v80 offset:16
	ds_write_b64 v81, v[24:25] offset:1072
	;; [unrolled: 2-line block ×3, first 2 shown]
	s_waitcnt lgkmcnt(0)
	s_barrier
	ds_read2_b64 v[66:69], v79 offset1:1
	ds_read2_b64 v[70:73], v79 offset0:2 offset1:3
	s_waitcnt lgkmcnt(0)
	s_barrier
	global_load_dwordx2 v[32:33], v[34:35], off
	global_load_dwordx2 v[30:31], v[36:37], off
	;; [unrolled: 1-line block ×4, first 2 shown]
	ds_read_b64 v[36:37], v76
	ds_read_b64 v[34:35], v80 offset:128
	v_add_f64 v[66:67], v[66:67], 0
	v_add_f64 v[66:67], v[66:67], v[68:69]
	;; [unrolled: 1-line block ×3, first 2 shown]
	s_waitcnt vmcnt(3) lgkmcnt(1)
	v_mul_f64 v[38:39], v[32:33], v[36:37]
	s_waitcnt vmcnt(2)
	v_mul_f64 v[40:41], v[30:31], v[36:37]
	ds_write_b64 v81, v[38:39]
	s_waitcnt vmcnt(1)
	v_mul_f64 v[42:43], v[28:29], v[36:37]
	s_waitcnt vmcnt(0)
	v_mul_f64 v[44:45], v[26:27], v[36:37]
	ds_read_b64 v[36:37], v80 offset:136
	ds_write_b64 v81, v[40:41] offset:536
	ds_read_b64 v[38:39], v80 offset:144
	ds_write_b64 v81, v[42:43] offset:1072
	;; [unrolled: 2-line block ×3, first 2 shown]
	s_waitcnt lgkmcnt(0)
	s_barrier
	ds_read2_b64 v[84:87], v79 offset1:1
	ds_read2_b64 v[88:91], v79 offset0:2 offset1:3
	s_waitcnt lgkmcnt(0)
	s_barrier
	global_load_dwordx2 v[48:49], v[50:51], off
	global_load_dwordx2 v[46:47], v[52:53], off
	;; [unrolled: 1-line block ×4, first 2 shown]
	ds_read_b64 v[52:53], v76
	ds_read_b64 v[50:51], v80 offset:256
	s_waitcnt vmcnt(3) lgkmcnt(1)
	v_mul_f64 v[54:55], v[48:49], v[52:53]
	s_waitcnt vmcnt(2)
	v_mul_f64 v[56:57], v[46:47], v[52:53]
	ds_write_b64 v81, v[54:55]
	s_waitcnt vmcnt(1)
	v_mul_f64 v[58:59], v[44:45], v[52:53]
	s_waitcnt vmcnt(0)
	v_mul_f64 v[60:61], v[42:43], v[52:53]
	ds_read_b64 v[52:53], v80 offset:264
	ds_write_b64 v81, v[56:57] offset:536
	ds_read_b64 v[54:55], v80 offset:272
	ds_write_b64 v81, v[58:59] offset:1072
	;; [unrolled: 2-line block ×3, first 2 shown]
	s_waitcnt lgkmcnt(0)
	s_barrier
	ds_read2_b64 v[92:95], v79 offset1:1
	ds_read2_b64 v[96:99], v79 offset0:2 offset1:3
	s_waitcnt lgkmcnt(0)
	s_barrier
	global_load_dwordx2 v[64:65], v[100:101], off
	global_load_dwordx2 v[62:63], v[102:103], off
	global_load_dwordx2 v[60:61], v[104:105], off
	global_load_dwordx2 v[58:59], v[106:107], off
	v_add_f64 v[100:101], v[66:67], v[72:73]
	v_add_f64 v[66:67], v[84:85], 0
	;; [unrolled: 1-line block ×5, first 2 shown]
	ds_read_b64 v[68:69], v76
	ds_read_b64 v[66:67], v80 offset:384
	v_add_f64 v[70:71], v[92:93], 0
	v_add_f64 v[70:71], v[70:71], v[94:95]
	;; [unrolled: 1-line block ×4, first 2 shown]
	s_waitcnt vmcnt(3) lgkmcnt(1)
	v_mul_f64 v[70:71], v[64:65], v[68:69]
	s_waitcnt vmcnt(2)
	v_mul_f64 v[72:73], v[62:63], v[68:69]
	ds_write_b64 v81, v[70:71]
	s_waitcnt vmcnt(1)
	v_mul_f64 v[84:85], v[60:61], v[68:69]
	s_waitcnt vmcnt(0)
	v_mul_f64 v[86:87], v[58:59], v[68:69]
	ds_read_b64 v[68:69], v80 offset:392
	ds_write_b64 v81, v[72:73] offset:536
	ds_read_b64 v[70:71], v80 offset:400
	ds_write_b64 v81, v[84:85] offset:1072
	;; [unrolled: 2-line block ×3, first 2 shown]
	s_waitcnt lgkmcnt(0)
	s_barrier
	ds_read2_b64 v[84:87], v79 offset1:1
	ds_read2_b64 v[88:91], v79 offset0:2 offset1:3
	s_waitcnt lgkmcnt(0)
	s_barrier
	v_add_f64 v[84:85], v[84:85], 0
	v_add_f64 v[84:85], v[84:85], v[86:87]
	;; [unrolled: 1-line block ×4, first 2 shown]
	ds_write2_b64 v82, v[100:101], v[102:103] offset1:16
	ds_write2_b64 v82, v[92:93], v[84:85] offset0:32 offset1:48
	s_waitcnt lgkmcnt(0)
	s_barrier
	s_and_saveexec_b64 s[46:47], s[0:1]
	s_cbranch_execz .LBB112_69
; %bb.73:                               ;   in Loop: Header=BB112_70 Depth=1
	ds_read2_b64 v[84:87], v77 offset1:1
	ds_read2_b64 v[88:91], v77 offset0:2 offset1:3
	ds_read2_b64 v[92:95], v77 offset0:4 offset1:5
	;; [unrolled: 1-line block ×3, first 2 shown]
	s_waitcnt lgkmcnt(3)
	v_add_f64 v[84:85], v[84:85], v[86:87]
	s_waitcnt lgkmcnt(2)
	v_add_f64 v[84:85], v[84:85], v[88:89]
	v_add_f64 v[84:85], v[84:85], v[90:91]
	s_waitcnt lgkmcnt(1)
	v_add_f64 v[88:89], v[84:85], v[92:93]
	ds_read2_b64 v[84:87], v77 offset0:8 offset1:9
	v_add_f64 v[88:89], v[88:89], v[94:95]
	s_waitcnt lgkmcnt(1)
	v_add_f64 v[92:93], v[88:89], v[96:97]
	ds_read2_b64 v[88:91], v77 offset0:10 offset1:11
	v_add_f64 v[92:93], v[92:93], v[98:99]
	s_waitcnt lgkmcnt(1)
	v_add_f64 v[84:85], v[92:93], v[84:85]
	v_add_f64 v[92:93], v[84:85], v[86:87]
	ds_read2_b64 v[84:87], v77 offset0:12 offset1:13
	s_waitcnt lgkmcnt(1)
	v_add_f64 v[88:89], v[92:93], v[88:89]
	ds_read_b64 v[92:93], v77 offset:112
	ds_read_b64 v[94:95], v78
	v_add_f64 v[88:89], v[88:89], v[90:91]
	s_waitcnt lgkmcnt(2)
	v_add_f64 v[84:85], v[88:89], v[84:85]
	v_add_f64 v[84:85], v[84:85], v[86:87]
	s_waitcnt lgkmcnt(1)
	v_add_f64 v[84:85], v[84:85], v[92:93]
	s_waitcnt lgkmcnt(0)
	v_add_f64 v[84:85], v[84:85], v[94:95]
	v_lshl_add_u64 v[86:87], v[2:3], 3, s[6:7]
	global_store_dwordx2 v[86:87], v[84:85], off
	s_branch .LBB112_69
.LBB112_74:
	s_movk_i32 s0, 0x218
	v_mad_u32_u24 v0, v17, s0, v74
	s_or_b64 s[0:1], s[4:5], vcc
	s_xor_b64 s[0:1], s[0:1], -1
	ds_write_b64 v0, v[18:19]
	s_waitcnt lgkmcnt(0)
	s_barrier
	s_and_saveexec_b64 s[2:3], s[0:1]
	s_cbranch_execz .LBB112_76
; %bb.75:
	ds_read2_b64 v[0:3], v74 offset1:67
	ds_read2_b64 v[4:7], v74 offset0:134 offset1:201
	v_ashrrev_i32_e32 v17, 31, v16
	s_waitcnt lgkmcnt(1)
	v_add_f64 v[0:1], v[0:1], v[2:3]
	s_waitcnt lgkmcnt(0)
	v_add_f64 v[0:1], v[0:1], v[4:5]
	v_add_f64 v[0:1], v[0:1], v[6:7]
	v_lshl_add_u64 v[2:3], v[16:17], 3, s[6:7]
	global_store_dwordx2 v[2:3], v[0:1], off
.LBB112_76:
	s_endpgm
	.section	.rodata,"a",@progbits
	.p2align	6, 0x0
	.amdhsa_kernel _ZL26rocblas_hemvn_kernel_lowerILb0ELi64ELi4ELi33ELi32ELi16EidPKdPdEviT6_lT7_lT5_lS4_lS5_lS3_lT8_i
		.amdhsa_group_segment_fixed_size 9600
		.amdhsa_private_segment_fixed_size 0
		.amdhsa_kernarg_size 376
		.amdhsa_user_sgpr_count 2
		.amdhsa_user_sgpr_dispatch_ptr 0
		.amdhsa_user_sgpr_queue_ptr 0
		.amdhsa_user_sgpr_kernarg_segment_ptr 1
		.amdhsa_user_sgpr_dispatch_id 0
		.amdhsa_user_sgpr_kernarg_preload_length 0
		.amdhsa_user_sgpr_kernarg_preload_offset 0
		.amdhsa_user_sgpr_private_segment_size 0
		.amdhsa_uses_dynamic_stack 0
		.amdhsa_enable_private_segment 0
		.amdhsa_system_sgpr_workgroup_id_x 1
		.amdhsa_system_sgpr_workgroup_id_y 0
		.amdhsa_system_sgpr_workgroup_id_z 1
		.amdhsa_system_sgpr_workgroup_info 0
		.amdhsa_system_vgpr_workitem_id 1
		.amdhsa_next_free_vgpr 108
		.amdhsa_next_free_sgpr 48
		.amdhsa_accum_offset 108
		.amdhsa_reserve_vcc 1
		.amdhsa_float_round_mode_32 0
		.amdhsa_float_round_mode_16_64 0
		.amdhsa_float_denorm_mode_32 3
		.amdhsa_float_denorm_mode_16_64 3
		.amdhsa_dx10_clamp 1
		.amdhsa_ieee_mode 1
		.amdhsa_fp16_overflow 0
		.amdhsa_tg_split 0
		.amdhsa_exception_fp_ieee_invalid_op 0
		.amdhsa_exception_fp_denorm_src 0
		.amdhsa_exception_fp_ieee_div_zero 0
		.amdhsa_exception_fp_ieee_overflow 0
		.amdhsa_exception_fp_ieee_underflow 0
		.amdhsa_exception_fp_ieee_inexact 0
		.amdhsa_exception_int_div_zero 0
	.end_amdhsa_kernel
	.section	.text._ZL26rocblas_hemvn_kernel_lowerILb0ELi64ELi4ELi33ELi32ELi16EidPKdPdEviT6_lT7_lT5_lS4_lS5_lS3_lT8_i,"axG",@progbits,_ZL26rocblas_hemvn_kernel_lowerILb0ELi64ELi4ELi33ELi32ELi16EidPKdPdEviT6_lT7_lT5_lS4_lS5_lS3_lT8_i,comdat
.Lfunc_end112:
	.size	_ZL26rocblas_hemvn_kernel_lowerILb0ELi64ELi4ELi33ELi32ELi16EidPKdPdEviT6_lT7_lT5_lS4_lS5_lS3_lT8_i, .Lfunc_end112-_ZL26rocblas_hemvn_kernel_lowerILb0ELi64ELi4ELi33ELi32ELi16EidPKdPdEviT6_lT7_lT5_lS4_lS5_lS3_lT8_i
                                        ; -- End function
	.section	.AMDGPU.csdata,"",@progbits
; Kernel info:
; codeLenInByte = 5784
; NumSgprs: 54
; NumVgprs: 108
; NumAgprs: 0
; TotalNumVgprs: 108
; ScratchSize: 0
; MemoryBound: 0
; FloatMode: 240
; IeeeMode: 1
; LDSByteSize: 9600 bytes/workgroup (compile time only)
; SGPRBlocks: 6
; VGPRBlocks: 13
; NumSGPRsForWavesPerEU: 54
; NumVGPRsForWavesPerEU: 108
; AccumOffset: 108
; Occupancy: 4
; WaveLimiterHint : 1
; COMPUTE_PGM_RSRC2:SCRATCH_EN: 0
; COMPUTE_PGM_RSRC2:USER_SGPR: 2
; COMPUTE_PGM_RSRC2:TRAP_HANDLER: 0
; COMPUTE_PGM_RSRC2:TGID_X_EN: 1
; COMPUTE_PGM_RSRC2:TGID_Y_EN: 0
; COMPUTE_PGM_RSRC2:TGID_Z_EN: 1
; COMPUTE_PGM_RSRC2:TIDIG_COMP_CNT: 1
; COMPUTE_PGM_RSRC3_GFX90A:ACCUM_OFFSET: 26
; COMPUTE_PGM_RSRC3_GFX90A:TG_SPLIT: 0
	.section	.text._ZL36rocblas_hemvn_kernel_lower_block_sumILi64EidPddEviT1_lS1_lT2_lT0_lPT3_i,"axG",@progbits,_ZL36rocblas_hemvn_kernel_lower_block_sumILi64EidPddEviT1_lS1_lT2_lT0_lPT3_i,comdat
	.globl	_ZL36rocblas_hemvn_kernel_lower_block_sumILi64EidPddEviT1_lS1_lT2_lT0_lPT3_i ; -- Begin function _ZL36rocblas_hemvn_kernel_lower_block_sumILi64EidPddEviT1_lS1_lT2_lT0_lPT3_i
	.p2align	8
	.type	_ZL36rocblas_hemvn_kernel_lower_block_sumILi64EidPddEviT1_lS1_lT2_lT0_lPT3_i,@function
_ZL36rocblas_hemvn_kernel_lower_block_sumILi64EidPddEviT1_lS1_lT2_lT0_lPT3_i: ; @_ZL36rocblas_hemvn_kernel_lower_block_sumILi64EidPddEviT1_lS1_lT2_lT0_lPT3_i
; %bb.0:
	s_load_dwordx2 s[8:9], s[0:1], 0x8
	s_load_dwordx2 s[10:11], s[0:1], 0x18
	s_waitcnt lgkmcnt(0)
	v_cmp_eq_f64_e64 s[4:5], s[8:9], 0
	v_cmp_eq_f64_e64 s[6:7], s[10:11], 1.0
	s_and_b64 s[4:5], s[4:5], s[6:7]
	s_and_b64 vcc, exec, s[4:5]
	s_cbranch_vccnz .LBB113_19
; %bb.1:
	s_load_dwordx2 s[12:13], s[0:1], 0x40
	s_load_dword s20, s[0:1], 0x38
	s_load_dwordx4 s[4:7], s[0:1], 0x28
	s_load_dword s14, s[0:1], 0x0
	v_lshl_or_b32 v6, s2, 6, v0
	s_waitcnt lgkmcnt(0)
	s_mul_i32 s13, s3, s13
	s_mul_hi_u32 s15, s3, s12
	s_add_i32 s13, s15, s13
	s_mul_i32 s12, s3, s12
	s_lshl_b64 s[12:13], s[12:13], 3
	s_add_u32 s12, s4, s12
	s_addc_u32 s13, s5, s13
	s_lshl_b64 s[4:5], s[6:7], 3
	s_add_u32 s6, s12, s4
	s_addc_u32 s7, s13, s5
	v_cmp_neq_f64_e64 s[4:5], s[8:9], 0
	s_mov_b64 s[12:13], 0
	s_and_b64 vcc, exec, s[4:5]
	v_cmp_gt_i32_e64 s[4:5], s14, v6
	s_cbranch_vccnz .LBB113_6
; %bb.2:
	s_mov_b64 s[16:17], 0
                                        ; implicit-def: $vgpr2_vgpr3
                                        ; implicit-def: $vgpr0_vgpr1
	s_and_saveexec_b64 s[18:19], s[4:5]
	s_cbranch_execz .LBB113_7
; %bb.3:
	v_cmp_eq_f64_e64 s[4:5], s[10:11], 0
	v_mul_lo_u32 v0, v6, s20
	v_mov_b64_e32 v[2:3], 0
	v_ashrrev_i32_e32 v1, 31, v0
	s_and_b64 vcc, exec, s[4:5]
	s_cbranch_vccnz .LBB113_5
; %bb.4:
	v_lshl_add_u64 v[2:3], v[0:1], 3, s[6:7]
	global_load_dwordx2 v[2:3], v[2:3], off
	s_waitcnt vmcnt(0)
	v_mul_f64 v[2:3], v[2:3], s[10:11]
.LBB113_5:
	s_mov_b64 s[12:13], exec
	s_or_b64 exec, exec, s[18:19]
	s_and_b64 vcc, exec, s[16:17]
	s_cbranch_vccnz .LBB113_8
	s_branch .LBB113_17
.LBB113_6:
                                        ; implicit-def: $vgpr2_vgpr3
                                        ; implicit-def: $vgpr0_vgpr1
	s_cbranch_execnz .LBB113_8
	s_branch .LBB113_17
.LBB113_7:
	s_or_b64 exec, exec, s[18:19]
	s_and_b64 vcc, exec, s[16:17]
	s_cbranch_vccz .LBB113_17
.LBB113_8:
	v_cmp_gt_i32_e32 vcc, s14, v6
                                        ; implicit-def: $vgpr2_vgpr3
                                        ; implicit-def: $vgpr0_vgpr1
	s_and_saveexec_b64 s[4:5], vcc
	s_cbranch_execz .LBB113_16
; %bb.9:
	s_load_dword s16, s[0:1], 0x58
	v_mov_b64_e32 v[4:5], 0
	s_waitcnt lgkmcnt(0)
	s_cmp_ge_i32 s2, s16
	s_cbranch_scc1 .LBB113_12
; %bb.10:
	s_ashr_i32 s15, s14, 31
	s_mul_i32 s17, s2, s14
	s_load_dwordx2 s[0:1], s[0:1], 0x48
	v_add_u32_e32 v0, s17, v6
	s_mul_hi_u32 s17, s14, s3
	s_mul_i32 s18, s15, s3
	s_add_i32 s17, s17, s18
	s_mul_i32 s3, s14, s3
	s_mul_i32 s17, s17, s16
	s_mul_hi_u32 s18, s3, s16
	s_add_i32 s19, s18, s17
	s_mul_i32 s18, s3, s16
	s_lshl_b64 s[18:19], s[18:19], 3
	s_waitcnt lgkmcnt(0)
	s_add_u32 s0, s0, s18
	v_ashrrev_i32_e32 v1, 31, v0
	s_addc_u32 s1, s1, s19
	v_lshl_add_u64 v[0:1], v[0:1], 3, s[0:1]
	s_lshl_b64 s[0:1], s[14:15], 3
	v_mov_b64_e32 v[4:5], 0
.LBB113_11:                             ; =>This Inner Loop Header: Depth=1
	global_load_dwordx2 v[2:3], v[0:1], off
	s_add_i32 s2, s2, 1
	v_lshl_add_u64 v[0:1], v[0:1], 0, s[0:1]
	s_cmp_ge_i32 s2, s16
	s_waitcnt vmcnt(0)
	v_add_f64 v[4:5], v[4:5], v[2:3]
	s_cbranch_scc0 .LBB113_11
.LBB113_12:
	v_cmp_eq_f64_e64 s[2:3], s[10:11], 0
	v_mul_lo_u32 v0, v6, s20
	s_mov_b64 s[0:1], 0
	s_and_b64 vcc, exec, s[2:3]
	v_ashrrev_i32_e32 v1, 31, v0
	s_cbranch_vccz .LBB113_20
; %bb.13:
	v_mul_f64 v[2:3], v[4:5], s[8:9]
	s_andn2_b64 vcc, exec, s[0:1]
	s_cbranch_vccnz .LBB113_15
.LBB113_14:
	v_lshl_add_u64 v[2:3], v[0:1], 3, s[6:7]
	global_load_dwordx2 v[2:3], v[2:3], off
	s_waitcnt vmcnt(0)
	v_mul_f64 v[2:3], v[2:3], s[10:11]
	v_fmac_f64_e32 v[2:3], s[8:9], v[4:5]
.LBB113_15:
	s_or_b64 s[12:13], s[12:13], exec
.LBB113_16:
	s_or_b64 exec, exec, s[4:5]
.LBB113_17:
	s_and_saveexec_b64 s[0:1], s[12:13]
	s_cbranch_execz .LBB113_19
; %bb.18:
	v_lshl_add_u64 v[0:1], v[0:1], 3, s[6:7]
	global_store_dwordx2 v[0:1], v[2:3], off
.LBB113_19:
	s_endpgm
.LBB113_20:
                                        ; implicit-def: $vgpr2_vgpr3
	s_branch .LBB113_14
	.section	.rodata,"a",@progbits
	.p2align	6, 0x0
	.amdhsa_kernel _ZL36rocblas_hemvn_kernel_lower_block_sumILi64EidPddEviT1_lS1_lT2_lT0_lPT3_i
		.amdhsa_group_segment_fixed_size 0
		.amdhsa_private_segment_fixed_size 0
		.amdhsa_kernarg_size 344
		.amdhsa_user_sgpr_count 2
		.amdhsa_user_sgpr_dispatch_ptr 0
		.amdhsa_user_sgpr_queue_ptr 0
		.amdhsa_user_sgpr_kernarg_segment_ptr 1
		.amdhsa_user_sgpr_dispatch_id 0
		.amdhsa_user_sgpr_kernarg_preload_length 0
		.amdhsa_user_sgpr_kernarg_preload_offset 0
		.amdhsa_user_sgpr_private_segment_size 0
		.amdhsa_uses_dynamic_stack 0
		.amdhsa_enable_private_segment 0
		.amdhsa_system_sgpr_workgroup_id_x 1
		.amdhsa_system_sgpr_workgroup_id_y 0
		.amdhsa_system_sgpr_workgroup_id_z 1
		.amdhsa_system_sgpr_workgroup_info 0
		.amdhsa_system_vgpr_workitem_id 0
		.amdhsa_next_free_vgpr 7
		.amdhsa_next_free_sgpr 21
		.amdhsa_accum_offset 8
		.amdhsa_reserve_vcc 1
		.amdhsa_float_round_mode_32 0
		.amdhsa_float_round_mode_16_64 0
		.amdhsa_float_denorm_mode_32 3
		.amdhsa_float_denorm_mode_16_64 3
		.amdhsa_dx10_clamp 1
		.amdhsa_ieee_mode 1
		.amdhsa_fp16_overflow 0
		.amdhsa_tg_split 0
		.amdhsa_exception_fp_ieee_invalid_op 0
		.amdhsa_exception_fp_denorm_src 0
		.amdhsa_exception_fp_ieee_div_zero 0
		.amdhsa_exception_fp_ieee_overflow 0
		.amdhsa_exception_fp_ieee_underflow 0
		.amdhsa_exception_fp_ieee_inexact 0
		.amdhsa_exception_int_div_zero 0
	.end_amdhsa_kernel
	.section	.text._ZL36rocblas_hemvn_kernel_lower_block_sumILi64EidPddEviT1_lS1_lT2_lT0_lPT3_i,"axG",@progbits,_ZL36rocblas_hemvn_kernel_lower_block_sumILi64EidPddEviT1_lS1_lT2_lT0_lPT3_i,comdat
.Lfunc_end113:
	.size	_ZL36rocblas_hemvn_kernel_lower_block_sumILi64EidPddEviT1_lS1_lT2_lT0_lPT3_i, .Lfunc_end113-_ZL36rocblas_hemvn_kernel_lower_block_sumILi64EidPddEviT1_lS1_lT2_lT0_lPT3_i
                                        ; -- End function
	.section	.AMDGPU.csdata,"",@progbits
; Kernel info:
; codeLenInByte = 556
; NumSgprs: 27
; NumVgprs: 7
; NumAgprs: 0
; TotalNumVgprs: 7
; ScratchSize: 0
; MemoryBound: 0
; FloatMode: 240
; IeeeMode: 1
; LDSByteSize: 0 bytes/workgroup (compile time only)
; SGPRBlocks: 3
; VGPRBlocks: 0
; NumSGPRsForWavesPerEU: 27
; NumVGPRsForWavesPerEU: 7
; AccumOffset: 8
; Occupancy: 8
; WaveLimiterHint : 0
; COMPUTE_PGM_RSRC2:SCRATCH_EN: 0
; COMPUTE_PGM_RSRC2:USER_SGPR: 2
; COMPUTE_PGM_RSRC2:TRAP_HANDLER: 0
; COMPUTE_PGM_RSRC2:TGID_X_EN: 1
; COMPUTE_PGM_RSRC2:TGID_Y_EN: 0
; COMPUTE_PGM_RSRC2:TGID_Z_EN: 1
; COMPUTE_PGM_RSRC2:TIDIG_COMP_CNT: 0
; COMPUTE_PGM_RSRC3_GFX90A:ACCUM_OFFSET: 1
; COMPUTE_PGM_RSRC3_GFX90A:TG_SPLIT: 0
	.section	.text._ZL26rocblas_hemvn_kernel_upperILb0ELi64ELi4ELi33ELi32ELi16ElPK19rocblas_complex_numIfES3_PS1_EviT6_lT7_lT5_lS6_lS7_lS5_lT8_i,"axG",@progbits,_ZL26rocblas_hemvn_kernel_upperILb0ELi64ELi4ELi33ELi32ELi16ElPK19rocblas_complex_numIfES3_PS1_EviT6_lT7_lT5_lS6_lS7_lS5_lT8_i,comdat
	.globl	_ZL26rocblas_hemvn_kernel_upperILb0ELi64ELi4ELi33ELi32ELi16ElPK19rocblas_complex_numIfES3_PS1_EviT6_lT7_lT5_lS6_lS7_lS5_lT8_i ; -- Begin function _ZL26rocblas_hemvn_kernel_upperILb0ELi64ELi4ELi33ELi32ELi16ElPK19rocblas_complex_numIfES3_PS1_EviT6_lT7_lT5_lS6_lS7_lS5_lT8_i
	.p2align	8
	.type	_ZL26rocblas_hemvn_kernel_upperILb0ELi64ELi4ELi33ELi32ELi16ElPK19rocblas_complex_numIfES3_PS1_EviT6_lT7_lT5_lS6_lS7_lS5_lT8_i,@function
_ZL26rocblas_hemvn_kernel_upperILb0ELi64ELi4ELi33ELi32ELi16ElPK19rocblas_complex_numIfES3_PS1_EviT6_lT7_lT5_lS6_lS7_lS5_lT8_i: ; @_ZL26rocblas_hemvn_kernel_upperILb0ELi64ELi4ELi33ELi32ELi16ElPK19rocblas_complex_numIfES3_PS1_EviT6_lT7_lT5_lS6_lS7_lS5_lT8_i
; %bb.0:
	s_load_dwordx2 s[6:7], s[0:1], 0x84
	s_add_u32 s4, s0, 0x78
	s_addc_u32 s5, s1, 0
	s_waitcnt lgkmcnt(0)
	s_lshr_b32 s8, s6, 16
	s_and_b32 s6, s6, 0xffff
	s_and_b32 s7, s7, 0xffff
	s_mul_i32 s6, s8, s6
	s_mul_i32 s6, s6, s7
	s_cmpk_lg_i32 s6, 0x100
	s_cbranch_scc1 .LBB114_148
; %bb.1:
	s_load_dwordx16 s[8:23], s[0:1], 0x8
	s_waitcnt lgkmcnt(0)
	s_mul_i32 s7, s3, s11
	s_mul_hi_u32 s11, s3, s10
	s_mul_i32 s6, s3, s10
	s_add_i32 s7, s11, s7
	s_lshl_b64 s[6:7], s[6:7], 3
	s_add_u32 s6, s8, s6
	s_addc_u32 s7, s9, s7
	s_load_dwordx2 s[8:9], s[6:7], 0x0
	s_load_dwordx2 s[34:35], s[0:1], 0x68
	s_load_dwordx8 s[24:31], s[0:1], 0x48
	s_waitcnt lgkmcnt(0)
	s_or_b32 s6, s8, s9
	s_bitset0_b32 s6, 31
	s_cmp_lg_u32 s6, 0
	s_cselect_b64 s[6:7], -1, 0
	s_mov_b64 s[8:9], -1
	s_and_b64 vcc, exec, s[6:7]
	s_cbranch_vccnz .LBB114_3
; %bb.2:
	s_mul_i32 s8, s3, s31
	s_mul_hi_u32 s9, s3, s30
	s_add_i32 s9, s9, s8
	s_mul_i32 s8, s3, s30
	s_lshl_b64 s[8:9], s[8:9], 3
	s_add_u32 s8, s28, s8
	s_addc_u32 s9, s29, s9
	s_load_dwordx2 s[8:9], s[8:9], 0x0
	s_waitcnt lgkmcnt(0)
	v_cmp_neq_f32_e64 s[10:11], s8, 1.0
	v_cmp_neq_f32_e64 s[8:9], s9, 0
	s_or_b64 s[8:9], s[10:11], s[8:9]
.LBB114_3:
	s_andn2_b64 vcc, exec, s[8:9]
	s_cbranch_vccnz .LBB114_148
; %bb.4:
	s_andn2_b64 vcc, exec, s[6:7]
	s_cbranch_vccnz .LBB114_148
; %bb.5:
	s_load_dword s30, s[4:5], 0x0
	s_load_dword s33, s[0:1], 0x0
	s_mul_i32 s0, s3, s27
	s_mul_hi_u32 s1, s3, s26
	s_add_i32 s1, s1, s0
	s_mul_i32 s0, s3, s26
	s_lshl_b64 s[0:1], s[0:1], 3
	s_add_u32 s4, s20, s0
	s_addc_u32 s5, s21, s1
	s_lshl_b64 s[0:1], s[22:23], 3
	s_add_u32 s0, s4, s0
	s_addc_u32 s1, s5, s1
	s_waitcnt lgkmcnt(0)
	s_ashr_i32 s36, s33, 31
	s_lshr_b32 s5, s36, 26
	v_and_b32_e32 v122, 0x3ff, v0
	s_lshl_b32 s22, s2, 6
	s_add_i32 s5, s33, s5
	s_andn2_b32 s5, s5, 63
	v_add_u32_e32 v28, s22, v122
	s_add_i32 s4, s30, -1
	s_sub_i32 s31, s33, s5
	v_ashrrev_i32_e32 v29, 31, v28
	v_bfe_u32 v123, v0, 10, 10
	s_cmp_eq_u32 s2, s4
	v_mul_lo_u32 v2, v29, s24
	v_mul_lo_u32 v3, v28, s25
	v_mad_u64_u32 v[0:1], s[4:5], v28, s24, 0
	v_add3_u32 v1, v1, v3, v2
	s_cselect_b32 s20, s31, 0
	v_lshl_add_u64 v[12:13], v[0:1], 3, s[0:1]
	v_cmp_eq_u32_e64 s[0:1], 0, v123
	s_and_saveexec_b64 s[4:5], s[0:1]
	s_cbranch_execz .LBB114_10
; %bb.6:
	s_cmp_lg_u32 s20, 0
	s_cselect_b64 s[6:7], -1, 0
	v_cmp_le_i32_e32 vcc, s20, v122
	v_mov_b32_e32 v0, 0x2380
	s_and_b64 s[6:7], s[6:7], vcc
	v_lshl_add_u32 v0, v122, 3, v0
	s_and_saveexec_b64 s[8:9], s[6:7]
	s_xor_b64 s[6:7], exec, s[8:9]
	s_cbranch_execz .LBB114_8
; %bb.7:
	v_mov_b32_e32 v2, 0
	v_mov_b32_e32 v3, v2
	ds_write_b64 v0, v[2:3]
                                        ; implicit-def: $vgpr0
.LBB114_8:
	s_andn2_saveexec_b64 s[6:7], s[6:7]
	s_cbranch_execz .LBB114_10
; %bb.9:
	global_load_dwordx2 v[2:3], v[12:13], off
	s_waitcnt vmcnt(0)
	ds_write_b64 v0, v[2:3]
.LBB114_10:
	s_or_b64 exec, exec, s[4:5]
	s_mul_i32 s4, s3, s19
	s_mul_hi_u32 s5, s3, s18
	s_add_i32 s5, s5, s4
	s_mul_i32 s4, s3, s18
	s_lshl_b64 s[4:5], s[4:5], 3
	s_add_u32 s6, s12, s4
	s_addc_u32 s7, s13, s5
	s_lshl_b64 s[4:5], s[14:15], 3
	s_add_u32 s6, s6, s4
	s_addc_u32 s7, s7, s5
	s_ashr_i32 s23, s22, 31
	v_lshl_add_u32 v22, v123, 6, v122
	s_lshl_b64 s[4:5], s[22:23], 3
	v_and_b32_e32 v0, 31, v122
	v_lshrrev_b32_e32 v18, 5, v22
	s_add_u32 s6, s6, s4
	v_mov_b32_e32 v1, 0
	s_addc_u32 s7, s7, s5
	v_mad_u64_u32 v[14:15], s[4:5], v18, s16, v[0:1]
	v_mov_b32_e32 v2, v15
	v_mad_u64_u32 v[2:3], s[4:5], v18, s17, v[2:3]
	s_mul_i32 s4, s22, s17
	s_mul_hi_u32 s5, s22, s16
	s_add_i32 s4, s5, s4
	s_mul_i32 s5, s23, s16
	s_add_i32 s5, s4, s5
	s_mul_i32 s4, s22, s16
	s_lshl_b64 s[4:5], s[4:5], 3
	s_add_u32 s4, s4, s6
	s_addc_u32 s5, s5, s7
	s_cmp_eq_u32 s20, 0
	s_cselect_b64 s[18:19], -1, 0
	s_cmp_lg_u32 s20, 0
	v_mov_b32_e32 v15, v2
	s_cselect_b64 s[26:27], -1, 0
	v_lshl_add_u64 v[4:5], v[14:15], 3, s[4:5]
	s_and_b64 vcc, exec, s[26:27]
	v_cmp_gt_i32_e64 s[4:5], s20, v0
	v_lshlrev_b32_e32 v2, 3, v0
	s_mul_i32 s37, s17, 0xc0
	s_cbranch_vccz .LBB114_26
; %bb.11:
	v_sub_co_u32_e32 v6, vcc, v4, v2
	s_ashr_i32 s21, s20, 31
	s_nop 0
	v_subbrev_co_u32_e32 v7, vcc, 0, v5, vcc
	v_lshl_add_u64 v[6:7], s[20:21], 3, v[6:7]
	v_lshl_add_u64 v[6:7], v[6:7], 0, -8
	v_cndmask_b32_e64 v7, v7, v5, s[4:5]
	v_cndmask_b32_e64 v6, v6, v4, s[4:5]
	v_cmp_gt_i32_e32 vcc, s20, v18
	v_mov_b32_e32 v9, 0
	s_and_saveexec_b64 s[6:7], vcc
	s_cbranch_execz .LBB114_13
; %bb.12:
	global_load_dwordx2 v[8:9], v[6:7], off
	s_waitcnt vmcnt(0)
	v_mov_b32_e32 v1, v8
.LBB114_13:
	s_or_b64 exec, exec, s[6:7]
	v_mul_u32_u24_e32 v3, 33, v18
	v_mov_b32_e32 v8, v1
	v_add_u32_e32 v1, 8, v18
	v_add_lshl_u32 v3, v3, v0, 3
	v_cmp_le_i32_e32 vcc, s20, v1
	ds_write_b64 v3, v[8:9]
	s_and_saveexec_b64 s[6:7], vcc
	s_xor_b64 s[6:7], exec, s[6:7]
	s_cbranch_execz .LBB114_15
; %bb.14:
	v_mul_u32_u24_e32 v1, 33, v1
	v_mov_b32_e32 v8, 0
	v_add_lshl_u32 v1, v1, v0, 3
	v_mov_b32_e32 v9, v8
	ds_write_b64 v1, v[8:9]
.LBB114_15:
	s_andn2_saveexec_b64 s[6:7], s[6:7]
	s_cbranch_execz .LBB114_17
; %bb.16:
	s_lshl_b64 s[8:9], s[16:17], 6
	v_lshl_add_u64 v[8:9], v[6:7], 0, s[8:9]
	global_load_dwordx2 v[8:9], v[8:9], off
	s_waitcnt vmcnt(0)
	ds_write_b64 v3, v[8:9] offset:2112
.LBB114_17:
	s_or_b64 exec, exec, s[6:7]
	v_add_u32_e32 v1, 16, v18
	v_cmp_le_i32_e32 vcc, s20, v1
	s_and_saveexec_b64 s[6:7], vcc
	s_xor_b64 s[6:7], exec, s[6:7]
	s_cbranch_execz .LBB114_19
; %bb.18:
	v_mov_b32_e32 v8, 0
	v_mov_b32_e32 v9, v8
	ds_write_b64 v3, v[8:9] offset:4224
.LBB114_19:
	s_andn2_saveexec_b64 s[6:7], s[6:7]
	s_cbranch_execz .LBB114_21
; %bb.20:
	s_lshl_b64 s[8:9], s[16:17], 7
	v_lshl_add_u64 v[8:9], v[6:7], 0, s[8:9]
	global_load_dwordx2 v[8:9], v[8:9], off
	s_waitcnt vmcnt(0)
	ds_write_b64 v3, v[8:9] offset:4224
.LBB114_21:
	s_or_b64 exec, exec, s[6:7]
	v_add_u32_e32 v1, 24, v18
	v_cmp_le_i32_e32 vcc, s20, v1
	s_and_saveexec_b64 s[6:7], vcc
	s_xor_b64 s[6:7], exec, s[6:7]
	s_cbranch_execz .LBB114_23
; %bb.22:
	v_mov_b32_e32 v8, 0
	v_mov_b32_e32 v9, v8
	ds_write_b64 v3, v[8:9] offset:6336
                                        ; implicit-def: $vgpr3
.LBB114_23:
	s_andn2_saveexec_b64 s[6:7], s[6:7]
	s_cbranch_execz .LBB114_25
; %bb.24:
	v_mov_b32_e32 v1, 0xc0
	v_mad_u64_u32 v[8:9], s[8:9], s16, v1, v[6:7]
	v_add_u32_e32 v9, s37, v9
	global_load_dwordx2 v[8:9], v[8:9], off
	s_waitcnt vmcnt(0)
	ds_write_b64 v3, v[8:9] offset:6336
.LBB114_25:
	s_or_b64 exec, exec, s[6:7]
	v_mov_b32_e32 v3, 0
	v_lshl_add_u64 v[6:7], v[6:7], 0, v[2:3]
	s_lshl_b64 s[6:7], s[20:21], 3
	v_mov_b32_e32 v1, s7
	v_subrev_co_u32_e32 v6, vcc, s6, v6
	s_nop 1
	v_subb_co_u32_e32 v7, vcc, v7, v1, vcc
	v_lshl_add_u64 v[6:7], v[6:7], 0, 8
	v_cndmask_b32_e64 v7, v7, v5, s[4:5]
	v_cndmask_b32_e64 v6, v6, v4, s[4:5]
	v_mul_u32_u24_e32 v1, 33, v18
	s_branch .LBB114_28
.LBB114_26:
                                        ; implicit-def: $vgpr6_vgpr7
	v_mul_u32_u24_e32 v1, 33, v18
	s_cbranch_execz .LBB114_28
; %bb.27:
	s_lshl_b64 s[4:5], s[16:17], 6
	v_lshl_add_u64 v[6:7], v[4:5], 0, s[4:5]
	global_load_dwordx2 v[8:9], v[4:5], off
	global_load_dwordx2 v[10:11], v[6:7], off
	v_mov_b32_e32 v3, 0xc0
	v_lshl_add_u64 v[6:7], v[6:7], 0, s[4:5]
	v_mad_u64_u32 v[16:17], s[4:5], s16, v3, v[4:5]
	global_load_dwordx2 v[6:7], v[6:7], off
	v_add_u32_e32 v17, s37, v17
	global_load_dwordx2 v[16:17], v[16:17], off
	v_add_lshl_u32 v3, v1, v0, 3
	s_waitcnt vmcnt(3)
	ds_write_b64 v3, v[8:9]
	s_waitcnt vmcnt(2)
	ds_write_b64 v3, v[10:11] offset:2112
	s_waitcnt vmcnt(1)
	ds_write_b64 v3, v[6:7] offset:4224
	;; [unrolled: 2-line block ×3, first 2 shown]
	v_mov_b64_e32 v[6:7], v[4:5]
.LBB114_28:
	v_lshlrev_b32_e32 v3, 2, v18
	v_mul_u32_u24_e32 v19, 33, v0
	v_cmp_gt_u32_e64 s[4:5], v3, v0
	v_add_lshl_u32 v16, v3, v19, 3
	s_waitcnt lgkmcnt(0)
	s_barrier
	s_and_saveexec_b64 s[6:7], s[4:5]
	s_cbranch_execz .LBB114_30
; %bb.29:
	v_mul_u32_u24_e32 v4, 0x84, v18
	v_add_lshl_u32 v4, v4, v0, 3
	ds_read_b64 v[4:5], v4
	s_waitcnt lgkmcnt(0)
	ds_write_b64 v16, v[4:5]
.LBB114_30:
	s_or_b64 exec, exec, s[6:7]
	v_cmp_ge_u32_e64 s[6:7], v3, v0
	s_and_saveexec_b64 s[8:9], s[6:7]
	s_cbranch_execz .LBB114_32
; %bb.31:
	v_or_b32_e32 v4, 1, v3
	v_mul_u32_u24_e32 v4, 33, v4
	v_add_lshl_u32 v4, v4, v0, 3
	ds_read_b64 v[4:5], v4
	s_waitcnt lgkmcnt(0)
	ds_write_b64 v16, v[4:5] offset:8
.LBB114_32:
	s_or_b64 exec, exec, s[8:9]
	v_or_b32_e32 v4, 2, v3
	v_cmp_gt_u32_e64 s[8:9], v4, v0
	s_and_saveexec_b64 s[10:11], s[8:9]
	s_cbranch_execz .LBB114_34
; %bb.33:
	v_mul_u32_u24_e32 v4, 33, v4
	v_add_lshl_u32 v4, v4, v0, 3
	ds_read_b64 v[4:5], v4
	s_waitcnt lgkmcnt(0)
	ds_write_b64 v16, v[4:5] offset:16
.LBB114_34:
	s_or_b64 exec, exec, s[10:11]
	v_or_b32_e32 v4, 3, v3
	v_cmp_gt_u32_e64 s[10:11], v4, v0
	v_mad_u32_u24 v4, v4, 33, v0
	v_lshlrev_b32_e32 v25, 3, v4
	s_and_saveexec_b64 s[12:13], s[10:11]
	s_cbranch_execz .LBB114_36
; %bb.35:
	ds_read_b64 v[4:5], v25
	s_waitcnt lgkmcnt(0)
	ds_write_b64 v16, v[4:5] offset:24
.LBB114_36:
	s_or_b64 exec, exec, s[12:13]
	v_mul_u32_u24_e32 v4, 0x84, v18
	v_add_lshl_u32 v20, v4, v0, 3
	s_waitcnt lgkmcnt(0)
	s_barrier
	v_lshlrev_b32_e32 v17, 3, v3
	v_add_u32_e32 v21, 0xfffffdf0, v25
	ds_read_b64 v[4:5], v20
	ds_read_b128 v[8:11], v17 offset:9088
	ds_read2_b64 v[30:33], v21 offset1:33
	ds_read_b64 v[26:27], v25
	ds_read_b128 v[34:37], v17 offset:9104
	s_mov_b32 s14, 0
	s_mov_b32 s15, s14
	s_waitcnt lgkmcnt(3)
	v_pk_mul_f32 v[38:39], v[8:9], v[4:5] op_sel:[0,1]
	v_add_lshl_u32 v23, v18, v19, 3
	v_pk_fma_f32 v[40:41], v[8:9], v[4:5], v[38:39] op_sel:[0,0,1] op_sel_hi:[1,1,0] neg_lo:[0,0,1] neg_hi:[0,0,1]
	v_pk_fma_f32 v[4:5], v[8:9], v[4:5], v[38:39] op_sel:[0,0,1] op_sel_hi:[1,0,0]
	s_waitcnt lgkmcnt(2)
	v_pk_mul_f32 v[8:9], v[10:11], v[30:31] op_sel:[0,1]
	v_mov_b32_e32 v41, v5
	v_pk_fma_f32 v[38:39], v[10:11], v[30:31], v[8:9] op_sel:[0,0,1] op_sel_hi:[1,1,0] neg_lo:[0,0,1] neg_hi:[0,0,1]
	v_pk_fma_f32 v[8:9], v[10:11], v[30:31], v[8:9] op_sel:[0,0,1] op_sel_hi:[1,0,0]
	v_pk_add_f32 v[4:5], v[40:41], 0 op_sel_hi:[1,0]
	v_mov_b32_e32 v39, v9
	s_waitcnt lgkmcnt(0)
	v_pk_mul_f32 v[8:9], v[34:35], v[32:33] op_sel:[0,1]
	v_pk_add_f32 v[4:5], v[4:5], v[38:39]
	v_pk_fma_f32 v[10:11], v[34:35], v[32:33], v[8:9] op_sel:[0,0,1] op_sel_hi:[1,1,0] neg_lo:[0,0,1] neg_hi:[0,0,1]
	v_pk_fma_f32 v[8:9], v[34:35], v[32:33], v[8:9] op_sel:[0,0,1] op_sel_hi:[1,0,0]
	v_cmp_gt_u32_e64 s[12:13], 32, v22
	v_mov_b32_e32 v11, v9
	v_pk_mul_f32 v[8:9], v[36:37], v[26:27] op_sel:[0,1]
	v_pk_add_f32 v[4:5], v[4:5], v[10:11]
	v_pk_fma_f32 v[10:11], v[36:37], v[26:27], v[8:9] op_sel:[0,0,1] op_sel_hi:[1,1,0] neg_lo:[0,0,1] neg_hi:[0,0,1]
	v_pk_fma_f32 v[8:9], v[36:37], v[26:27], v[8:9] op_sel:[0,0,1] op_sel_hi:[1,0,0]
	v_mov_b64_e32 v[30:31], s[14:15]
	v_mov_b32_e32 v11, v9
	v_pk_add_f32 v[4:5], v[4:5], v[10:11]
	v_lshlrev_b32_e32 v24, 3, v19
	s_barrier
	ds_write_b64 v23, v[4:5]
	s_waitcnt lgkmcnt(0)
	s_barrier
	s_and_saveexec_b64 s[14:15], s[12:13]
	s_cbranch_execz .LBB114_38
; %bb.37:
	ds_read2_b64 v[8:11], v24 offset1:7
	ds_read2_b64 v[30:33], v24 offset0:1 offset1:2
	ds_read2_b64 v[34:37], v24 offset0:3 offset1:4
	s_waitcnt lgkmcnt(1)
	v_add_f32_e32 v3, v30, v8
	v_add_f32_e32 v4, v31, v9
	;; [unrolled: 1-line block ×4, first 2 shown]
	ds_read2_b64 v[30:33], v24 offset0:5 offset1:6
	s_waitcnt lgkmcnt(1)
	v_add_f32_e32 v3, v3, v34
	v_add_f32_e32 v4, v4, v35
	;; [unrolled: 1-line block ×4, first 2 shown]
	s_waitcnt lgkmcnt(0)
	v_add_f32_e32 v3, v3, v30
	v_add_f32_e32 v5, v4, v31
	;; [unrolled: 1-line block ×4, first 2 shown]
	v_pk_add_f32 v[30:31], v[4:5], v[10:11]
.LBB114_38:
	s_or_b64 exec, exec, s[14:15]
	s_lshl_b64 s[14:15], s[16:17], 8
	v_lshl_add_u64 v[8:9], v[6:7], 0, s[14:15]
	s_mov_b64 s[14:15], 0x100
	v_lshl_add_u64 v[6:7], v[8:9], 0, s[14:15]
	s_and_b64 vcc, exec, s[26:27]
	s_barrier
	s_cbranch_vccz .LBB114_54
; %bb.39:
	v_sub_co_u32_e32 v4, vcc, v6, v2
	s_ashr_i32 s21, s20, 31
	s_nop 0
	v_subbrev_co_u32_e32 v5, vcc, 0, v7, vcc
	s_movk_i32 s14, 0xfef8
	v_or_b32_e32 v3, 32, v0
	v_lshl_add_u64 v[4:5], s[20:21], 3, v[4:5]
	s_mov_b32 s15, -1
	v_lshl_add_u64 v[4:5], v[4:5], 0, s[14:15]
	v_cmp_gt_i32_e32 vcc, s20, v3
	s_sub_i32 s38, s20, 32
	v_mov_b32_e32 v10, 0
	v_cndmask_b32_e32 v5, v5, v7, vcc
	v_cndmask_b32_e32 v4, v4, v6, vcc
	v_cmp_gt_i32_e64 s[14:15], s38, v18
	v_mov_b32_e32 v11, v10
	s_and_saveexec_b64 s[28:29], s[14:15]
	s_cbranch_execz .LBB114_41
; %bb.40:
	global_load_dwordx2 v[10:11], v[4:5], off
.LBB114_41:
	s_or_b64 exec, exec, s[28:29]
	v_add_lshl_u32 v3, v1, v0, 3
	s_waitcnt vmcnt(0)
	ds_write_b64 v3, v[10:11]
	v_add_u32_e32 v10, 8, v18
	v_cmp_le_i32_e64 s[14:15], s38, v10
	s_and_saveexec_b64 s[28:29], s[14:15]
	s_xor_b64 s[14:15], exec, s[28:29]
	s_cbranch_execz .LBB114_43
; %bb.42:
	v_mul_u32_u24_e32 v10, 33, v10
	v_add_lshl_u32 v26, v10, v0, 3
	v_mov_b32_e32 v10, 0
	v_mov_b32_e32 v11, v10
	ds_write_b64 v26, v[10:11]
.LBB114_43:
	s_andn2_saveexec_b64 s[14:15], s[14:15]
	s_cbranch_execz .LBB114_45
; %bb.44:
	s_lshl_b64 s[28:29], s[16:17], 6
	v_lshl_add_u64 v[10:11], v[4:5], 0, s[28:29]
	global_load_dwordx2 v[10:11], v[10:11], off
	s_waitcnt vmcnt(0)
	ds_write_b64 v3, v[10:11] offset:2112
.LBB114_45:
	s_or_b64 exec, exec, s[14:15]
	v_add_u32_e32 v10, 16, v18
	v_cmp_le_i32_e64 s[14:15], s38, v10
	s_and_saveexec_b64 s[28:29], s[14:15]
	s_xor_b64 s[14:15], exec, s[28:29]
	s_cbranch_execz .LBB114_47
; %bb.46:
	v_mov_b32_e32 v10, 0
	v_mov_b32_e32 v11, v10
	ds_write_b64 v3, v[10:11] offset:4224
.LBB114_47:
	s_andn2_saveexec_b64 s[14:15], s[14:15]
	s_cbranch_execz .LBB114_49
; %bb.48:
	s_lshl_b64 s[28:29], s[16:17], 7
	v_lshl_add_u64 v[10:11], v[4:5], 0, s[28:29]
	global_load_dwordx2 v[10:11], v[10:11], off
	s_waitcnt vmcnt(0)
	ds_write_b64 v3, v[10:11] offset:4224
.LBB114_49:
	s_or_b64 exec, exec, s[14:15]
	v_add_u32_e32 v10, 24, v18
	v_cmp_le_i32_e64 s[14:15], s38, v10
	s_and_saveexec_b64 s[28:29], s[14:15]
	s_xor_b64 s[14:15], exec, s[28:29]
	s_cbranch_execz .LBB114_51
; %bb.50:
	v_mov_b32_e32 v10, 0
	v_mov_b32_e32 v11, v10
	ds_write_b64 v3, v[10:11] offset:6336
                                        ; implicit-def: $vgpr3
.LBB114_51:
	s_andn2_saveexec_b64 s[14:15], s[14:15]
	s_cbranch_execz .LBB114_53
; %bb.52:
	v_mov_b32_e32 v10, 0xc0
	v_mad_u64_u32 v[10:11], s[28:29], s16, v10, v[4:5]
	v_add_u32_e32 v11, s37, v11
	global_load_dwordx2 v[10:11], v[10:11], off
	s_waitcnt vmcnt(0)
	ds_write_b64 v3, v[10:11] offset:6336
.LBB114_53:
	s_or_b64 exec, exec, s[14:15]
	v_mov_b32_e32 v3, 0
	v_lshl_add_u64 v[4:5], v[4:5], 0, v[2:3]
	s_lshl_b64 s[14:15], s[20:21], 3
	v_mov_b32_e32 v3, s15
	v_subrev_co_u32_e64 v4, s[14:15], s14, v4
	s_nop 1
	v_subb_co_u32_e64 v5, s[14:15], v5, v3, s[14:15]
	s_mov_b64 s[14:15], 0x108
	s_nop 0
	v_lshl_add_u64 v[4:5], v[4:5], 0, s[14:15]
	v_cndmask_b32_e32 v5, v5, v7, vcc
	v_cndmask_b32_e32 v4, v4, v6, vcc
	s_branch .LBB114_56
.LBB114_54:
                                        ; implicit-def: $vgpr4_vgpr5
	s_cbranch_execz .LBB114_56
; %bb.55:
	s_lshl_b64 s[14:15], s[16:17], 6
	v_lshl_add_u64 v[4:5], v[8:9], 0, s[14:15]
	v_mov_b32_e32 v3, 0xc0
	v_lshl_add_u64 v[10:11], v[4:5], 0, s[14:15]
	v_mad_u64_u32 v[26:27], s[14:15], s16, v3, v[8:9]
	v_add_u32_e32 v27, s37, v27
	global_load_dwordx2 v[32:33], v[8:9], off offset:256
	global_load_dwordx2 v[34:35], v[4:5], off offset:256
	;; [unrolled: 1-line block ×4, first 2 shown]
	v_add_lshl_u32 v3, v1, v0, 3
	v_mov_b64_e32 v[4:5], v[6:7]
	s_waitcnt vmcnt(3)
	ds_write_b64 v3, v[32:33]
	s_waitcnt vmcnt(2)
	ds_write_b64 v3, v[34:35] offset:2112
	s_waitcnt vmcnt(1)
	ds_write_b64 v3, v[36:37] offset:4224
	;; [unrolled: 2-line block ×3, first 2 shown]
.LBB114_56:
	s_waitcnt lgkmcnt(0)
	s_barrier
	s_and_saveexec_b64 s[14:15], s[4:5]
	s_cbranch_execnz .LBB114_79
; %bb.57:
	s_or_b64 exec, exec, s[14:15]
	s_and_saveexec_b64 s[4:5], s[6:7]
	s_cbranch_execnz .LBB114_80
.LBB114_58:
	s_or_b64 exec, exec, s[4:5]
	s_and_saveexec_b64 s[4:5], s[8:9]
	s_cbranch_execnz .LBB114_81
.LBB114_59:
	s_or_b64 exec, exec, s[4:5]
	v_add_u32_e32 v26, 0x2380, v17
	s_and_saveexec_b64 s[4:5], s[10:11]
	s_cbranch_execz .LBB114_61
.LBB114_60:
	ds_read_b64 v[6:7], v25
	s_waitcnt lgkmcnt(0)
	ds_write_b64 v16, v[6:7] offset:24
.LBB114_61:
	s_or_b64 exec, exec, s[4:5]
	s_waitcnt lgkmcnt(0)
	s_barrier
	ds_read_b64 v[10:11], v20
	ds_read_b128 v[6:9], v26 offset:256
	ds_read2_b64 v[32:35], v21 offset1:33
	ds_read_b64 v[16:17], v25
	ds_read_b128 v[36:39], v26 offset:272
	v_cmp_eq_u32_e64 s[4:5], 1, v18
	s_waitcnt lgkmcnt(3)
	v_pk_mul_f32 v[40:41], v[6:7], v[10:11] op_sel:[0,1]
	s_waitcnt lgkmcnt(0)
	v_pk_fma_f32 v[42:43], v[6:7], v[10:11], v[40:41] op_sel:[0,0,1] op_sel_hi:[1,1,0] neg_lo:[0,0,1] neg_hi:[0,0,1]
	v_pk_fma_f32 v[6:7], v[6:7], v[10:11], v[40:41] op_sel:[0,0,1] op_sel_hi:[1,0,0]
	v_pk_mul_f32 v[10:11], v[8:9], v[32:33] op_sel:[0,1]
	v_mov_b32_e32 v43, v7
	v_pk_fma_f32 v[40:41], v[8:9], v[32:33], v[10:11] op_sel:[0,0,1] op_sel_hi:[1,1,0] neg_lo:[0,0,1] neg_hi:[0,0,1]
	v_pk_fma_f32 v[8:9], v[8:9], v[32:33], v[10:11] op_sel:[0,0,1] op_sel_hi:[1,0,0]
	v_pk_add_f32 v[6:7], v[42:43], 0 op_sel_hi:[1,0]
	v_mov_b32_e32 v41, v9
	v_pk_mul_f32 v[8:9], v[36:37], v[34:35] op_sel:[0,1]
	v_pk_add_f32 v[6:7], v[6:7], v[40:41]
	v_pk_fma_f32 v[10:11], v[36:37], v[34:35], v[8:9] op_sel:[0,0,1] op_sel_hi:[1,1,0] neg_lo:[0,0,1] neg_hi:[0,0,1]
	v_pk_fma_f32 v[8:9], v[36:37], v[34:35], v[8:9] op_sel:[0,0,1] op_sel_hi:[1,0,0]
	s_barrier
	v_mov_b32_e32 v11, v9
	v_pk_mul_f32 v[8:9], v[38:39], v[16:17] op_sel:[0,1]
	v_pk_add_f32 v[6:7], v[6:7], v[10:11]
	v_pk_fma_f32 v[10:11], v[38:39], v[16:17], v[8:9] op_sel:[0,0,1] op_sel_hi:[1,1,0] neg_lo:[0,0,1] neg_hi:[0,0,1]
	v_pk_fma_f32 v[8:9], v[38:39], v[16:17], v[8:9] op_sel:[0,0,1] op_sel_hi:[1,0,0]
	s_nop 0
	v_mov_b32_e32 v11, v9
	v_pk_add_f32 v[6:7], v[6:7], v[10:11]
	ds_write_b64 v23, v[6:7]
	s_waitcnt lgkmcnt(0)
	s_barrier
	s_and_saveexec_b64 s[6:7], s[4:5]
	s_cbranch_execz .LBB114_63
; %bb.62:
	ds_read2_b64 v[6:9], v24 offset1:7
	ds_read2_b64 v[30:33], v24 offset0:1 offset1:2
	ds_read2_b64 v[34:37], v24 offset0:3 offset1:4
	s_waitcnt lgkmcnt(1)
	v_add_f32_e32 v3, v30, v6
	v_add_f32_e32 v6, v31, v7
	;; [unrolled: 1-line block ×4, first 2 shown]
	ds_read2_b64 v[30:33], v24 offset0:5 offset1:6
	s_waitcnt lgkmcnt(1)
	v_add_f32_e32 v3, v3, v34
	v_add_f32_e32 v6, v6, v35
	;; [unrolled: 1-line block ×4, first 2 shown]
	s_waitcnt lgkmcnt(0)
	v_add_f32_e32 v6, v3, v30
	v_add_f32_e32 v7, v7, v31
	v_pk_add_f32 v[6:7], v[6:7], v[32:33]
	s_nop 0
	v_pk_add_f32 v[30:31], v[6:7], v[8:9]
.LBB114_63:
	s_or_b64 exec, exec, s[6:7]
	s_movk_i32 s6, 0xff00
	s_mov_b32 s7, -1
	v_lshl_add_u64 v[6:7], v[4:5], 0, s[6:7]
	s_and_b64 vcc, exec, s[26:27]
	s_barrier
	s_cbranch_vccz .LBB114_82
; %bb.64:
	v_sub_co_u32_e32 v8, vcc, v4, v2
	s_ashr_i32 s21, s20, 31
	s_nop 0
	v_subbrev_co_u32_e32 v9, vcc, 0, v5, vcc
	s_movk_i32 s6, 0xfef8
	v_lshl_add_u64 v[8:9], s[20:21], 3, v[8:9]
	s_mov_b32 s7, -1
	v_lshl_add_u64 v[8:9], v[8:9], 0, s[6:7]
	v_cmp_gt_i32_e32 vcc, s20, v0
	s_sub_i32 s10, s20, 32
	v_mov_b32_e32 v10, 0
	v_cndmask_b32_e32 v9, v9, v7, vcc
	v_cndmask_b32_e32 v8, v8, v6, vcc
	v_cmp_gt_i32_e64 s[6:7], s10, v18
	v_mov_b32_e32 v11, v10
	s_and_saveexec_b64 s[8:9], s[6:7]
	s_cbranch_execz .LBB114_66
; %bb.65:
	global_load_dwordx2 v[10:11], v[8:9], off
.LBB114_66:
	s_or_b64 exec, exec, s[8:9]
	v_add_lshl_u32 v3, v1, v0, 3
	s_waitcnt vmcnt(0)
	ds_write_b64 v3, v[10:11]
	v_add_u32_e32 v10, 8, v18
	v_cmp_le_i32_e64 s[6:7], s10, v10
	s_and_saveexec_b64 s[8:9], s[6:7]
	s_xor_b64 s[6:7], exec, s[8:9]
	s_cbranch_execz .LBB114_68
; %bb.67:
	v_mul_u32_u24_e32 v11, 33, v10
	v_mov_b32_e32 v16, 0
	v_add_lshl_u32 v11, v11, v0, 3
	v_mov_b32_e32 v17, v16
	ds_write_b64 v11, v[16:17]
.LBB114_68:
	s_andn2_saveexec_b64 s[6:7], s[6:7]
	s_cbranch_execz .LBB114_70
; %bb.69:
	s_lshl_b64 s[8:9], s[16:17], 6
	v_lshl_add_u64 v[16:17], v[8:9], 0, s[8:9]
	global_load_dwordx2 v[16:17], v[16:17], off
	s_waitcnt vmcnt(0)
	ds_write_b64 v3, v[16:17] offset:2112
.LBB114_70:
	s_or_b64 exec, exec, s[6:7]
	v_add_u32_e32 v11, 16, v18
	v_cmp_le_i32_e64 s[6:7], s10, v11
	s_and_saveexec_b64 s[8:9], s[6:7]
	s_xor_b64 s[6:7], exec, s[8:9]
	s_cbranch_execz .LBB114_72
; %bb.71:
	v_mov_b32_e32 v16, 0
	v_mov_b32_e32 v17, v16
	ds_write_b64 v3, v[16:17] offset:4224
.LBB114_72:
	s_andn2_saveexec_b64 s[6:7], s[6:7]
	s_cbranch_execz .LBB114_74
; %bb.73:
	s_lshl_b64 s[8:9], s[16:17], 7
	v_lshl_add_u64 v[16:17], v[8:9], 0, s[8:9]
	global_load_dwordx2 v[16:17], v[16:17], off
	s_waitcnt vmcnt(0)
	ds_write_b64 v3, v[16:17] offset:4224
.LBB114_74:
	s_or_b64 exec, exec, s[6:7]
	v_add_u32_e32 v27, 24, v18
	v_cmp_le_i32_e64 s[6:7], s10, v27
	s_and_saveexec_b64 s[8:9], s[6:7]
	s_xor_b64 s[6:7], exec, s[8:9]
	s_cbranch_execz .LBB114_76
; %bb.75:
	v_mov_b32_e32 v16, 0
	v_mov_b32_e32 v17, v16
	ds_write_b64 v3, v[16:17] offset:6336
                                        ; implicit-def: $vgpr3
.LBB114_76:
	s_andn2_saveexec_b64 s[6:7], s[6:7]
	s_cbranch_execz .LBB114_78
; %bb.77:
	v_mov_b32_e32 v16, 0xc0
	v_mad_u64_u32 v[16:17], s[8:9], s16, v16, v[8:9]
	v_add_u32_e32 v17, s37, v17
	global_load_dwordx2 v[16:17], v[16:17], off
	s_waitcnt vmcnt(0)
	ds_write_b64 v3, v[16:17] offset:6336
.LBB114_78:
	s_or_b64 exec, exec, s[6:7]
	v_mov_b32_e32 v3, 0
	v_lshl_add_u64 v[2:3], v[8:9], 0, v[2:3]
	s_lshl_b64 s[6:7], s[20:21], 3
	v_mov_b32_e32 v8, s7
	v_subrev_co_u32_e64 v2, s[6:7], s6, v2
	s_nop 1
	v_subb_co_u32_e64 v3, s[6:7], v3, v8, s[6:7]
	v_lshl_add_u64 v[2:3], v[2:3], 0, 8
	v_cndmask_b32_e32 v17, v3, v7, vcc
	v_cndmask_b32_e32 v16, v2, v6, vcc
	s_branch .LBB114_84
.LBB114_79:
	ds_read_b64 v[6:7], v20
	s_waitcnt lgkmcnt(0)
	ds_write_b64 v16, v[6:7]
	s_or_b64 exec, exec, s[14:15]
	s_and_saveexec_b64 s[4:5], s[6:7]
	s_cbranch_execz .LBB114_58
.LBB114_80:
	ds_read_b64 v[6:7], v21
	s_waitcnt lgkmcnt(0)
	ds_write_b64 v16, v[6:7] offset:8
	s_or_b64 exec, exec, s[4:5]
	s_and_saveexec_b64 s[4:5], s[8:9]
	s_cbranch_execz .LBB114_59
.LBB114_81:
	ds_read_b64 v[6:7], v21 offset:264
	s_waitcnt lgkmcnt(0)
	ds_write_b64 v16, v[6:7] offset:16
	s_or_b64 exec, exec, s[4:5]
	v_add_u32_e32 v26, 0x2380, v17
	s_and_saveexec_b64 s[4:5], s[10:11]
	s_cbranch_execnz .LBB114_60
	s_branch .LBB114_61
.LBB114_82:
                                        ; implicit-def: $vgpr16_vgpr17
                                        ; implicit-def: $vgpr10
                                        ; implicit-def: $vgpr11
                                        ; implicit-def: $vgpr27
	s_cbranch_execz .LBB114_84
; %bb.83:
	s_lshl_b64 s[6:7], s[16:17], 6
	v_lshl_add_u64 v[2:3], v[4:5], 0, s[6:7]
	v_lshl_add_u64 v[8:9], v[2:3], 0, s[6:7]
	global_load_dwordx2 v[16:17], v[2:3], off offset:-256
	global_load_dwordx2 v[32:33], v[8:9], off offset:-256
	v_mov_b32_e32 v8, 0xc0
	global_load_dwordx2 v[2:3], v[4:5], off offset:-256
	v_mad_u64_u32 v[4:5], s[6:7], s16, v8, v[4:5]
	v_add_u32_e32 v5, s37, v5
	global_load_dwordx2 v[4:5], v[4:5], off offset:-256
	v_add_lshl_u32 v0, v1, v0, 3
	v_add_u32_e32 v10, 8, v18
	v_add_u32_e32 v11, 16, v18
	;; [unrolled: 1-line block ×3, first 2 shown]
	s_waitcnt vmcnt(1)
	ds_write_b64 v0, v[2:3]
	ds_write_b64 v0, v[16:17] offset:2112
	ds_write_b64 v0, v[32:33] offset:4224
	s_waitcnt vmcnt(0)
	ds_write_b64 v0, v[4:5] offset:6336
	v_mov_b64_e32 v[16:17], v[6:7]
.LBB114_84:
	v_lshlrev_b32_e32 v18, 3, v18
	v_add_lshl_u32 v36, v10, v19, 3
	v_lshlrev_b32_e32 v34, 3, v10
	v_add_lshl_u32 v35, v11, v19, 3
	;; [unrolled: 2-line block ×3, first 2 shown]
	v_lshlrev_b32_e32 v40, 3, v27
	s_waitcnt lgkmcnt(0)
	s_barrier
	ds_read2_b64 v[4:7], v21 offset1:33
	ds_read_b64 v[20:21], v20
	ds_read_b128 v[8:11], v26 offset:256
	ds_read_b64 v[32:33], v23
	ds_read_b128 v[0:3], v26 offset:272
	ds_read_b64 v[26:27], v35
	ds_read_b64 v[34:35], v34 offset:9088
	ds_read_b64 v[36:37], v36
	ds_read_b64 v[38:39], v18 offset:9088
	;; [unrolled: 2-line block ×4, first 2 shown]
	s_waitcnt lgkmcnt(4)
	v_pk_mul_f32 v[46:47], v[38:39], v[32:33] op_sel:[0,1]
	s_waitcnt lgkmcnt(0)
	v_pk_fma_f32 v[48:49], v[38:39], v[32:33], v[46:47] op_sel:[0,0,1] op_sel_hi:[1,1,0] neg_lo:[0,0,1] neg_hi:[0,0,1]
	v_pk_fma_f32 v[32:33], v[38:39], v[32:33], v[46:47] op_sel:[0,0,1] op_sel_hi:[1,0,0]
	v_pk_mul_f32 v[38:39], v[34:35], v[36:37] op_sel:[0,1]
	v_mov_b32_e32 v49, v33
	v_pk_fma_f32 v[46:47], v[34:35], v[36:37], v[38:39] op_sel:[0,0,1] op_sel_hi:[1,1,0] neg_lo:[0,0,1] neg_hi:[0,0,1]
	v_pk_fma_f32 v[34:35], v[34:35], v[36:37], v[38:39] op_sel:[0,0,1] op_sel_hi:[1,0,0]
	v_pk_add_f32 v[32:33], v[48:49], 0 op_sel_hi:[1,0]
	v_mov_b32_e32 v47, v35
	v_pk_mul_f32 v[34:35], v[44:45], v[26:27] op_sel:[0,1]
	v_pk_add_f32 v[32:33], v[32:33], v[46:47]
	v_pk_fma_f32 v[36:37], v[44:45], v[26:27], v[34:35] op_sel:[0,0,1] op_sel_hi:[1,1,0] neg_lo:[0,0,1] neg_hi:[0,0,1]
	v_pk_fma_f32 v[26:27], v[44:45], v[26:27], v[34:35] op_sel:[0,0,1] op_sel_hi:[1,0,0]
	s_barrier
	v_mov_b32_e32 v37, v27
	v_pk_add_f32 v[26:27], v[32:33], v[36:37]
	v_pk_mul_f32 v[32:33], v[40:41], v[42:43] op_sel:[0,1]
	s_nop 0
	v_pk_fma_f32 v[34:35], v[40:41], v[42:43], v[32:33] op_sel:[0,0,1] op_sel_hi:[1,1,0] neg_lo:[0,0,1] neg_hi:[0,0,1]
	v_pk_fma_f32 v[32:33], v[40:41], v[42:43], v[32:33] op_sel:[0,0,1] op_sel_hi:[1,0,0]
	s_nop 0
	v_mov_b32_e32 v35, v33
	v_pk_add_f32 v[26:27], v[26:27], v[34:35]
	ds_write_b64 v23, v[26:27]
	s_waitcnt lgkmcnt(0)
	s_barrier
	s_and_saveexec_b64 s[6:7], s[4:5]
	s_cbranch_execz .LBB114_86
; %bb.85:
	ds_read2_b64 v[32:35], v24 offset1:1
	ds_read2_b64 v[36:39], v24 offset0:2 offset1:3
	ds_read2_b64 v[40:43], v24 offset0:6 offset1:7
	s_waitcnt lgkmcnt(2)
	v_pk_add_f32 v[26:27], v[30:31], v[32:33]
	ds_read2_b64 v[30:33], v24 offset0:4 offset1:5
	v_pk_add_f32 v[26:27], v[26:27], v[34:35]
	s_waitcnt lgkmcnt(2)
	v_pk_add_f32 v[26:27], v[26:27], v[36:37]
	s_nop 0
	v_pk_add_f32 v[26:27], v[26:27], v[38:39]
	s_waitcnt lgkmcnt(0)
	v_pk_add_f32 v[26:27], v[26:27], v[30:31]
	s_nop 0
	v_pk_add_f32 v[26:27], v[26:27], v[32:33]
	s_nop 0
	;; [unrolled: 2-line block ×3, first 2 shown]
	v_pk_add_f32 v[30:31], v[26:27], v[42:43]
.LBB114_86:
	s_or_b64 exec, exec, s[6:7]
	v_pk_mul_f32 v[26:27], v[8:9], v[20:21] op_sel:[0,1]
	s_nop 0
	v_pk_fma_f32 v[32:33], v[8:9], v[20:21], v[26:27] op_sel:[0,0,1] op_sel_hi:[1,1,0] neg_lo:[0,0,1] neg_hi:[0,0,1]
	v_pk_fma_f32 v[8:9], v[8:9], v[20:21], v[26:27] op_sel:[0,0,1] op_sel_hi:[1,0,0]
	v_pk_mul_f32 v[20:21], v[10:11], v[4:5] op_sel:[0,1]
	v_mov_b32_e32 v33, v9
	v_pk_fma_f32 v[26:27], v[10:11], v[4:5], v[20:21] op_sel:[0,0,1] op_sel_hi:[1,1,0] neg_lo:[0,0,1] neg_hi:[0,0,1]
	v_pk_fma_f32 v[4:5], v[10:11], v[4:5], v[20:21] op_sel:[0,0,1] op_sel_hi:[1,0,0]
	v_pk_add_f32 v[8:9], v[32:33], 0 op_sel_hi:[1,0]
	v_mov_b32_e32 v27, v5
	v_pk_add_f32 v[4:5], v[8:9], v[26:27]
	v_pk_mul_f32 v[8:9], v[0:1], v[6:7] op_sel:[0,1]
	s_barrier
	v_pk_fma_f32 v[10:11], v[0:1], v[6:7], v[8:9] op_sel:[0,0,1] op_sel_hi:[1,1,0] neg_lo:[0,0,1] neg_hi:[0,0,1]
	v_pk_fma_f32 v[0:1], v[0:1], v[6:7], v[8:9] op_sel:[0,0,1] op_sel_hi:[1,0,0]
	s_nop 0
	v_mov_b32_e32 v11, v1
	v_pk_add_f32 v[0:1], v[4:5], v[10:11]
	v_pk_mul_f32 v[4:5], v[2:3], v[18:19] op_sel:[0,1]
	s_nop 0
	v_pk_fma_f32 v[6:7], v[2:3], v[18:19], v[4:5] op_sel:[0,0,1] op_sel_hi:[1,1,0] neg_lo:[0,0,1] neg_hi:[0,0,1]
	v_pk_fma_f32 v[2:3], v[2:3], v[18:19], v[4:5] op_sel:[0,0,1] op_sel_hi:[1,0,0]
	s_nop 0
	v_mov_b32_e32 v7, v3
	v_pk_add_f32 v[0:1], v[0:1], v[6:7]
	ds_write_b64 v23, v[0:1]
	s_waitcnt lgkmcnt(0)
	s_barrier
	s_and_saveexec_b64 s[4:5], s[12:13]
	s_cbranch_execz .LBB114_88
; %bb.87:
	ds_read2_b64 v[0:3], v24 offset1:1
	ds_read2_b64 v[4:7], v24 offset0:2 offset1:3
	ds_read2_b64 v[8:11], v24 offset0:4 offset1:5
	s_waitcnt lgkmcnt(2)
	v_pk_add_f32 v[0:1], v[30:31], v[0:1]
	s_nop 0
	v_pk_add_f32 v[18:19], v[0:1], v[2:3]
	ds_read2_b64 v[0:3], v24 offset0:6 offset1:7
	s_waitcnt lgkmcnt(2)
	v_pk_add_f32 v[4:5], v[18:19], v[4:5]
	s_nop 0
	v_pk_add_f32 v[4:5], v[4:5], v[6:7]
	s_waitcnt lgkmcnt(1)
	v_pk_add_f32 v[4:5], v[4:5], v[8:9]
	s_nop 0
	v_pk_add_f32 v[4:5], v[4:5], v[10:11]
	;; [unrolled: 4-line block ×3, first 2 shown]
.LBB114_88:
	s_or_b64 exec, exec, s[4:5]
	s_mul_hi_u32 s4, s33, s3
	s_mul_i32 s36, s36, s3
	s_add_i32 s4, s4, s36
	s_mul_i32 s3, s33, s3
	s_mul_i32 s4, s4, s30
	s_mul_hi_u32 s5, s3, s30
	s_add_i32 s5, s5, s4
	s_mul_i32 s4, s3, s30
	s_lshl_b64 s[4:5], s[4:5], 3
	s_add_u32 s3, s34, s4
	s_addc_u32 s6, s35, s5
	s_mul_hi_i32 s5, s33, s2
	s_mul_i32 s4, s33, s2
	s_lshl_b64 s[4:5], s[4:5], 3
	s_add_u32 s8, s3, s4
	s_addc_u32 s9, s6, s5
	s_add_i32 s3, s2, 1
	s_cmp_ge_u32 s3, s30
	v_lshlrev_b32_e32 v32, 3, v122
	s_barrier
	s_cbranch_scc1 .LBB114_146
; %bb.89:
	s_mul_i32 s3, s22, s25
	s_mul_hi_u32 s4, s22, s24
	s_add_i32 s3, s4, s3
	s_mul_i32 s4, s23, s24
	s_add_i32 s5, s3, s4
	s_mul_i32 s4, s22, s24
	s_lshl_b64 s[4:5], s[4:5], 3
	v_mov_b32_e32 v0, s5
	v_subrev_co_u32_e32 v34, vcc, s4, v12
	v_and_b32_e32 v2, 48, v122
	s_nop 0
	v_subb_co_u32_e32 v35, vcc, v13, v0, vcc
	v_and_b32_e32 v0, 15, v122
	v_lshlrev_b32_e32 v3, 3, v2
	s_movk_i32 s4, 0x218
	v_lshrrev_b32_e32 v1, 4, v22
	v_mad_u32_u24 v127, v0, s4, v3
	v_or_b32_e32 v3, 0x78, v32
	v_mad_u32_u24 v128, v0, s4, v3
	v_lshlrev_b32_e32 v3, 5, v1
	v_lshlrev_b32_e32 v6, 5, v123
	v_mad_u32_u24 v129, v0, s4, v3
	s_movk_i32 s4, 0x860
	v_add_u32_e32 v3, 0x100, v6
	v_mad_u32_u24 v134, v123, s4, v32
	v_mul_i32_i24_e32 v7, 0xffffffe8, v1
	v_or_b32_e32 v147, v2, v0
	v_mad_u64_u32 v[0:1], s[4:5], s16, v3, 0
	v_mov_b32_e32 v2, v1
	v_mad_u64_u32 v[2:3], s[4:5], s17, v3, v[2:3]
	v_mov_b32_e32 v1, v2
	v_lshlrev_b64 v[2:3], 3, v[14:15]
	v_sub_co_u32_e32 v0, vcc, v0, v2
	v_add_u32_e32 v5, 0x110, v6
	s_nop 0
	v_subb_co_u32_e32 v1, vcc, v1, v3, vcc
	v_lshl_add_u64 v[38:39], v[16:17], 0, v[0:1]
	v_mad_u64_u32 v[0:1], s[4:5], s16, v5, 0
	v_mov_b32_e32 v4, v1
	v_mad_u64_u32 v[4:5], s[4:5], s17, v5, v[4:5]
	v_mov_b32_e32 v1, v4
	v_sub_co_u32_e32 v0, vcc, v0, v2
	v_add_u32_e32 v5, 0x108, v6
	s_nop 0
	v_subb_co_u32_e32 v1, vcc, v1, v3, vcc
	v_lshl_add_u64 v[40:41], v[16:17], 0, v[0:1]
	v_mad_u64_u32 v[0:1], s[4:5], s16, v5, 0
	v_mov_b32_e32 v4, v1
	v_mad_u64_u32 v[4:5], s[4:5], s17, v5, v[4:5]
	v_mov_b32_e32 v1, v4
	;; [unrolled: 9-line block ×15, first 2 shown]
	v_sub_co_u32_e32 v0, vcc, v0, v2
	v_lshlrev_b32_e32 v124, 2, v123
	v_mov_b32_e32 v36, 0
	v_subb_co_u32_e32 v1, vcc, v1, v3, vcc
	s_add_i32 s3, s30, -2
	v_add_u32_e32 v125, 0x2180, v32
	v_add_u32_e32 v126, 0x2380, v32
	v_cmp_gt_u32_e64 s[6:7], 64, v22
	v_or_b32_e32 v130, 1, v124
	v_or_b32_e32 v131, 2, v124
	;; [unrolled: 1-line block ×3, first 2 shown]
	v_add_u32_e32 v133, 0x2180, v6
	v_add_u32_e32 v135, 16, v124
	;; [unrolled: 1-line block ×13, first 2 shown]
	s_add_i32 s21, s22, 64
	v_mov_b32_e32 v33, v36
	s_lshl_b64 s[10:11], s[16:17], 9
	v_lshl_add_u64 v[68:69], v[16:17], 0, v[0:1]
	v_add_u32_e32 v148, v129, v7
	s_branch .LBB114_91
.LBB114_90:                             ;   in Loop: Header=BB114_91 Depth=1
	s_or_b64 exec, exec, s[4:5]
	v_mul_f32_e32 v0, v79, v73
	v_fma_f32 v0, v78, v72, -v0
	v_mul_f32_e32 v2, v81, v71
	v_add_f32_e32 v0, v30, v0
	v_fma_f32 v2, v80, v70, -v2
	v_add_f32_e32 v0, v0, v2
	v_mul_f32_e32 v2, v83, v75
	v_fma_f32 v2, v82, v74, -v2
	v_mul_f32_e32 v1, v79, v72
	v_add_f32_e32 v0, v0, v2
	v_mul_f32_e32 v2, v85, v77
	v_mul_f32_e32 v3, v81, v70
	v_fma_f32 v2, v84, v76, -v2
	v_fmac_f32_e32 v1, v78, v73
	v_mul_f32_e32 v4, v83, v74
	v_add_f32_e32 v0, v0, v2
	v_add_f32_e32 v1, v31, v1
	v_fmac_f32_e32 v3, v80, v71
	v_mul_f32_e32 v2, v95, v89
	v_mul_f32_e32 v5, v85, v76
	v_add_f32_e32 v1, v1, v3
	v_fmac_f32_e32 v4, v82, v75
	v_fma_f32 v2, v94, v88, -v2
	v_add_f32_e32 v1, v1, v4
	v_fmac_f32_e32 v5, v84, v77
	v_mul_f32_e32 v6, v95, v88
	v_add_f32_e32 v0, v0, v2
	v_mul_f32_e32 v2, v97, v87
	v_add_f32_e32 v1, v1, v5
	v_fma_f32 v2, v96, v86, -v2
	v_mul_f32_e32 v7, v97, v86
	v_fmac_f32_e32 v6, v94, v89
	v_add_f32_e32 v0, v0, v2
	v_mul_f32_e32 v2, v99, v91
	v_mul_f32_e32 v3, v99, v90
	v_add_f32_e32 v1, v1, v6
	v_fmac_f32_e32 v7, v96, v87
	v_fma_f32 v2, v98, v90, -v2
	v_add_f32_e32 v1, v1, v7
	v_fmac_f32_e32 v3, v98, v91
	v_mul_f32_e32 v4, v101, v93
	v_mul_f32_e32 v5, v101, v92
	v_pk_add_f32 v[0:1], v[0:1], v[2:3]
	v_mov_b32_e32 v2, v105
	v_fma_f32 v4, v100, v92, -v4
	v_fmac_f32_e32 v5, v100, v93
	v_pk_mul_f32 v[2:3], v[110:111], v[2:3] op_sel_hi:[1,0]
	v_pk_add_f32 v[0:1], v[0:1], v[4:5]
	v_pk_fma_f32 v[4:5], v[110:111], v[104:105], v[2:3] op_sel:[0,0,1] op_sel_hi:[1,1,0] neg_lo:[0,0,1] neg_hi:[0,0,1]
	v_pk_fma_f32 v[2:3], v[110:111], v[104:105], v[2:3] op_sel:[0,0,1] op_sel_hi:[1,0,0]
	s_add_i32 s4, s2, 1
	v_mov_b32_e32 v2, v103
	v_mov_b32_e32 v5, v3
	v_pk_mul_f32 v[2:3], v[8:9], v[2:3] op_sel_hi:[1,0]
	v_pk_add_f32 v[0:1], v[0:1], v[4:5]
	v_pk_fma_f32 v[4:5], v[8:9], v[102:103], v[2:3] op_sel:[0,0,1] op_sel_hi:[1,1,0] neg_lo:[0,0,1] neg_hi:[0,0,1]
	v_pk_fma_f32 v[2:3], v[8:9], v[102:103], v[2:3] op_sel:[0,0,1] op_sel_hi:[1,0,0]
	s_add_i32 s21, s21, 64
	v_mov_b32_e32 v2, v107
	v_mov_b32_e32 v5, v3
	;; [unrolled: 7-line block ×3, first 2 shown]
	v_pk_mul_f32 v[2:3], v[114:115], v[2:3] op_sel_hi:[1,0]
	v_pk_add_f32 v[0:1], v[0:1], v[4:5]
	v_pk_fma_f32 v[4:5], v[114:115], v[108:109], v[2:3] op_sel:[0,0,1] op_sel_hi:[1,1,0] neg_lo:[0,0,1] neg_hi:[0,0,1]
	v_pk_fma_f32 v[2:3], v[114:115], v[108:109], v[2:3] op_sel:[0,0,1] op_sel_hi:[1,0,0]
	v_lshl_add_u64 v[38:39], v[38:39], 0, s[10:11]
	v_mov_b32_e32 v2, v117
	v_mov_b32_e32 v5, v3
	v_pk_mul_f32 v[2:3], v[16:17], v[2:3] op_sel_hi:[1,0]
	v_pk_add_f32 v[0:1], v[0:1], v[4:5]
	v_pk_fma_f32 v[4:5], v[16:17], v[116:117], v[2:3] op_sel:[0,0,1] op_sel_hi:[1,1,0] neg_lo:[0,0,1] neg_hi:[0,0,1]
	v_pk_fma_f32 v[2:3], v[16:17], v[116:117], v[2:3] op_sel:[0,0,1] op_sel_hi:[1,0,0]
	v_lshl_add_u64 v[40:41], v[40:41], 0, s[10:11]
	v_mov_b32_e32 v2, v113
	v_mov_b32_e32 v5, v3
	v_pk_mul_f32 v[2:3], v[18:19], v[2:3] op_sel_hi:[1,0]
	v_pk_add_f32 v[0:1], v[0:1], v[4:5]
	v_pk_fma_f32 v[6:7], v[18:19], v[112:113], v[2:3] op_sel:[0,0,1] op_sel_hi:[1,1,0] neg_lo:[0,0,1] neg_hi:[0,0,1]
	v_pk_fma_f32 v[2:3], v[18:19], v[112:113], v[2:3] op_sel:[0,0,1] op_sel_hi:[1,0,0]
	v_lshl_add_u64 v[42:43], v[42:43], 0, s[10:11]
	v_mov_b32_e32 v2, v119
	v_mov_b32_e32 v7, v3
	v_pk_mul_f32 v[2:3], v[12:13], v[2:3] op_sel_hi:[1,0]
	v_pk_add_f32 v[0:1], v[0:1], v[6:7]
	v_pk_fma_f32 v[8:9], v[12:13], v[118:119], v[2:3] op_sel:[0,0,1] op_sel_hi:[1,1,0] neg_lo:[0,0,1] neg_hi:[0,0,1]
	v_pk_fma_f32 v[2:3], v[12:13], v[118:119], v[2:3] op_sel:[0,0,1] op_sel_hi:[1,0,0]
	v_lshl_add_u64 v[44:45], v[44:45], 0, s[10:11]
	v_mov_b32_e32 v2, v121
	v_mov_b32_e32 v9, v3
	v_pk_mul_f32 v[2:3], v[14:15], v[2:3] op_sel_hi:[1,0]
	v_pk_add_f32 v[0:1], v[0:1], v[8:9]
	v_pk_fma_f32 v[10:11], v[14:15], v[120:121], v[2:3] op_sel:[0,0,1] op_sel_hi:[1,1,0] neg_lo:[0,0,1] neg_hi:[0,0,1]
	v_pk_fma_f32 v[2:3], v[14:15], v[120:121], v[2:3] op_sel:[0,0,1] op_sel_hi:[1,0,0]
	v_lshl_add_u64 v[46:47], v[46:47], 0, s[10:11]
	v_mov_b32_e32 v11, v3
	v_pk_add_f32 v[30:31], v[0:1], v[10:11]
	v_lshl_add_u64 v[48:49], v[48:49], 0, s[10:11]
	v_lshl_add_u64 v[50:51], v[50:51], 0, s[10:11]
	;; [unrolled: 1-line block ×11, first 2 shown]
	s_cmp_ge_u32 s2, s30
	s_mov_b32 s2, s4
	s_barrier
	s_cbranch_scc1 .LBB114_146
.LBB114_91:                             ; =>This Inner Loop Header: Depth=1
	s_cmp_eq_u32 s3, s2
	s_cselect_b32 s26, s31, 0
	s_and_saveexec_b64 s[4:5], s[0:1]
	s_cbranch_execz .LBB114_96
; %bb.92:                               ;   in Loop: Header=BB114_91 Depth=1
	s_cmp_lg_u32 s26, 0
	s_cselect_b64 s[12:13], -1, 0
	v_cmp_le_i32_e32 vcc, s26, v122
	s_and_b64 s[12:13], s[12:13], vcc
	s_and_saveexec_b64 s[14:15], s[12:13]
	s_xor_b64 s[12:13], exec, s[14:15]
	s_cbranch_execz .LBB114_94
; %bb.93:                               ;   in Loop: Header=BB114_91 Depth=1
	v_mov_b32_e32 v37, v36
	ds_write_b64 v125, v[36:37]
.LBB114_94:                             ;   in Loop: Header=BB114_91 Depth=1
	s_andn2_saveexec_b64 s[12:13], s[12:13]
	s_cbranch_execz .LBB114_96
; %bb.95:                               ;   in Loop: Header=BB114_91 Depth=1
	s_ashr_i32 s12, s21, 31
	s_mul_i32 s13, s21, s25
	s_mul_hi_u32 s14, s21, s24
	s_add_i32 s13, s14, s13
	s_mul_i32 s12, s12, s24
	s_add_i32 s13, s13, s12
	s_mul_i32 s12, s21, s24
	v_lshl_add_u64 v[0:1], s[12:13], 3, v[34:35]
	global_load_dwordx2 v[0:1], v[0:1], off
	s_waitcnt vmcnt(0)
	ds_write_b64 v125, v[0:1]
.LBB114_96:                             ;   in Loop: Header=BB114_91 Depth=1
	s_or_b64 exec, exec, s[4:5]
	s_cmp_eq_u32 s26, 0
	s_cselect_b64 s[12:13], -1, 0
	s_cmp_lg_u32 s26, 0
	s_cselect_b64 s[14:15], -1, 0
	v_lshl_add_u64 v[0:1], v[38:39], 0, v[32:33]
	s_and_b64 vcc, exec, s[14:15]
	s_waitcnt lgkmcnt(0)
	s_barrier
	s_cbranch_vccz .LBB114_104
; %bb.97:                               ;   in Loop: Header=BB114_91 Depth=1
	v_mov_b64_e32 v[70:71], 0
	v_cmp_gt_i32_e32 vcc, s26, v124
	v_mov_b64_e32 v[72:73], v[70:71]
	s_and_saveexec_b64 s[4:5], vcc
	s_cbranch_execz .LBB114_99
; %bb.98:                               ;   in Loop: Header=BB114_91 Depth=1
	global_load_dwordx2 v[72:73], v[0:1], off
.LBB114_99:                             ;   in Loop: Header=BB114_91 Depth=1
	s_or_b64 exec, exec, s[4:5]
	v_cmp_gt_i32_e32 vcc, s26, v130
	s_and_saveexec_b64 s[4:5], vcc
	s_cbranch_execz .LBB114_101
; %bb.100:                              ;   in Loop: Header=BB114_91 Depth=1
	v_lshl_add_u64 v[2:3], v[42:43], 0, v[32:33]
	global_load_dwordx2 v[70:71], v[2:3], off
.LBB114_101:                            ;   in Loop: Header=BB114_91 Depth=1
	s_or_b64 exec, exec, s[4:5]
	v_cmp_gt_i32_e32 vcc, s26, v131
	v_mov_b64_e32 v[74:75], 0
	s_and_saveexec_b64 s[4:5], vcc
	s_cbranch_execz .LBB114_103
; %bb.102:                              ;   in Loop: Header=BB114_91 Depth=1
	v_lshl_add_u64 v[2:3], v[40:41], 0, v[32:33]
	global_load_dwordx2 v[74:75], v[2:3], off
.LBB114_103:                            ;   in Loop: Header=BB114_91 Depth=1
	s_or_b64 exec, exec, s[4:5]
	v_cmp_gt_i32_e64 s[4:5], s26, v132
	s_mov_b64 s[16:17], 0
	s_branch .LBB114_106
.LBB114_104:                            ;   in Loop: Header=BB114_91 Depth=1
	s_mov_b64 s[4:5], 0
                                        ; implicit-def: $sgpr16_sgpr17
                                        ; implicit-def: $vgpr74_vgpr75
                                        ; implicit-def: $vgpr70_vgpr71
                                        ; implicit-def: $vgpr72_vgpr73
	s_cbranch_execz .LBB114_106
; %bb.105:                              ;   in Loop: Header=BB114_91 Depth=1
	global_load_dwordx2 v[72:73], v[0:1], off
	v_lshl_add_u64 v[0:1], v[42:43], 0, v[32:33]
	global_load_dwordx2 v[70:71], v[0:1], off
	v_lshl_add_u64 v[0:1], v[40:41], 0, v[32:33]
	global_load_dwordx2 v[74:75], v[0:1], off
	s_or_b64 s[4:5], s[4:5], exec
                                        ; implicit-def: $sgpr16_sgpr17
.LBB114_106:                            ;   in Loop: Header=BB114_91 Depth=1
	v_mov_b64_e32 v[76:77], s[16:17]
	s_and_saveexec_b64 s[16:17], s[4:5]
	s_cbranch_execz .LBB114_108
; %bb.107:                              ;   in Loop: Header=BB114_91 Depth=1
	v_lshl_add_u64 v[0:1], v[44:45], 0, v[32:33]
	global_load_dwordx2 v[76:77], v[0:1], off
.LBB114_108:                            ;   in Loop: Header=BB114_91 Depth=1
	s_or_b64 exec, exec, s[16:17]
	ds_read_b64 v[0:1], v126
	ds_read_b64 v[78:79], v133
	v_cndmask_b32_e64 v8, 0, 1, s[14:15]
	v_cmp_ne_u32_e64 s[4:5], 1, v8
	s_andn2_b64 vcc, exec, s[14:15]
	s_waitcnt vmcnt(0) lgkmcnt(1)
	v_mul_f32_e32 v2, v1, v73
	v_mul_f32_e32 v3, v1, v72
	v_fma_f32 v2, v0, v72, -v2
	v_fmac_f32_e32 v3, v0, v73
	v_mul_f32_e32 v4, v1, v71
	ds_write_b64 v134, v[2:3]
	v_mul_f32_e32 v3, v1, v70
	v_fma_f32 v2, v0, v70, -v4
	v_fmac_f32_e32 v3, v0, v71
	ds_read_b64 v[80:81], v133 offset:8
	ds_write_b64 v134, v[2:3] offset:536
	v_mul_f32_e32 v2, v1, v75
	v_mul_f32_e32 v3, v1, v74
	v_fma_f32 v2, v0, v74, -v2
	v_fmac_f32_e32 v3, v0, v75
	ds_read_b64 v[82:83], v133 offset:16
	ds_write_b64 v134, v[2:3] offset:1072
	v_mul_f32_e32 v2, v1, v77
	v_mul_f32_e32 v3, v0, v77
	v_fma_f32 v2, v0, v76, -v2
	v_fmac_f32_e32 v3, v1, v76
	ds_read_b64 v[84:85], v133 offset:24
	ds_write_b64 v134, v[2:3] offset:1608
	s_waitcnt lgkmcnt(0)
	s_barrier
	ds_read2_b64 v[4:7], v129 offset1:1
	ds_read2_b64 v[0:3], v129 offset0:2 offset1:3
	v_lshl_add_u64 v[8:9], v[46:47], 0, v[32:33]
	s_waitcnt lgkmcnt(0)
	s_barrier
	s_cbranch_vccnz .LBB114_116
; %bb.109:                              ;   in Loop: Header=BB114_91 Depth=1
	v_mov_b64_e32 v[86:87], 0
	v_cmp_gt_i32_e32 vcc, s26, v135
	v_mov_b64_e32 v[88:89], v[86:87]
	s_and_saveexec_b64 s[14:15], vcc
	s_cbranch_execz .LBB114_111
; %bb.110:                              ;   in Loop: Header=BB114_91 Depth=1
	global_load_dwordx2 v[88:89], v[8:9], off
.LBB114_111:                            ;   in Loop: Header=BB114_91 Depth=1
	s_or_b64 exec, exec, s[14:15]
	v_cmp_gt_i32_e32 vcc, s26, v136
	s_and_saveexec_b64 s[14:15], vcc
	s_cbranch_execz .LBB114_113
; %bb.112:                              ;   in Loop: Header=BB114_91 Depth=1
	v_lshl_add_u64 v[10:11], v[48:49], 0, v[32:33]
	global_load_dwordx2 v[86:87], v[10:11], off
.LBB114_113:                            ;   in Loop: Header=BB114_91 Depth=1
	s_or_b64 exec, exec, s[14:15]
	v_cmp_gt_i32_e32 vcc, s26, v137
	v_mov_b64_e32 v[90:91], 0
	s_and_saveexec_b64 s[14:15], vcc
	s_cbranch_execz .LBB114_115
; %bb.114:                              ;   in Loop: Header=BB114_91 Depth=1
	v_lshl_add_u64 v[10:11], v[50:51], 0, v[32:33]
	global_load_dwordx2 v[90:91], v[10:11], off
.LBB114_115:                            ;   in Loop: Header=BB114_91 Depth=1
	s_or_b64 exec, exec, s[14:15]
	v_cmp_gt_i32_e64 s[14:15], s26, v138
	s_mov_b64 s[16:17], 0
	s_branch .LBB114_118
.LBB114_116:                            ;   in Loop: Header=BB114_91 Depth=1
	s_mov_b64 s[14:15], 0
                                        ; implicit-def: $sgpr16_sgpr17
                                        ; implicit-def: $vgpr90_vgpr91
                                        ; implicit-def: $vgpr86_vgpr87
                                        ; implicit-def: $vgpr88_vgpr89
	s_cbranch_execz .LBB114_118
; %bb.117:                              ;   in Loop: Header=BB114_91 Depth=1
	global_load_dwordx2 v[88:89], v[8:9], off
	v_lshl_add_u64 v[8:9], v[48:49], 0, v[32:33]
	global_load_dwordx2 v[86:87], v[8:9], off
	v_lshl_add_u64 v[8:9], v[50:51], 0, v[32:33]
	global_load_dwordx2 v[90:91], v[8:9], off
	s_or_b64 s[14:15], s[14:15], exec
                                        ; implicit-def: $sgpr16_sgpr17
.LBB114_118:                            ;   in Loop: Header=BB114_91 Depth=1
	v_mov_b64_e32 v[92:93], s[16:17]
	s_and_saveexec_b64 s[16:17], s[14:15]
	s_cbranch_execz .LBB114_120
; %bb.119:                              ;   in Loop: Header=BB114_91 Depth=1
	v_lshl_add_u64 v[8:9], v[52:53], 0, v[32:33]
	global_load_dwordx2 v[92:93], v[8:9], off
.LBB114_120:                            ;   in Loop: Header=BB114_91 Depth=1
	s_or_b64 exec, exec, s[16:17]
	ds_read_b64 v[8:9], v126
	ds_read_b64 v[94:95], v133 offset:128
	s_and_b64 vcc, exec, s[4:5]
	s_waitcnt vmcnt(0) lgkmcnt(1)
	v_mul_f32_e32 v10, v9, v89
	v_mul_f32_e32 v11, v9, v88
	v_fma_f32 v10, v8, v88, -v10
	v_fmac_f32_e32 v11, v8, v89
	v_mul_f32_e32 v12, v9, v87
	ds_write_b64 v134, v[10:11]
	v_mul_f32_e32 v11, v9, v86
	v_fma_f32 v10, v8, v86, -v12
	v_fmac_f32_e32 v11, v8, v87
	ds_read_b64 v[96:97], v133 offset:136
	ds_write_b64 v134, v[10:11] offset:536
	v_mul_f32_e32 v10, v9, v91
	v_mul_f32_e32 v11, v9, v90
	v_fma_f32 v10, v8, v90, -v10
	v_fmac_f32_e32 v11, v8, v91
	ds_read_b64 v[98:99], v133 offset:144
	ds_write_b64 v134, v[10:11] offset:1072
	v_mul_f32_e32 v10, v9, v93
	v_mul_f32_e32 v11, v8, v93
	v_fma_f32 v10, v8, v92, -v10
	v_fmac_f32_e32 v11, v9, v92
	ds_read_b64 v[100:101], v133 offset:152
	ds_write_b64 v134, v[10:11] offset:1608
	s_waitcnt lgkmcnt(0)
	s_barrier
	ds_read2_b64 v[16:19], v129 offset1:1
	ds_read2_b64 v[12:15], v129 offset0:2 offset1:3
	v_lshl_add_u64 v[8:9], v[54:55], 0, v[32:33]
	s_waitcnt lgkmcnt(0)
	s_barrier
	s_cbranch_vccnz .LBB114_128
; %bb.121:                              ;   in Loop: Header=BB114_91 Depth=1
	v_mov_b64_e32 v[102:103], 0
	v_cmp_gt_i32_e32 vcc, s26, v139
	v_mov_b64_e32 v[104:105], v[102:103]
	s_and_saveexec_b64 s[14:15], vcc
	s_cbranch_execz .LBB114_123
; %bb.122:                              ;   in Loop: Header=BB114_91 Depth=1
	global_load_dwordx2 v[104:105], v[8:9], off
.LBB114_123:                            ;   in Loop: Header=BB114_91 Depth=1
	s_or_b64 exec, exec, s[14:15]
	v_cmp_gt_i32_e32 vcc, s26, v140
	s_and_saveexec_b64 s[14:15], vcc
	s_cbranch_execz .LBB114_125
; %bb.124:                              ;   in Loop: Header=BB114_91 Depth=1
	v_lshl_add_u64 v[10:11], v[56:57], 0, v[32:33]
	global_load_dwordx2 v[102:103], v[10:11], off
.LBB114_125:                            ;   in Loop: Header=BB114_91 Depth=1
	s_or_b64 exec, exec, s[14:15]
	v_cmp_gt_i32_e32 vcc, s26, v141
	v_mov_b64_e32 v[106:107], 0
	s_and_saveexec_b64 s[14:15], vcc
	s_cbranch_execz .LBB114_127
; %bb.126:                              ;   in Loop: Header=BB114_91 Depth=1
	v_lshl_add_u64 v[10:11], v[58:59], 0, v[32:33]
	global_load_dwordx2 v[106:107], v[10:11], off
.LBB114_127:                            ;   in Loop: Header=BB114_91 Depth=1
	s_or_b64 exec, exec, s[14:15]
	v_cmp_gt_i32_e64 s[14:15], s26, v142
	s_mov_b64 s[16:17], 0
	s_branch .LBB114_130
.LBB114_128:                            ;   in Loop: Header=BB114_91 Depth=1
	s_mov_b64 s[14:15], 0
                                        ; implicit-def: $sgpr16_sgpr17
                                        ; implicit-def: $vgpr106_vgpr107
                                        ; implicit-def: $vgpr102_vgpr103
                                        ; implicit-def: $vgpr104_vgpr105
	s_cbranch_execz .LBB114_130
; %bb.129:                              ;   in Loop: Header=BB114_91 Depth=1
	global_load_dwordx2 v[104:105], v[8:9], off
	v_lshl_add_u64 v[8:9], v[56:57], 0, v[32:33]
	global_load_dwordx2 v[102:103], v[8:9], off
	v_lshl_add_u64 v[8:9], v[58:59], 0, v[32:33]
	global_load_dwordx2 v[106:107], v[8:9], off
	s_or_b64 s[14:15], s[14:15], exec
                                        ; implicit-def: $sgpr16_sgpr17
.LBB114_130:                            ;   in Loop: Header=BB114_91 Depth=1
	v_mov_b64_e32 v[108:109], s[16:17]
	s_and_saveexec_b64 s[16:17], s[14:15]
	s_cbranch_execz .LBB114_132
; %bb.131:                              ;   in Loop: Header=BB114_91 Depth=1
	v_lshl_add_u64 v[8:9], v[60:61], 0, v[32:33]
	global_load_dwordx2 v[108:109], v[8:9], off
.LBB114_132:                            ;   in Loop: Header=BB114_91 Depth=1
	s_or_b64 exec, exec, s[16:17]
	ds_read_b64 v[8:9], v126
	ds_read_b64 v[110:111], v133 offset:256
	s_and_b64 vcc, exec, s[4:5]
	v_lshl_add_u64 v[120:121], v[62:63], 0, v[32:33]
	s_waitcnt vmcnt(0) lgkmcnt(1)
	v_mul_f32_e32 v10, v9, v105
	v_mul_f32_e32 v11, v9, v104
	;; [unrolled: 1-line block ×4, first 2 shown]
	v_fma_f32 v10, v8, v104, -v10
	v_fmac_f32_e32 v11, v8, v105
	v_fma_f32 v20, v8, v102, -v20
	v_fmac_f32_e32 v21, v8, v103
	ds_write2_b64 v134, v[10:11], v[20:21] offset1:67
	v_mul_f32_e32 v10, v9, v107
	v_mul_f32_e32 v11, v9, v106
	v_mul_f32_e32 v20, v9, v109
	v_mul_f32_e32 v21, v8, v109
	v_fma_f32 v10, v8, v106, -v10
	v_fmac_f32_e32 v11, v8, v107
	v_fma_f32 v20, v8, v108, -v20
	v_fmac_f32_e32 v21, v9, v108
	ds_write2_b64 v134, v[10:11], v[20:21] offset0:134 offset1:201
	ds_read2_b64 v[8:11], v133 offset0:33 offset1:34
	ds_read_b64 v[114:115], v133 offset:280
	s_waitcnt lgkmcnt(0)
	s_barrier
	ds_read2_b64 v[24:27], v129 offset1:1
	ds_read2_b64 v[20:23], v129 offset0:2 offset1:3
	s_waitcnt lgkmcnt(0)
	s_barrier
	s_cbranch_vccnz .LBB114_140
; %bb.133:                              ;   in Loop: Header=BB114_91 Depth=1
	v_mov_b64_e32 v[112:113], 0
	v_cmp_gt_i32_e32 vcc, s26, v143
	v_mov_b64_e32 v[116:117], v[112:113]
	s_and_saveexec_b64 s[4:5], vcc
	s_cbranch_execz .LBB114_135
; %bb.134:                              ;   in Loop: Header=BB114_91 Depth=1
	global_load_dwordx2 v[116:117], v[120:121], off
.LBB114_135:                            ;   in Loop: Header=BB114_91 Depth=1
	s_or_b64 exec, exec, s[4:5]
	v_cmp_gt_i32_e32 vcc, s26, v144
	s_and_saveexec_b64 s[4:5], vcc
	s_cbranch_execz .LBB114_137
; %bb.136:                              ;   in Loop: Header=BB114_91 Depth=1
	v_lshl_add_u64 v[112:113], v[64:65], 0, v[32:33]
	global_load_dwordx2 v[112:113], v[112:113], off
.LBB114_137:                            ;   in Loop: Header=BB114_91 Depth=1
	s_or_b64 exec, exec, s[4:5]
	v_cmp_gt_i32_e32 vcc, s26, v145
	v_mov_b64_e32 v[118:119], 0
	s_and_saveexec_b64 s[4:5], vcc
	s_cbranch_execz .LBB114_139
; %bb.138:                              ;   in Loop: Header=BB114_91 Depth=1
	v_lshl_add_u64 v[118:119], v[66:67], 0, v[32:33]
	global_load_dwordx2 v[118:119], v[118:119], off
.LBB114_139:                            ;   in Loop: Header=BB114_91 Depth=1
	s_or_b64 exec, exec, s[4:5]
	v_cmp_gt_i32_e64 s[4:5], s26, v146
	s_mov_b64 s[14:15], 0
	s_branch .LBB114_142
.LBB114_140:                            ;   in Loop: Header=BB114_91 Depth=1
	s_mov_b64 s[4:5], 0
                                        ; implicit-def: $sgpr14_sgpr15
                                        ; implicit-def: $vgpr118_vgpr119
                                        ; implicit-def: $vgpr112_vgpr113
                                        ; implicit-def: $vgpr116_vgpr117
	s_cbranch_execz .LBB114_142
; %bb.141:                              ;   in Loop: Header=BB114_91 Depth=1
	s_waitcnt vmcnt(0)
	v_lshl_add_u64 v[112:113], v[64:65], 0, v[32:33]
	v_lshl_add_u64 v[118:119], v[66:67], 0, v[32:33]
	global_load_dwordx2 v[116:117], v[120:121], off
	s_or_b64 s[4:5], s[4:5], exec
	global_load_dwordx2 v[112:113], v[112:113], off
                                        ; implicit-def: $sgpr14_sgpr15
	s_nop 0
	global_load_dwordx2 v[118:119], v[118:119], off
.LBB114_142:                            ;   in Loop: Header=BB114_91 Depth=1
	v_mov_b64_e32 v[120:121], s[14:15]
	s_and_saveexec_b64 s[14:15], s[4:5]
	s_cbranch_execz .LBB114_144
; %bb.143:                              ;   in Loop: Header=BB114_91 Depth=1
	v_lshl_add_u64 v[120:121], v[68:69], 0, v[32:33]
	global_load_dwordx2 v[120:121], v[120:121], off
.LBB114_144:                            ;   in Loop: Header=BB114_91 Depth=1
	s_or_b64 exec, exec, s[14:15]
	v_pk_add_f32 v[24:25], v[24:25], 0 op_sel_hi:[1,0]
	v_pk_add_f32 v[16:17], v[16:17], 0 op_sel_hi:[1,0]
	v_pk_add_f32 v[24:25], v[24:25], v[26:27]
	v_pk_add_f32 v[16:17], v[16:17], v[18:19]
	v_pk_add_f32 v[20:21], v[24:25], v[20:21]
	v_pk_add_f32 v[12:13], v[16:17], v[12:13]
	v_pk_add_f32 v[24:25], v[20:21], v[22:23]
	ds_read_b64 v[20:21], v126
	v_pk_add_f32 v[26:27], v[12:13], v[14:15]
	v_pk_add_f32 v[4:5], v[4:5], 0 op_sel_hi:[1,0]
	v_cmp_gt_i32_e32 vcc, s26, v122
	v_pk_add_f32 v[150:151], v[4:5], v[6:7]
	s_waitcnt vmcnt(0) lgkmcnt(0)
	v_mul_f32_e32 v12, v21, v117
	v_mul_f32_e32 v13, v21, v116
	;; [unrolled: 1-line block ×4, first 2 shown]
	v_fma_f32 v12, v20, v116, -v12
	v_fmac_f32_e32 v13, v20, v117
	v_fma_f32 v14, v20, v112, -v14
	v_fmac_f32_e32 v15, v20, v113
	ds_write2_b64 v134, v[12:13], v[14:15] offset1:67
	v_mul_f32_e32 v12, v21, v119
	v_mul_f32_e32 v13, v21, v118
	v_mul_f32_e32 v14, v21, v121
	v_mul_f32_e32 v15, v20, v121
	v_fma_f32 v12, v20, v118, -v12
	v_fmac_f32_e32 v13, v20, v119
	v_fma_f32 v14, v20, v120, -v14
	v_fmac_f32_e32 v15, v21, v120
	ds_write2_b64 v134, v[12:13], v[14:15] offset0:134 offset1:201
	ds_read_b128 v[16:19], v133 offset:384
	ds_read_b128 v[12:15], v133 offset:400
	s_waitcnt lgkmcnt(0)
	s_barrier
	ds_read2_b64 v[20:23], v129 offset1:1
	ds_read2_b64 v[4:7], v129 offset0:2 offset1:3
	v_pk_add_f32 v[0:1], v[150:151], v[0:1]
	s_or_b64 s[4:5], s[12:13], vcc
	v_pk_add_f32 v[0:1], v[0:1], v[2:3]
	s_waitcnt lgkmcnt(1)
	v_pk_add_f32 v[2:3], v[20:21], 0 op_sel_hi:[1,0]
	s_and_b64 s[12:13], s[6:7], s[4:5]
	v_pk_add_f32 v[2:3], v[2:3], v[22:23]
	s_waitcnt lgkmcnt(0)
	v_pk_add_f32 v[2:3], v[2:3], v[4:5]
	s_barrier
	v_pk_add_f32 v[2:3], v[2:3], v[6:7]
	ds_write2_b64 v148, v[0:1], v[26:27] offset1:16
	ds_write2_b64 v148, v[24:25], v[2:3] offset0:32 offset1:48
	s_waitcnt lgkmcnt(0)
	s_barrier
	s_and_saveexec_b64 s[4:5], s[12:13]
	s_cbranch_execz .LBB114_90
; %bb.145:                              ;   in Loop: Header=BB114_91 Depth=1
	ds_read_b64 v[20:21], v127
	ds_read2_b64 v[0:3], v127 offset0:1 offset1:2
	ds_read2_b64 v[4:7], v127 offset0:3 offset1:4
	v_add_u32_e32 v22, s21, v147
	v_ashrrev_i32_e32 v23, 31, v22
	v_lshl_add_u64 v[24:25], v[22:23], 3, s[8:9]
	s_waitcnt lgkmcnt(1)
	v_add_f32_e32 v0, v0, v20
	v_add_f32_e32 v1, v1, v21
	;; [unrolled: 1-line block ×4, first 2 shown]
	ds_read2_b64 v[0:3], v127 offset0:5 offset1:6
	s_waitcnt lgkmcnt(1)
	v_add_f32_e32 v4, v20, v4
	v_add_f32_e32 v5, v21, v5
	;; [unrolled: 1-line block ×4, first 2 shown]
	ds_read2_b64 v[4:7], v127 offset0:7 offset1:8
	s_waitcnt lgkmcnt(1)
	v_pk_add_f32 v[0:1], v[20:21], v[0:1]
	ds_read2_b64 v[20:23], v127 offset0:9 offset1:10
	v_pk_add_f32 v[0:1], v[0:1], v[2:3]
	s_waitcnt lgkmcnt(1)
	v_pk_add_f32 v[0:1], v[0:1], v[4:5]
	s_nop 0
	v_pk_add_f32 v[4:5], v[0:1], v[6:7]
	ds_read2_b64 v[0:3], v127 offset0:11 offset1:12
	s_waitcnt lgkmcnt(1)
	v_pk_add_f32 v[20:21], v[4:5], v[20:21]
	ds_read2_b64 v[4:7], v127 offset0:13 offset1:14
	v_pk_add_f32 v[20:21], v[20:21], v[22:23]
	ds_read_b64 v[22:23], v128
	s_waitcnt lgkmcnt(2)
	v_pk_add_f32 v[0:1], v[20:21], v[0:1]
	s_nop 0
	v_pk_add_f32 v[0:1], v[0:1], v[2:3]
	s_waitcnt lgkmcnt(1)
	v_pk_add_f32 v[0:1], v[0:1], v[4:5]
	s_nop 0
	v_pk_add_f32 v[0:1], v[0:1], v[6:7]
	s_waitcnt lgkmcnt(0)
	v_pk_add_f32 v[0:1], v[0:1], v[22:23]
	global_store_dwordx2 v[24:25], v[0:1], off
	s_branch .LBB114_90
.LBB114_146:
	s_movk_i32 s2, 0x218
	v_cmp_gt_i32_e32 vcc, s20, v122
	v_mad_u32_u24 v0, v123, s2, v32
	s_or_b64 s[2:3], s[18:19], vcc
	s_and_b64 s[0:1], s[0:1], s[2:3]
	ds_write_b64 v0, v[30:31]
	s_waitcnt lgkmcnt(0)
	s_barrier
	s_and_saveexec_b64 s[2:3], s[0:1]
	s_cbranch_execz .LBB114_148
; %bb.147:
	ds_read2_b64 v[0:3], v32 offset1:67
	ds_read2_b64 v[4:7], v32 offset0:134 offset1:201
	v_lshl_add_u64 v[8:9], v[28:29], 3, s[8:9]
	s_waitcnt lgkmcnt(1)
	v_pk_add_f32 v[0:1], v[2:3], v[0:1]
	s_waitcnt lgkmcnt(0)
	v_pk_add_f32 v[0:1], v[0:1], v[4:5]
	s_nop 0
	v_pk_add_f32 v[0:1], v[0:1], v[6:7]
	global_store_dwordx2 v[8:9], v[0:1], off
.LBB114_148:
	s_endpgm
	.section	.rodata,"a",@progbits
	.p2align	6, 0x0
	.amdhsa_kernel _ZL26rocblas_hemvn_kernel_upperILb0ELi64ELi4ELi33ELi32ELi16ElPK19rocblas_complex_numIfES3_PS1_EviT6_lT7_lT5_lS6_lS7_lS5_lT8_i
		.amdhsa_group_segment_fixed_size 9600
		.amdhsa_private_segment_fixed_size 0
		.amdhsa_kernarg_size 376
		.amdhsa_user_sgpr_count 2
		.amdhsa_user_sgpr_dispatch_ptr 0
		.amdhsa_user_sgpr_queue_ptr 0
		.amdhsa_user_sgpr_kernarg_segment_ptr 1
		.amdhsa_user_sgpr_dispatch_id 0
		.amdhsa_user_sgpr_kernarg_preload_length 0
		.amdhsa_user_sgpr_kernarg_preload_offset 0
		.amdhsa_user_sgpr_private_segment_size 0
		.amdhsa_uses_dynamic_stack 0
		.amdhsa_enable_private_segment 0
		.amdhsa_system_sgpr_workgroup_id_x 1
		.amdhsa_system_sgpr_workgroup_id_y 0
		.amdhsa_system_sgpr_workgroup_id_z 1
		.amdhsa_system_sgpr_workgroup_info 0
		.amdhsa_system_vgpr_workitem_id 1
		.amdhsa_next_free_vgpr 152
		.amdhsa_next_free_sgpr 39
		.amdhsa_accum_offset 152
		.amdhsa_reserve_vcc 1
		.amdhsa_float_round_mode_32 0
		.amdhsa_float_round_mode_16_64 0
		.amdhsa_float_denorm_mode_32 3
		.amdhsa_float_denorm_mode_16_64 3
		.amdhsa_dx10_clamp 1
		.amdhsa_ieee_mode 1
		.amdhsa_fp16_overflow 0
		.amdhsa_tg_split 0
		.amdhsa_exception_fp_ieee_invalid_op 0
		.amdhsa_exception_fp_denorm_src 0
		.amdhsa_exception_fp_ieee_div_zero 0
		.amdhsa_exception_fp_ieee_overflow 0
		.amdhsa_exception_fp_ieee_underflow 0
		.amdhsa_exception_fp_ieee_inexact 0
		.amdhsa_exception_int_div_zero 0
	.end_amdhsa_kernel
	.section	.text._ZL26rocblas_hemvn_kernel_upperILb0ELi64ELi4ELi33ELi32ELi16ElPK19rocblas_complex_numIfES3_PS1_EviT6_lT7_lT5_lS6_lS7_lS5_lT8_i,"axG",@progbits,_ZL26rocblas_hemvn_kernel_upperILb0ELi64ELi4ELi33ELi32ELi16ElPK19rocblas_complex_numIfES3_PS1_EviT6_lT7_lT5_lS6_lS7_lS5_lT8_i,comdat
.Lfunc_end114:
	.size	_ZL26rocblas_hemvn_kernel_upperILb0ELi64ELi4ELi33ELi32ELi16ElPK19rocblas_complex_numIfES3_PS1_EviT6_lT7_lT5_lS6_lS7_lS5_lT8_i, .Lfunc_end114-_ZL26rocblas_hemvn_kernel_upperILb0ELi64ELi4ELi33ELi32ELi16ElPK19rocblas_complex_numIfES3_PS1_EviT6_lT7_lT5_lS6_lS7_lS5_lT8_i
                                        ; -- End function
	.section	.AMDGPU.csdata,"",@progbits
; Kernel info:
; codeLenInByte = 8648
; NumSgprs: 45
; NumVgprs: 152
; NumAgprs: 0
; TotalNumVgprs: 152
; ScratchSize: 0
; MemoryBound: 1
; FloatMode: 240
; IeeeMode: 1
; LDSByteSize: 9600 bytes/workgroup (compile time only)
; SGPRBlocks: 5
; VGPRBlocks: 18
; NumSGPRsForWavesPerEU: 45
; NumVGPRsForWavesPerEU: 152
; AccumOffset: 152
; Occupancy: 3
; WaveLimiterHint : 0
; COMPUTE_PGM_RSRC2:SCRATCH_EN: 0
; COMPUTE_PGM_RSRC2:USER_SGPR: 2
; COMPUTE_PGM_RSRC2:TRAP_HANDLER: 0
; COMPUTE_PGM_RSRC2:TGID_X_EN: 1
; COMPUTE_PGM_RSRC2:TGID_Y_EN: 0
; COMPUTE_PGM_RSRC2:TGID_Z_EN: 1
; COMPUTE_PGM_RSRC2:TIDIG_COMP_CNT: 1
; COMPUTE_PGM_RSRC3_GFX90A:ACCUM_OFFSET: 37
; COMPUTE_PGM_RSRC3_GFX90A:TG_SPLIT: 0
	.section	.text._ZL26rocblas_hemvn_kernel_upperILb0ELi64ELi4ELi33ELi32ELi16EiPK19rocblas_complex_numIfES3_PS1_EviT6_lT7_lT5_lS6_lS7_lS5_lT8_i,"axG",@progbits,_ZL26rocblas_hemvn_kernel_upperILb0ELi64ELi4ELi33ELi32ELi16EiPK19rocblas_complex_numIfES3_PS1_EviT6_lT7_lT5_lS6_lS7_lS5_lT8_i,comdat
	.globl	_ZL26rocblas_hemvn_kernel_upperILb0ELi64ELi4ELi33ELi32ELi16EiPK19rocblas_complex_numIfES3_PS1_EviT6_lT7_lT5_lS6_lS7_lS5_lT8_i ; -- Begin function _ZL26rocblas_hemvn_kernel_upperILb0ELi64ELi4ELi33ELi32ELi16EiPK19rocblas_complex_numIfES3_PS1_EviT6_lT7_lT5_lS6_lS7_lS5_lT8_i
	.p2align	8
	.type	_ZL26rocblas_hemvn_kernel_upperILb0ELi64ELi4ELi33ELi32ELi16EiPK19rocblas_complex_numIfES3_PS1_EviT6_lT7_lT5_lS6_lS7_lS5_lT8_i,@function
_ZL26rocblas_hemvn_kernel_upperILb0ELi64ELi4ELi33ELi32ELi16EiPK19rocblas_complex_numIfES3_PS1_EviT6_lT7_lT5_lS6_lS7_lS5_lT8_i: ; @_ZL26rocblas_hemvn_kernel_upperILb0ELi64ELi4ELi33ELi32ELi16EiPK19rocblas_complex_numIfES3_PS1_EviT6_lT7_lT5_lS6_lS7_lS5_lT8_i
; %bb.0:
	s_load_dwordx2 s[4:5], s[0:1], 0x84
	s_add_u32 s20, s0, 0x78
	s_addc_u32 s21, s1, 0
	s_waitcnt lgkmcnt(0)
	s_lshr_b32 s6, s4, 16
	s_and_b32 s4, s4, 0xffff
	s_and_b32 s5, s5, 0xffff
	s_mul_i32 s4, s6, s4
	s_mul_i32 s4, s4, s5
	s_cmpk_lg_i32 s4, 0x100
	s_cbranch_scc1 .LBB115_148
; %bb.1:
	s_load_dwordx8 s[4:11], s[0:1], 0x8
	s_waitcnt lgkmcnt(0)
	s_mul_i32 s7, s3, s7
	s_mul_hi_u32 s12, s3, s6
	s_mul_i32 s6, s3, s6
	s_add_i32 s7, s12, s7
	s_lshl_b64 s[6:7], s[6:7], 3
	s_add_u32 s4, s4, s6
	s_addc_u32 s5, s5, s7
	s_load_dwordx2 s[6:7], s[4:5], 0x0
	s_load_dwordx8 s[12:19], s[0:1], 0x50
	s_waitcnt lgkmcnt(0)
	s_or_b32 s4, s6, s7
	s_bitset0_b32 s4, 31
	s_cmp_lg_u32 s4, 0
	s_cselect_b64 s[4:5], -1, 0
	s_mov_b64 s[6:7], -1
	s_and_b64 vcc, exec, s[4:5]
	s_cbranch_vccnz .LBB115_3
; %bb.2:
	s_mul_i32 s6, s3, s17
	s_mul_hi_u32 s7, s3, s16
	s_add_i32 s7, s7, s6
	s_mul_i32 s6, s3, s16
	s_lshl_b64 s[6:7], s[6:7], 3
	s_add_u32 s6, s14, s6
	s_addc_u32 s7, s15, s7
	s_load_dwordx2 s[6:7], s[6:7], 0x0
	s_waitcnt lgkmcnt(0)
	v_cmp_neq_f32_e64 s[14:15], s6, 1.0
	v_cmp_neq_f32_e64 s[6:7], s7, 0
	s_or_b64 s[6:7], s[14:15], s[6:7]
.LBB115_3:
	s_andn2_b64 vcc, exec, s[6:7]
	s_cbranch_vccnz .LBB115_148
; %bb.4:
	s_andn2_b64 vcc, exec, s[4:5]
	s_cbranch_vccnz .LBB115_148
; %bb.5:
	s_load_dword s33, s[20:21], 0x0
	s_load_dword s36, s[0:1], 0x0
	s_load_dwordx4 s[4:7], s[0:1], 0x30
	s_load_dwordx2 s[14:15], s[0:1], 0x40
	s_load_dword s35, s[0:1], 0x48
	s_mul_i32 s13, s3, s13
	s_mul_hi_u32 s16, s3, s12
	s_add_i32 s13, s16, s13
	s_mul_i32 s12, s3, s12
	s_lshl_b64 s[12:13], s[12:13], 3
	s_waitcnt lgkmcnt(0)
	s_add_u32 s12, s6, s12
	s_addc_u32 s13, s7, s13
	s_lshl_b64 s[6:7], s[14:15], 3
	s_add_u32 s6, s12, s6
	s_addc_u32 s7, s13, s7
	s_ashr_i32 s37, s36, 31
	s_lshr_b32 s13, s37, 26
	v_and_b32_e32 v30, 0x3ff, v0
	s_lshl_b32 s24, s2, 6
	s_add_i32 s13, s36, s13
	s_andn2_b32 s13, s13, 63
	v_add_u32_e32 v28, s24, v30
	v_bfe_u32 v29, v0, 10, 10
	s_add_i32 s12, s33, -1
	s_sub_i32 s34, s36, s13
	v_mul_lo_u32 v0, v28, s35
	s_cmp_eq_u32 s2, s12
	v_ashrrev_i32_e32 v1, 31, v0
	s_cselect_b32 s16, s34, 0
	v_lshl_add_u64 v[12:13], v[0:1], 3, s[6:7]
	v_cmp_eq_u32_e64 s[12:13], 0, v29
	s_and_saveexec_b64 s[6:7], s[12:13]
	s_cbranch_execz .LBB115_10
; %bb.6:
	s_cmp_lg_u32 s16, 0
	s_cselect_b64 s[14:15], -1, 0
	v_cmp_le_i32_e32 vcc, s16, v30
	v_mov_b32_e32 v0, 0x2380
	s_and_b64 s[14:15], s[14:15], vcc
	v_lshl_add_u32 v0, v30, 3, v0
	s_and_saveexec_b64 s[20:21], s[14:15]
	s_xor_b64 s[14:15], exec, s[20:21]
	s_cbranch_execz .LBB115_8
; %bb.7:
	v_mov_b32_e32 v2, 0
	v_mov_b32_e32 v3, v2
	ds_write_b64 v0, v[2:3]
                                        ; implicit-def: $vgpr0
.LBB115_8:
	s_andn2_saveexec_b64 s[14:15], s[14:15]
	s_cbranch_execz .LBB115_10
; %bb.9:
	global_load_dwordx2 v[2:3], v[12:13], off
	s_waitcnt vmcnt(0)
	ds_write_b64 v0, v[2:3]
.LBB115_10:
	s_or_b64 exec, exec, s[6:7]
	s_mul_i32 s5, s3, s5
	s_mul_hi_u32 s6, s3, s4
	s_add_i32 s5, s6, s5
	s_mul_i32 s4, s3, s4
	s_lshl_b64 s[4:5], s[4:5], 3
	s_add_u32 s6, s8, s4
	s_addc_u32 s7, s9, s5
	s_lshl_b64 s[4:5], s[10:11], 3
	s_load_dword s22, s[0:1], 0x28
	s_add_u32 s4, s6, s4
	s_addc_u32 s5, s7, s5
	s_ashr_i32 s25, s24, 31
	v_lshl_add_u32 v22, v29, 6, v30
	s_lshl_b64 s[0:1], s[24:25], 3
	v_and_b32_e32 v0, 31, v30
	v_lshrrev_b32_e32 v1, 5, v22
	s_add_u32 s4, s4, s0
	s_addc_u32 s5, s5, s1
	s_waitcnt lgkmcnt(0)
	v_mad_u64_u32 v[14:15], s[0:1], v1, s22, v[0:1]
	s_mul_i32 s0, s24, s22
	s_ashr_i32 s1, s0, 31
	s_lshl_b64 s[0:1], s[0:1], 3
	s_add_u32 s0, s0, s4
	s_addc_u32 s1, s1, s5
	s_cmp_eq_u32 s16, 0
	s_cselect_b64 s[20:21], -1, 0
	s_cmp_lg_u32 s16, 0
	v_ashrrev_i32_e32 v15, 31, v14
	s_cselect_b64 s[28:29], -1, 0
	v_lshl_add_u64 v[4:5], v[14:15], 3, s[0:1]
	s_and_b64 vcc, exec, s[28:29]
	v_cmp_gt_i32_e64 s[0:1], s16, v0
	v_lshlrev_b32_e32 v2, 3, v0
	s_cbranch_vccz .LBB115_26
; %bb.11:
	v_sub_co_u32_e32 v6, vcc, v4, v2
	s_ashr_i32 s17, s16, 31
	s_nop 0
	v_subbrev_co_u32_e32 v7, vcc, 0, v5, vcc
	v_lshl_add_u64 v[6:7], s[16:17], 3, v[6:7]
	v_lshl_add_u64 v[6:7], v[6:7], 0, -8
	v_mov_b32_e32 v8, 0
	v_cndmask_b32_e64 v7, v7, v5, s[0:1]
	v_cndmask_b32_e64 v6, v6, v4, s[0:1]
	v_cmp_gt_i32_e32 vcc, s16, v1
	v_mov_b32_e32 v9, v8
	s_and_saveexec_b64 s[4:5], vcc
	s_cbranch_execz .LBB115_13
; %bb.12:
	global_load_dwordx2 v[8:9], v[6:7], off
.LBB115_13:
	s_or_b64 exec, exec, s[4:5]
	v_mul_u32_u24_e32 v3, 33, v1
	v_add_lshl_u32 v3, v3, v0, 3
	s_waitcnt vmcnt(0)
	ds_write_b64 v3, v[8:9]
	v_add_u32_e32 v8, 8, v1
	v_cmp_le_i32_e32 vcc, s16, v8
	s_and_saveexec_b64 s[4:5], vcc
	s_xor_b64 s[4:5], exec, s[4:5]
	s_cbranch_execz .LBB115_15
; %bb.14:
	v_mul_u32_u24_e32 v8, 33, v8
	v_add_lshl_u32 v10, v8, v0, 3
	v_mov_b32_e32 v8, 0
	v_mov_b32_e32 v9, v8
	ds_write_b64 v10, v[8:9]
.LBB115_15:
	s_andn2_saveexec_b64 s[4:5], s[4:5]
	s_cbranch_execz .LBB115_17
; %bb.16:
	s_lshl_b32 s6, s22, 3
	s_ashr_i32 s7, s6, 31
	v_lshl_add_u64 v[8:9], s[6:7], 3, v[6:7]
	global_load_dwordx2 v[8:9], v[8:9], off
	s_waitcnt vmcnt(0)
	ds_write_b64 v3, v[8:9] offset:2112
.LBB115_17:
	s_or_b64 exec, exec, s[4:5]
	v_add_u32_e32 v8, 16, v1
	v_cmp_le_i32_e32 vcc, s16, v8
	s_and_saveexec_b64 s[4:5], vcc
	s_xor_b64 s[4:5], exec, s[4:5]
	s_cbranch_execz .LBB115_19
; %bb.18:
	v_mov_b32_e32 v8, 0
	v_mov_b32_e32 v9, v8
	ds_write_b64 v3, v[8:9] offset:4224
.LBB115_19:
	s_andn2_saveexec_b64 s[4:5], s[4:5]
	s_cbranch_execz .LBB115_21
; %bb.20:
	s_lshl_b32 s6, s22, 4
	s_ashr_i32 s7, s6, 31
	v_lshl_add_u64 v[8:9], s[6:7], 3, v[6:7]
	global_load_dwordx2 v[8:9], v[8:9], off
	s_waitcnt vmcnt(0)
	ds_write_b64 v3, v[8:9] offset:4224
.LBB115_21:
	s_or_b64 exec, exec, s[4:5]
	v_add_u32_e32 v8, 24, v1
	v_cmp_le_i32_e32 vcc, s16, v8
	s_and_saveexec_b64 s[4:5], vcc
	s_xor_b64 s[4:5], exec, s[4:5]
	s_cbranch_execz .LBB115_23
; %bb.22:
	v_mov_b32_e32 v8, 0
	v_mov_b32_e32 v9, v8
	ds_write_b64 v3, v[8:9] offset:6336
                                        ; implicit-def: $vgpr3
.LBB115_23:
	s_andn2_saveexec_b64 s[4:5], s[4:5]
	s_cbranch_execz .LBB115_25
; %bb.24:
	s_mul_i32 s6, s22, 24
	s_ashr_i32 s7, s6, 31
	v_lshl_add_u64 v[8:9], s[6:7], 3, v[6:7]
	global_load_dwordx2 v[8:9], v[8:9], off
	s_waitcnt vmcnt(0)
	ds_write_b64 v3, v[8:9] offset:6336
.LBB115_25:
	s_or_b64 exec, exec, s[4:5]
	v_mov_b32_e32 v3, 0
	v_lshl_add_u64 v[6:7], v[6:7], 0, v[2:3]
	s_lshl_b64 s[4:5], s[16:17], 3
	v_mov_b32_e32 v3, s5
	v_subrev_co_u32_e32 v6, vcc, s4, v6
	s_nop 1
	v_subb_co_u32_e32 v7, vcc, v7, v3, vcc
	v_lshl_add_u64 v[6:7], v[6:7], 0, 8
	v_cndmask_b32_e64 v7, v7, v5, s[0:1]
	v_cndmask_b32_e64 v6, v6, v4, s[0:1]
	v_mul_u32_u24_e32 v18, 33, v1
	s_branch .LBB115_28
.LBB115_26:
                                        ; implicit-def: $vgpr6_vgpr7
	v_mul_u32_u24_e32 v18, 33, v1
	s_cbranch_execz .LBB115_28
; %bb.27:
	s_lshl_b32 s0, s22, 3
	s_ashr_i32 s1, s0, 31
	s_ashr_i32 s23, s22, 31
	v_lshl_add_u64 v[6:7], s[0:1], 3, v[4:5]
	global_load_dwordx2 v[8:9], v[4:5], off
	global_load_dwordx2 v[10:11], v[6:7], off
	s_lshl_b64 s[0:1], s[22:23], 6
	v_lshl_add_u64 v[6:7], v[6:7], 0, s[0:1]
	global_load_dwordx2 v[16:17], v[6:7], off
	v_lshl_add_u64 v[6:7], v[6:7], 0, s[0:1]
	global_load_dwordx2 v[6:7], v[6:7], off
	v_add_lshl_u32 v3, v18, v0, 3
	s_waitcnt vmcnt(3)
	ds_write_b64 v3, v[8:9]
	s_waitcnt vmcnt(2)
	ds_write_b64 v3, v[10:11] offset:2112
	s_waitcnt vmcnt(1)
	ds_write_b64 v3, v[16:17] offset:4224
	;; [unrolled: 2-line block ×3, first 2 shown]
	v_mov_b64_e32 v[6:7], v[4:5]
.LBB115_28:
	v_lshlrev_b32_e32 v3, 2, v1
	v_mul_u32_u24_e32 v19, 33, v0
	v_cmp_gt_u32_e64 s[4:5], v3, v0
	v_add_lshl_u32 v16, v3, v19, 3
	s_waitcnt lgkmcnt(0)
	s_barrier
	s_and_saveexec_b64 s[0:1], s[4:5]
	s_cbranch_execz .LBB115_30
; %bb.29:
	v_mul_u32_u24_e32 v4, 0x84, v1
	v_add_lshl_u32 v4, v4, v0, 3
	ds_read_b64 v[4:5], v4
	s_waitcnt lgkmcnt(0)
	ds_write_b64 v16, v[4:5]
.LBB115_30:
	s_or_b64 exec, exec, s[0:1]
	v_cmp_ge_u32_e64 s[6:7], v3, v0
	s_and_saveexec_b64 s[0:1], s[6:7]
	s_cbranch_execz .LBB115_32
; %bb.31:
	v_or_b32_e32 v4, 1, v3
	v_mul_u32_u24_e32 v4, 33, v4
	v_add_lshl_u32 v4, v4, v0, 3
	ds_read_b64 v[4:5], v4
	s_waitcnt lgkmcnt(0)
	ds_write_b64 v16, v[4:5] offset:8
.LBB115_32:
	s_or_b64 exec, exec, s[0:1]
	v_or_b32_e32 v4, 2, v3
	v_cmp_gt_u32_e64 s[8:9], v4, v0
	s_and_saveexec_b64 s[0:1], s[8:9]
	s_cbranch_execz .LBB115_34
; %bb.33:
	v_mul_u32_u24_e32 v4, 33, v4
	v_add_lshl_u32 v4, v4, v0, 3
	ds_read_b64 v[4:5], v4
	s_waitcnt lgkmcnt(0)
	ds_write_b64 v16, v[4:5] offset:16
.LBB115_34:
	s_or_b64 exec, exec, s[0:1]
	v_or_b32_e32 v4, 3, v3
	v_cmp_gt_u32_e64 s[10:11], v4, v0
	v_mad_u32_u24 v4, v4, 33, v0
	v_lshlrev_b32_e32 v25, 3, v4
	s_and_saveexec_b64 s[0:1], s[10:11]
	s_cbranch_execz .LBB115_36
; %bb.35:
	ds_read_b64 v[4:5], v25
	s_waitcnt lgkmcnt(0)
	ds_write_b64 v16, v[4:5] offset:24
.LBB115_36:
	s_or_b64 exec, exec, s[0:1]
	v_mul_u32_u24_e32 v4, 0x84, v1
	v_add_lshl_u32 v20, v4, v0, 3
	s_waitcnt lgkmcnt(0)
	s_barrier
	v_lshlrev_b32_e32 v17, 3, v3
	v_add_u32_e32 v21, 0xfffffdf0, v25
	ds_read_b64 v[4:5], v20
	ds_read_b128 v[8:11], v17 offset:9088
	ds_read2_b64 v[32:35], v21 offset1:33
	ds_read_b64 v[26:27], v25
	ds_read_b128 v[36:39], v17 offset:9104
	s_mov_b32 s14, 0
	s_mov_b32 s15, s14
	s_waitcnt lgkmcnt(3)
	v_pk_mul_f32 v[40:41], v[8:9], v[4:5] op_sel:[0,1]
	v_add_lshl_u32 v23, v1, v19, 3
	v_pk_fma_f32 v[42:43], v[8:9], v[4:5], v[40:41] op_sel:[0,0,1] op_sel_hi:[1,1,0] neg_lo:[0,0,1] neg_hi:[0,0,1]
	v_pk_fma_f32 v[4:5], v[8:9], v[4:5], v[40:41] op_sel:[0,0,1] op_sel_hi:[1,0,0]
	s_waitcnt lgkmcnt(2)
	v_pk_mul_f32 v[8:9], v[10:11], v[32:33] op_sel:[0,1]
	v_mov_b32_e32 v43, v5
	v_pk_fma_f32 v[40:41], v[10:11], v[32:33], v[8:9] op_sel:[0,0,1] op_sel_hi:[1,1,0] neg_lo:[0,0,1] neg_hi:[0,0,1]
	v_pk_fma_f32 v[8:9], v[10:11], v[32:33], v[8:9] op_sel:[0,0,1] op_sel_hi:[1,0,0]
	v_pk_add_f32 v[4:5], v[42:43], 0 op_sel_hi:[1,0]
	v_mov_b32_e32 v41, v9
	s_waitcnt lgkmcnt(0)
	v_pk_mul_f32 v[8:9], v[36:37], v[34:35] op_sel:[0,1]
	v_pk_add_f32 v[4:5], v[4:5], v[40:41]
	v_pk_fma_f32 v[10:11], v[36:37], v[34:35], v[8:9] op_sel:[0,0,1] op_sel_hi:[1,1,0] neg_lo:[0,0,1] neg_hi:[0,0,1]
	v_pk_fma_f32 v[8:9], v[36:37], v[34:35], v[8:9] op_sel:[0,0,1] op_sel_hi:[1,0,0]
	v_cmp_gt_u32_e64 s[0:1], 32, v22
	v_mov_b32_e32 v11, v9
	v_pk_mul_f32 v[8:9], v[38:39], v[26:27] op_sel:[0,1]
	v_pk_add_f32 v[4:5], v[4:5], v[10:11]
	v_pk_fma_f32 v[10:11], v[38:39], v[26:27], v[8:9] op_sel:[0,0,1] op_sel_hi:[1,1,0] neg_lo:[0,0,1] neg_hi:[0,0,1]
	v_pk_fma_f32 v[8:9], v[38:39], v[26:27], v[8:9] op_sel:[0,0,1] op_sel_hi:[1,0,0]
	v_mov_b64_e32 v[32:33], s[14:15]
	v_mov_b32_e32 v11, v9
	v_pk_add_f32 v[4:5], v[4:5], v[10:11]
	v_lshlrev_b32_e32 v24, 3, v19
	s_barrier
	ds_write_b64 v23, v[4:5]
	s_waitcnt lgkmcnt(0)
	s_barrier
	s_and_saveexec_b64 s[14:15], s[0:1]
	s_cbranch_execz .LBB115_38
; %bb.37:
	ds_read2_b64 v[8:11], v24 offset1:7
	ds_read2_b64 v[32:35], v24 offset0:1 offset1:2
	ds_read2_b64 v[36:39], v24 offset0:3 offset1:4
	s_waitcnt lgkmcnt(1)
	v_add_f32_e32 v3, v32, v8
	v_add_f32_e32 v4, v33, v9
	;; [unrolled: 1-line block ×4, first 2 shown]
	ds_read2_b64 v[32:35], v24 offset0:5 offset1:6
	s_waitcnt lgkmcnt(1)
	v_add_f32_e32 v3, v3, v36
	v_add_f32_e32 v4, v4, v37
	;; [unrolled: 1-line block ×4, first 2 shown]
	s_waitcnt lgkmcnt(0)
	v_add_f32_e32 v3, v3, v32
	v_add_f32_e32 v5, v4, v33
	;; [unrolled: 1-line block ×4, first 2 shown]
	v_pk_add_f32 v[32:33], v[4:5], v[10:11]
.LBB115_38:
	s_or_b64 exec, exec, s[14:15]
	s_lshl_b32 s26, s22, 5
	s_ashr_i32 s27, s26, 31
	v_lshl_add_u64 v[8:9], s[26:27], 3, v[6:7]
	s_mov_b64 s[14:15], 0x100
	v_lshl_add_u64 v[6:7], v[8:9], 0, s[14:15]
	s_and_b64 vcc, exec, s[28:29]
	s_barrier
	s_cbranch_vccz .LBB115_54
; %bb.39:
	v_sub_co_u32_e32 v4, vcc, v6, v2
	s_ashr_i32 s17, s16, 31
	s_nop 0
	v_subbrev_co_u32_e32 v5, vcc, 0, v7, vcc
	s_movk_i32 s14, 0xfef8
	v_or_b32_e32 v3, 32, v0
	v_lshl_add_u64 v[4:5], s[16:17], 3, v[4:5]
	s_mov_b32 s15, -1
	v_lshl_add_u64 v[4:5], v[4:5], 0, s[14:15]
	v_cmp_gt_i32_e32 vcc, s16, v3
	s_sub_i32 s23, s16, 32
	v_mov_b32_e32 v10, 0
	v_cndmask_b32_e32 v5, v5, v7, vcc
	v_cndmask_b32_e32 v4, v4, v6, vcc
	v_cmp_gt_i32_e64 s[14:15], s23, v1
	v_mov_b32_e32 v11, v10
	s_and_saveexec_b64 s[30:31], s[14:15]
	s_cbranch_execz .LBB115_41
; %bb.40:
	global_load_dwordx2 v[10:11], v[4:5], off
.LBB115_41:
	s_or_b64 exec, exec, s[30:31]
	v_add_lshl_u32 v3, v18, v0, 3
	s_waitcnt vmcnt(0)
	ds_write_b64 v3, v[10:11]
	v_add_u32_e32 v10, 8, v1
	v_cmp_le_i32_e64 s[14:15], s23, v10
	s_and_saveexec_b64 s[30:31], s[14:15]
	s_xor_b64 s[14:15], exec, s[30:31]
	s_cbranch_execz .LBB115_43
; %bb.42:
	v_mul_u32_u24_e32 v10, 33, v10
	v_add_lshl_u32 v26, v10, v0, 3
	v_mov_b32_e32 v10, 0
	v_mov_b32_e32 v11, v10
	ds_write_b64 v26, v[10:11]
.LBB115_43:
	s_andn2_saveexec_b64 s[14:15], s[14:15]
	s_cbranch_execz .LBB115_45
; %bb.44:
	s_lshl_b32 s30, s22, 3
	s_ashr_i32 s31, s30, 31
	v_lshl_add_u64 v[10:11], s[30:31], 3, v[4:5]
	global_load_dwordx2 v[10:11], v[10:11], off
	s_waitcnt vmcnt(0)
	ds_write_b64 v3, v[10:11] offset:2112
.LBB115_45:
	s_or_b64 exec, exec, s[14:15]
	v_add_u32_e32 v10, 16, v1
	v_cmp_le_i32_e64 s[14:15], s23, v10
	s_and_saveexec_b64 s[30:31], s[14:15]
	s_xor_b64 s[14:15], exec, s[30:31]
	s_cbranch_execz .LBB115_47
; %bb.46:
	v_mul_u32_u24_e32 v10, 33, v10
	v_add_lshl_u32 v26, v10, v0, 3
	v_mov_b32_e32 v10, 0
	v_mov_b32_e32 v11, v10
	ds_write_b64 v26, v[10:11]
.LBB115_47:
	s_andn2_saveexec_b64 s[14:15], s[14:15]
	s_cbranch_execz .LBB115_49
; %bb.48:
	s_lshl_b32 s30, s22, 4
	s_ashr_i32 s31, s30, 31
	v_lshl_add_u64 v[10:11], s[30:31], 3, v[4:5]
	global_load_dwordx2 v[10:11], v[10:11], off
	s_waitcnt vmcnt(0)
	ds_write_b64 v3, v[10:11] offset:4224
.LBB115_49:
	s_or_b64 exec, exec, s[14:15]
	v_add_u32_e32 v10, 24, v1
	v_cmp_le_i32_e64 s[14:15], s23, v10
	s_and_saveexec_b64 s[30:31], s[14:15]
	s_xor_b64 s[14:15], exec, s[30:31]
	s_cbranch_execz .LBB115_51
; %bb.50:
	v_mov_b32_e32 v10, 0
	v_mov_b32_e32 v11, v10
	ds_write_b64 v3, v[10:11] offset:6336
                                        ; implicit-def: $vgpr3
.LBB115_51:
	s_andn2_saveexec_b64 s[14:15], s[14:15]
	s_cbranch_execz .LBB115_53
; %bb.52:
	s_mul_i32 s30, s22, 24
	s_ashr_i32 s31, s30, 31
	v_lshl_add_u64 v[10:11], s[30:31], 3, v[4:5]
	global_load_dwordx2 v[10:11], v[10:11], off
	s_waitcnt vmcnt(0)
	ds_write_b64 v3, v[10:11] offset:6336
.LBB115_53:
	s_or_b64 exec, exec, s[14:15]
	v_mov_b32_e32 v3, 0
	v_lshl_add_u64 v[4:5], v[4:5], 0, v[2:3]
	s_lshl_b64 s[14:15], s[16:17], 3
	v_mov_b32_e32 v3, s15
	v_subrev_co_u32_e64 v4, s[14:15], s14, v4
	s_nop 1
	v_subb_co_u32_e64 v5, s[14:15], v5, v3, s[14:15]
	s_mov_b64 s[14:15], 0x108
	s_nop 0
	v_lshl_add_u64 v[4:5], v[4:5], 0, s[14:15]
	v_cndmask_b32_e32 v5, v5, v7, vcc
	v_cndmask_b32_e32 v4, v4, v6, vcc
	s_branch .LBB115_56
.LBB115_54:
                                        ; implicit-def: $vgpr4_vgpr5
	s_cbranch_execz .LBB115_56
; %bb.55:
	s_lshl_b32 s14, s22, 3
	s_ashr_i32 s15, s14, 31
	s_ashr_i32 s23, s22, 31
	v_lshl_add_u64 v[4:5], s[14:15], 3, v[8:9]
	s_lshl_b64 s[14:15], s[22:23], 6
	v_lshl_add_u64 v[10:11], v[4:5], 0, s[14:15]
	v_lshl_add_u64 v[26:27], v[10:11], 0, s[14:15]
	global_load_dwordx2 v[34:35], v[8:9], off offset:256
	global_load_dwordx2 v[36:37], v[4:5], off offset:256
	;; [unrolled: 1-line block ×4, first 2 shown]
	v_add_lshl_u32 v3, v18, v0, 3
	v_mov_b64_e32 v[4:5], v[6:7]
	s_waitcnt vmcnt(3)
	ds_write_b64 v3, v[34:35]
	s_waitcnt vmcnt(2)
	ds_write_b64 v3, v[36:37] offset:2112
	s_waitcnt vmcnt(1)
	ds_write_b64 v3, v[38:39] offset:4224
	;; [unrolled: 2-line block ×3, first 2 shown]
.LBB115_56:
	s_waitcnt lgkmcnt(0)
	s_barrier
	s_and_saveexec_b64 s[14:15], s[4:5]
	s_cbranch_execnz .LBB115_79
; %bb.57:
	s_or_b64 exec, exec, s[14:15]
	s_and_saveexec_b64 s[4:5], s[6:7]
	s_cbranch_execnz .LBB115_80
.LBB115_58:
	s_or_b64 exec, exec, s[4:5]
	s_and_saveexec_b64 s[4:5], s[8:9]
	s_cbranch_execnz .LBB115_81
.LBB115_59:
	s_or_b64 exec, exec, s[4:5]
	v_add_u32_e32 v26, 0x2380, v17
	s_and_saveexec_b64 s[4:5], s[10:11]
	s_cbranch_execz .LBB115_61
.LBB115_60:
	ds_read_b64 v[6:7], v25
	s_waitcnt lgkmcnt(0)
	ds_write_b64 v16, v[6:7] offset:24
.LBB115_61:
	s_or_b64 exec, exec, s[4:5]
	s_waitcnt lgkmcnt(0)
	s_barrier
	ds_read_b64 v[10:11], v20
	ds_read_b128 v[6:9], v26 offset:256
	ds_read2_b64 v[34:37], v21 offset1:33
	ds_read_b64 v[16:17], v25
	ds_read_b128 v[38:41], v26 offset:272
	v_cmp_eq_u32_e64 s[4:5], 1, v1
	s_waitcnt lgkmcnt(3)
	v_pk_mul_f32 v[42:43], v[6:7], v[10:11] op_sel:[0,1]
	s_waitcnt lgkmcnt(0)
	v_pk_fma_f32 v[44:45], v[6:7], v[10:11], v[42:43] op_sel:[0,0,1] op_sel_hi:[1,1,0] neg_lo:[0,0,1] neg_hi:[0,0,1]
	v_pk_fma_f32 v[6:7], v[6:7], v[10:11], v[42:43] op_sel:[0,0,1] op_sel_hi:[1,0,0]
	v_pk_mul_f32 v[10:11], v[8:9], v[34:35] op_sel:[0,1]
	v_mov_b32_e32 v45, v7
	v_pk_fma_f32 v[42:43], v[8:9], v[34:35], v[10:11] op_sel:[0,0,1] op_sel_hi:[1,1,0] neg_lo:[0,0,1] neg_hi:[0,0,1]
	v_pk_fma_f32 v[8:9], v[8:9], v[34:35], v[10:11] op_sel:[0,0,1] op_sel_hi:[1,0,0]
	v_pk_add_f32 v[6:7], v[44:45], 0 op_sel_hi:[1,0]
	v_mov_b32_e32 v43, v9
	v_pk_mul_f32 v[8:9], v[38:39], v[36:37] op_sel:[0,1]
	v_pk_add_f32 v[6:7], v[6:7], v[42:43]
	v_pk_fma_f32 v[10:11], v[38:39], v[36:37], v[8:9] op_sel:[0,0,1] op_sel_hi:[1,1,0] neg_lo:[0,0,1] neg_hi:[0,0,1]
	v_pk_fma_f32 v[8:9], v[38:39], v[36:37], v[8:9] op_sel:[0,0,1] op_sel_hi:[1,0,0]
	s_barrier
	v_mov_b32_e32 v11, v9
	v_pk_mul_f32 v[8:9], v[40:41], v[16:17] op_sel:[0,1]
	v_pk_add_f32 v[6:7], v[6:7], v[10:11]
	v_pk_fma_f32 v[10:11], v[40:41], v[16:17], v[8:9] op_sel:[0,0,1] op_sel_hi:[1,1,0] neg_lo:[0,0,1] neg_hi:[0,0,1]
	v_pk_fma_f32 v[8:9], v[40:41], v[16:17], v[8:9] op_sel:[0,0,1] op_sel_hi:[1,0,0]
	s_nop 0
	v_mov_b32_e32 v11, v9
	v_pk_add_f32 v[6:7], v[6:7], v[10:11]
	ds_write_b64 v23, v[6:7]
	s_waitcnt lgkmcnt(0)
	s_barrier
	s_and_saveexec_b64 s[6:7], s[4:5]
	s_cbranch_execz .LBB115_63
; %bb.62:
	ds_read2_b64 v[6:9], v24 offset1:7
	ds_read2_b64 v[32:35], v24 offset0:1 offset1:2
	ds_read2_b64 v[36:39], v24 offset0:3 offset1:4
	s_waitcnt lgkmcnt(1)
	v_add_f32_e32 v3, v32, v6
	v_add_f32_e32 v6, v33, v7
	;; [unrolled: 1-line block ×4, first 2 shown]
	ds_read2_b64 v[32:35], v24 offset0:5 offset1:6
	s_waitcnt lgkmcnt(1)
	v_add_f32_e32 v3, v3, v36
	v_add_f32_e32 v6, v6, v37
	;; [unrolled: 1-line block ×4, first 2 shown]
	s_waitcnt lgkmcnt(0)
	v_add_f32_e32 v6, v3, v32
	v_add_f32_e32 v7, v7, v33
	v_pk_add_f32 v[6:7], v[6:7], v[34:35]
	s_nop 0
	v_pk_add_f32 v[32:33], v[6:7], v[8:9]
.LBB115_63:
	s_or_b64 exec, exec, s[6:7]
	s_movk_i32 s6, 0xff00
	s_mov_b32 s7, -1
	v_lshl_add_u64 v[6:7], v[4:5], 0, s[6:7]
	s_and_b64 vcc, exec, s[28:29]
	s_barrier
	s_cbranch_vccz .LBB115_82
; %bb.64:
	v_sub_co_u32_e32 v8, vcc, v4, v2
	s_ashr_i32 s17, s16, 31
	s_nop 0
	v_subbrev_co_u32_e32 v9, vcc, 0, v5, vcc
	s_movk_i32 s6, 0xfef8
	v_lshl_add_u64 v[8:9], s[16:17], 3, v[8:9]
	s_mov_b32 s7, -1
	v_lshl_add_u64 v[8:9], v[8:9], 0, s[6:7]
	v_cmp_gt_i32_e32 vcc, s16, v0
	s_sub_i32 s10, s16, 32
	v_mov_b32_e32 v10, 0
	v_cndmask_b32_e32 v9, v9, v7, vcc
	v_cndmask_b32_e32 v8, v8, v6, vcc
	v_cmp_gt_i32_e64 s[6:7], s10, v1
	v_mov_b32_e32 v11, v10
	s_and_saveexec_b64 s[8:9], s[6:7]
	s_cbranch_execz .LBB115_66
; %bb.65:
	global_load_dwordx2 v[10:11], v[8:9], off
.LBB115_66:
	s_or_b64 exec, exec, s[8:9]
	v_add_lshl_u32 v3, v18, v0, 3
	s_waitcnt vmcnt(0)
	ds_write_b64 v3, v[10:11]
	v_add_u32_e32 v10, 8, v1
	v_cmp_le_i32_e64 s[6:7], s10, v10
	s_and_saveexec_b64 s[8:9], s[6:7]
	s_xor_b64 s[6:7], exec, s[8:9]
	s_cbranch_execz .LBB115_68
; %bb.67:
	v_mul_u32_u24_e32 v11, 33, v10
	v_mov_b32_e32 v16, 0
	v_add_lshl_u32 v11, v11, v0, 3
	v_mov_b32_e32 v17, v16
	ds_write_b64 v11, v[16:17]
.LBB115_68:
	s_andn2_saveexec_b64 s[6:7], s[6:7]
	s_cbranch_execz .LBB115_70
; %bb.69:
	s_lshl_b32 s8, s22, 3
	s_ashr_i32 s9, s8, 31
	v_lshl_add_u64 v[16:17], s[8:9], 3, v[8:9]
	global_load_dwordx2 v[16:17], v[16:17], off
	s_waitcnt vmcnt(0)
	ds_write_b64 v3, v[16:17] offset:2112
.LBB115_70:
	s_or_b64 exec, exec, s[6:7]
	v_add_u32_e32 v11, 16, v1
	v_cmp_le_i32_e64 s[6:7], s10, v11
	s_and_saveexec_b64 s[8:9], s[6:7]
	s_xor_b64 s[6:7], exec, s[8:9]
	s_cbranch_execz .LBB115_72
; %bb.71:
	v_mov_b32_e32 v16, 0
	v_mov_b32_e32 v17, v16
	ds_write_b64 v3, v[16:17] offset:4224
.LBB115_72:
	s_andn2_saveexec_b64 s[6:7], s[6:7]
	s_cbranch_execz .LBB115_74
; %bb.73:
	s_lshl_b32 s8, s22, 4
	s_ashr_i32 s9, s8, 31
	v_lshl_add_u64 v[16:17], s[8:9], 3, v[8:9]
	global_load_dwordx2 v[16:17], v[16:17], off
	s_waitcnt vmcnt(0)
	ds_write_b64 v3, v[16:17] offset:4224
.LBB115_74:
	s_or_b64 exec, exec, s[6:7]
	v_add_u32_e32 v27, 24, v1
	v_cmp_le_i32_e64 s[6:7], s10, v27
	s_and_saveexec_b64 s[8:9], s[6:7]
	s_xor_b64 s[6:7], exec, s[8:9]
	s_cbranch_execz .LBB115_76
; %bb.75:
	v_mov_b32_e32 v16, 0
	v_mov_b32_e32 v17, v16
	ds_write_b64 v3, v[16:17] offset:6336
                                        ; implicit-def: $vgpr3
.LBB115_76:
	s_andn2_saveexec_b64 s[6:7], s[6:7]
	s_cbranch_execz .LBB115_78
; %bb.77:
	s_mul_i32 s8, s22, 24
	s_ashr_i32 s9, s8, 31
	v_lshl_add_u64 v[16:17], s[8:9], 3, v[8:9]
	global_load_dwordx2 v[16:17], v[16:17], off
	s_waitcnt vmcnt(0)
	ds_write_b64 v3, v[16:17] offset:6336
.LBB115_78:
	s_or_b64 exec, exec, s[6:7]
	v_mov_b32_e32 v3, 0
	v_lshl_add_u64 v[2:3], v[8:9], 0, v[2:3]
	s_lshl_b64 s[6:7], s[16:17], 3
	v_mov_b32_e32 v8, s7
	v_subrev_co_u32_e64 v2, s[6:7], s6, v2
	s_nop 1
	v_subb_co_u32_e64 v3, s[6:7], v3, v8, s[6:7]
	v_lshl_add_u64 v[2:3], v[2:3], 0, 8
	v_cndmask_b32_e32 v17, v3, v7, vcc
	v_cndmask_b32_e32 v16, v2, v6, vcc
	s_branch .LBB115_84
.LBB115_79:
	ds_read_b64 v[6:7], v20
	s_waitcnt lgkmcnt(0)
	ds_write_b64 v16, v[6:7]
	s_or_b64 exec, exec, s[14:15]
	s_and_saveexec_b64 s[4:5], s[6:7]
	s_cbranch_execz .LBB115_58
.LBB115_80:
	ds_read_b64 v[6:7], v21
	s_waitcnt lgkmcnt(0)
	ds_write_b64 v16, v[6:7] offset:8
	s_or_b64 exec, exec, s[4:5]
	s_and_saveexec_b64 s[4:5], s[8:9]
	s_cbranch_execz .LBB115_59
.LBB115_81:
	ds_read_b64 v[6:7], v21 offset:264
	s_waitcnt lgkmcnt(0)
	ds_write_b64 v16, v[6:7] offset:16
	s_or_b64 exec, exec, s[4:5]
	v_add_u32_e32 v26, 0x2380, v17
	s_and_saveexec_b64 s[4:5], s[10:11]
	s_cbranch_execnz .LBB115_60
	s_branch .LBB115_61
.LBB115_82:
                                        ; implicit-def: $vgpr16_vgpr17
                                        ; implicit-def: $vgpr10
                                        ; implicit-def: $vgpr11
                                        ; implicit-def: $vgpr27
	s_cbranch_execz .LBB115_84
; %bb.83:
	s_lshl_b32 s6, s22, 3
	s_ashr_i32 s7, s6, 31
	s_ashr_i32 s23, s22, 31
	global_load_dwordx2 v[2:3], v[4:5], off offset:-256
	v_lshl_add_u64 v[4:5], s[6:7], 3, v[4:5]
	s_lshl_b64 s[6:7], s[22:23], 6
	v_lshl_add_u64 v[8:9], v[4:5], 0, s[6:7]
	global_load_dwordx2 v[16:17], v[4:5], off offset:-256
	global_load_dwordx2 v[34:35], v[8:9], off offset:-256
	v_lshl_add_u64 v[4:5], v[8:9], 0, s[6:7]
	global_load_dwordx2 v[4:5], v[4:5], off offset:-256
	v_add_lshl_u32 v0, v18, v0, 3
	v_add_u32_e32 v10, 8, v1
	v_add_u32_e32 v11, 16, v1
	;; [unrolled: 1-line block ×3, first 2 shown]
	s_waitcnt vmcnt(3)
	ds_write_b64 v0, v[2:3]
	s_waitcnt vmcnt(2)
	ds_write_b64 v0, v[16:17] offset:2112
	s_waitcnt vmcnt(1)
	ds_write_b64 v0, v[34:35] offset:4224
	;; [unrolled: 2-line block ×3, first 2 shown]
	v_mov_b64_e32 v[16:17], v[6:7]
.LBB115_84:
	v_lshlrev_b32_e32 v18, 3, v1
	v_lshlrev_b32_e32 v36, 3, v10
	v_add_lshl_u32 v37, v11, v19, 3
	v_lshlrev_b32_e32 v46, 3, v11
	v_add_lshl_u32 v44, v27, v19, 3
	v_lshlrev_b32_e32 v42, 3, v27
	s_waitcnt lgkmcnt(0)
	s_barrier
	v_add_lshl_u32 v31, v10, v19, 3
	ds_read2_b64 v[4:7], v21 offset1:33
	ds_read_b64 v[20:21], v20
	ds_read_b128 v[8:11], v26 offset:256
	ds_read_b64 v[34:35], v23
	ds_read_b128 v[0:3], v26 offset:272
	ds_read_b64 v[26:27], v37
	ds_read_b64 v[36:37], v36 offset:9088
	ds_read_b64 v[38:39], v31
	ds_read_b64 v[40:41], v18 offset:9088
	;; [unrolled: 2-line block ×4, first 2 shown]
	s_waitcnt lgkmcnt(4)
	v_pk_mul_f32 v[48:49], v[40:41], v[34:35] op_sel:[0,1]
	s_waitcnt lgkmcnt(0)
	v_pk_fma_f32 v[50:51], v[40:41], v[34:35], v[48:49] op_sel:[0,0,1] op_sel_hi:[1,1,0] neg_lo:[0,0,1] neg_hi:[0,0,1]
	v_pk_fma_f32 v[34:35], v[40:41], v[34:35], v[48:49] op_sel:[0,0,1] op_sel_hi:[1,0,0]
	v_pk_mul_f32 v[40:41], v[36:37], v[38:39] op_sel:[0,1]
	v_mov_b32_e32 v51, v35
	v_pk_fma_f32 v[48:49], v[36:37], v[38:39], v[40:41] op_sel:[0,0,1] op_sel_hi:[1,1,0] neg_lo:[0,0,1] neg_hi:[0,0,1]
	v_pk_fma_f32 v[36:37], v[36:37], v[38:39], v[40:41] op_sel:[0,0,1] op_sel_hi:[1,0,0]
	v_pk_add_f32 v[34:35], v[50:51], 0 op_sel_hi:[1,0]
	v_mov_b32_e32 v49, v37
	v_pk_mul_f32 v[36:37], v[46:47], v[26:27] op_sel:[0,1]
	v_pk_add_f32 v[34:35], v[34:35], v[48:49]
	v_pk_fma_f32 v[38:39], v[46:47], v[26:27], v[36:37] op_sel:[0,0,1] op_sel_hi:[1,1,0] neg_lo:[0,0,1] neg_hi:[0,0,1]
	v_pk_fma_f32 v[26:27], v[46:47], v[26:27], v[36:37] op_sel:[0,0,1] op_sel_hi:[1,0,0]
	s_barrier
	v_mov_b32_e32 v39, v27
	v_pk_add_f32 v[26:27], v[34:35], v[38:39]
	v_pk_mul_f32 v[34:35], v[42:43], v[44:45] op_sel:[0,1]
	s_nop 0
	v_pk_fma_f32 v[36:37], v[42:43], v[44:45], v[34:35] op_sel:[0,0,1] op_sel_hi:[1,1,0] neg_lo:[0,0,1] neg_hi:[0,0,1]
	v_pk_fma_f32 v[34:35], v[42:43], v[44:45], v[34:35] op_sel:[0,0,1] op_sel_hi:[1,0,0]
	s_nop 0
	v_mov_b32_e32 v37, v35
	v_pk_add_f32 v[26:27], v[26:27], v[36:37]
	ds_write_b64 v23, v[26:27]
	s_waitcnt lgkmcnt(0)
	s_barrier
	s_and_saveexec_b64 s[6:7], s[4:5]
	s_cbranch_execz .LBB115_86
; %bb.85:
	ds_read2_b64 v[34:37], v24 offset1:1
	ds_read2_b64 v[38:41], v24 offset0:2 offset1:3
	ds_read2_b64 v[42:45], v24 offset0:6 offset1:7
	s_waitcnt lgkmcnt(2)
	v_pk_add_f32 v[26:27], v[32:33], v[34:35]
	ds_read2_b64 v[32:35], v24 offset0:4 offset1:5
	v_pk_add_f32 v[26:27], v[26:27], v[36:37]
	s_waitcnt lgkmcnt(2)
	v_pk_add_f32 v[26:27], v[26:27], v[38:39]
	s_nop 0
	v_pk_add_f32 v[26:27], v[26:27], v[40:41]
	s_waitcnt lgkmcnt(0)
	v_pk_add_f32 v[26:27], v[26:27], v[32:33]
	s_nop 0
	v_pk_add_f32 v[26:27], v[26:27], v[34:35]
	s_nop 0
	;; [unrolled: 2-line block ×3, first 2 shown]
	v_pk_add_f32 v[32:33], v[26:27], v[44:45]
.LBB115_86:
	s_or_b64 exec, exec, s[6:7]
	v_pk_mul_f32 v[26:27], v[8:9], v[20:21] op_sel:[0,1]
	s_nop 0
	v_pk_fma_f32 v[34:35], v[8:9], v[20:21], v[26:27] op_sel:[0,0,1] op_sel_hi:[1,1,0] neg_lo:[0,0,1] neg_hi:[0,0,1]
	v_pk_fma_f32 v[8:9], v[8:9], v[20:21], v[26:27] op_sel:[0,0,1] op_sel_hi:[1,0,0]
	v_pk_mul_f32 v[20:21], v[10:11], v[4:5] op_sel:[0,1]
	v_mov_b32_e32 v35, v9
	v_pk_fma_f32 v[26:27], v[10:11], v[4:5], v[20:21] op_sel:[0,0,1] op_sel_hi:[1,1,0] neg_lo:[0,0,1] neg_hi:[0,0,1]
	v_pk_fma_f32 v[4:5], v[10:11], v[4:5], v[20:21] op_sel:[0,0,1] op_sel_hi:[1,0,0]
	v_pk_add_f32 v[8:9], v[34:35], 0 op_sel_hi:[1,0]
	v_mov_b32_e32 v27, v5
	v_pk_add_f32 v[4:5], v[8:9], v[26:27]
	v_pk_mul_f32 v[8:9], v[0:1], v[6:7] op_sel:[0,1]
	s_barrier
	v_pk_fma_f32 v[10:11], v[0:1], v[6:7], v[8:9] op_sel:[0,0,1] op_sel_hi:[1,1,0] neg_lo:[0,0,1] neg_hi:[0,0,1]
	v_pk_fma_f32 v[0:1], v[0:1], v[6:7], v[8:9] op_sel:[0,0,1] op_sel_hi:[1,0,0]
	s_nop 0
	v_mov_b32_e32 v11, v1
	v_pk_add_f32 v[0:1], v[4:5], v[10:11]
	v_pk_mul_f32 v[4:5], v[2:3], v[18:19] op_sel:[0,1]
	s_nop 0
	v_pk_fma_f32 v[6:7], v[2:3], v[18:19], v[4:5] op_sel:[0,0,1] op_sel_hi:[1,1,0] neg_lo:[0,0,1] neg_hi:[0,0,1]
	v_pk_fma_f32 v[2:3], v[2:3], v[18:19], v[4:5] op_sel:[0,0,1] op_sel_hi:[1,0,0]
	s_nop 0
	v_mov_b32_e32 v7, v3
	v_pk_add_f32 v[0:1], v[0:1], v[6:7]
	ds_write_b64 v23, v[0:1]
	s_waitcnt lgkmcnt(0)
	s_barrier
	s_and_saveexec_b64 s[4:5], s[0:1]
	s_cbranch_execz .LBB115_88
; %bb.87:
	ds_read2_b64 v[0:3], v24 offset1:1
	ds_read2_b64 v[4:7], v24 offset0:2 offset1:3
	ds_read2_b64 v[8:11], v24 offset0:4 offset1:5
	s_waitcnt lgkmcnt(2)
	v_pk_add_f32 v[0:1], v[32:33], v[0:1]
	s_nop 0
	v_pk_add_f32 v[18:19], v[0:1], v[2:3]
	ds_read2_b64 v[0:3], v24 offset0:6 offset1:7
	s_waitcnt lgkmcnt(2)
	v_pk_add_f32 v[4:5], v[18:19], v[4:5]
	s_nop 0
	v_pk_add_f32 v[4:5], v[4:5], v[6:7]
	s_waitcnt lgkmcnt(1)
	v_pk_add_f32 v[4:5], v[4:5], v[8:9]
	s_nop 0
	v_pk_add_f32 v[4:5], v[4:5], v[10:11]
	;; [unrolled: 4-line block ×3, first 2 shown]
.LBB115_88:
	s_or_b64 exec, exec, s[4:5]
	s_mul_hi_u32 s0, s36, s3
	s_mul_i32 s37, s37, s3
	s_add_i32 s0, s0, s37
	s_mul_i32 s3, s36, s3
	s_mul_i32 s0, s0, s33
	s_mul_hi_u32 s1, s3, s33
	s_add_i32 s1, s1, s0
	s_mul_i32 s0, s3, s33
	s_lshl_b64 s[0:1], s[0:1], 3
	s_add_u32 s3, s18, s0
	s_addc_u32 s4, s19, s1
	s_mul_hi_i32 s1, s36, s2
	s_mul_i32 s0, s36, s2
	s_lshl_b64 s[0:1], s[0:1], 3
	s_add_u32 s6, s3, s0
	s_addc_u32 s7, s4, s1
	s_add_i32 s8, s2, 1
	s_cmp_ge_u32 s8, s33
	v_lshlrev_b32_e32 v31, 3, v30
	s_barrier
	s_cbranch_scc1 .LBB115_146
; %bb.89:
	s_mul_i32 s0, s24, s35
	v_and_b32_e32 v4, 48, v30
	s_ashr_i32 s1, s0, 31
	v_and_b32_e32 v2, 15, v30
	s_lshl_b32 s4, s22, 4
	v_lshlrev_b32_e32 v5, 3, v4
	s_movk_i32 s9, 0x218
	s_lshl_b64 s[0:1], s[0:1], 3
	v_lshrrev_b32_e32 v3, 4, v22
	s_lshl_b32 s17, s35, 6
	s_ashr_i32 s5, s4, 31
	v_mad_u32_u24 v137, v2, s9, v5
	v_or_b32_e32 v5, 0x78, v31
	s_ashr_i32 s23, s22, 31
	s_lshl_b32 s18, s22, 1
	s_mul_i32 s28, s22, 3
	s_mul_i32 s35, s35, s8
	v_lshlrev_b32_e32 v134, 2, v29
	v_mov_b32_e32 v0, s1
	v_subrev_co_u32_e32 v34, vcc, s0, v12
	s_add_i32 s3, s33, -2
	v_mad_u32_u24 v138, v2, s9, v5
	v_lshlrev_b32_e32 v5, 5, v3
	s_ashr_i32 s19, s18, 31
	v_mul_i32_i24_e32 v6, 0xffffffe8, v3
	s_ashr_i32 s29, s28, 31
	s_lshl_b64 s[14:15], s[22:23], 3
	s_lshl_b32 s8, s35, 6
	v_add_u32_e32 v3, s24, v4
	s_lshl_b64 s[24:25], s[26:27], 3
	s_lshl_b64 s[10:11], s[4:5], 5
	;; [unrolled: 1-line block ×3, first 2 shown]
	v_subb_co_u32_e32 v35, vcc, v13, v0, vcc
	v_mad_u64_u32 v[0:1], s[0:1], v134, s22, v[30:31]
	v_mad_u32_u24 v139, v2, s9, v5
	v_add3_u32 v36, v3, v2, 64
	v_lshlrev_b64 v[2:3], 3, v[14:15]
	s_add_u32 s36, s30, s24
	v_ashrrev_i32_e32 v1, 31, v0
	v_sub_co_u32_e32 v38, vcc, 0, v2
	s_addc_u32 s37, s31, s25
	v_mov_b32_e32 v5, 0x2180
	v_subb_co_u32_e32 v39, vcc, 0, v3, vcc
	v_lshlrev_b64 v[2:3], 3, v[0:1]
	s_add_u32 s38, s14, s24
	v_lshl_add_u32 v143, v29, 5, v5
	v_lshl_add_u64 v[4:5], s[24:25], 0, v[2:3]
	s_addc_u32 s39, s15, s25
	s_lshl_b64 s[18:19], s[18:19], 3
	v_lshl_add_u64 v[40:41], v[16:17], 0, v[4:5]
	v_lshl_add_u64 v[4:5], s[36:37], 0, v[2:3]
	s_add_u32 s40, s24, s18
	v_lshl_add_u64 v[42:43], v[16:17], 0, v[4:5]
	v_lshl_add_u64 v[4:5], s[38:39], 0, v[2:3]
	s_addc_u32 s41, s25, s19
	s_lshl_b64 s[28:29], s[28:29], 3
	v_lshl_add_u64 v[44:45], v[16:17], 0, v[4:5]
	v_lshl_add_u64 v[4:5], s[40:41], 0, v[2:3]
	s_add_u32 s40, s24, s28
	s_addc_u32 s41, s25, s29
	v_lshl_add_u64 v[46:47], v[16:17], 0, v[4:5]
	v_lshl_add_u64 v[4:5], s[40:41], 0, v[2:3]
	s_lshl_b64 s[40:41], s[4:5], 3
	s_add_u32 s42, s24, s40
	s_addc_u32 s43, s25, s41
	s_add_u32 s38, s38, s40
	v_lshl_add_u64 v[48:49], v[16:17], 0, v[4:5]
	v_lshl_add_u64 v[4:5], s[42:43], 0, v[2:3]
	s_addc_u32 s39, s39, s41
	v_lshl_add_u64 v[50:51], v[16:17], 0, v[4:5]
	v_lshl_add_u64 v[4:5], s[38:39], 0, v[2:3]
	s_add_u32 s38, s42, s18
	s_addc_u32 s39, s43, s19
	v_lshl_add_u64 v[52:53], v[16:17], 0, v[4:5]
	v_lshl_add_u64 v[4:5], s[38:39], 0, v[2:3]
	s_add_u32 s38, s36, s40
	;; [unrolled: 4-line block ×3, first 2 shown]
	s_addc_u32 s39, s43, s29
	v_lshl_add_u64 v[56:57], v[16:17], 0, v[4:5]
	v_lshl_add_u64 v[4:5], s[38:39], 0, v[2:3]
	s_lshl_b64 s[38:39], s[4:5], 4
	s_add_u32 s24, s38, s24
	s_addc_u32 s25, s39, s25
	s_add_u32 s40, s24, s14
	v_lshl_add_u64 v[58:59], v[16:17], 0, v[4:5]
	v_lshl_add_u64 v[4:5], s[24:25], 0, v[2:3]
	s_addc_u32 s41, s25, s15
	v_lshl_add_u64 v[60:61], v[16:17], 0, v[4:5]
	v_lshl_add_u64 v[4:5], s[40:41], 0, v[2:3]
	s_add_u32 s40, s24, s18
	s_addc_u32 s41, s25, s19
	s_add_u32 s36, s36, s38
	s_addc_u32 s37, s37, s39
	s_add_u32 s24, s24, s28
	v_lshl_add_u64 v[62:63], v[16:17], 0, v[4:5]
	v_lshl_add_u64 v[4:5], s[40:41], 0, v[2:3]
	s_addc_u32 s25, s25, s29
	v_lshl_add_u64 v[0:1], s[26:27], 0, v[0:1]
	s_movk_i32 s9, 0x860
	v_lshl_add_u64 v[64:65], v[16:17], 0, v[4:5]
	v_lshl_add_u64 v[4:5], s[36:37], 0, v[2:3]
	;; [unrolled: 1-line block ×3, first 2 shown]
	v_lshlrev_b64 v[0:1], 3, v[0:1]
	v_mad_u32_u24 v144, v29, s9, v31
	v_lshl_add_u64 v[68:69], v[16:17], 0, v[2:3]
	s_mul_i32 s9, s22, 0x180
	s_mul_hi_i32 s22, s4, 24
	v_mad_i64_i32 v[2:3], s[4:5], s4, 24, v[0:1]
	s_add_u32 s4, s9, s30
	s_addc_u32 s5, s22, s31
	v_lshl_add_u64 v[66:67], v[16:17], 0, v[4:5]
	v_lshl_add_u64 v[4:5], v[2:3], 0, s[14:15]
	;; [unrolled: 1-line block ×7, first 2 shown]
	v_add_u32_e32 v135, 0x2180, v31
	v_add_u32_e32 v136, 0x2380, v31
	v_cmp_gt_u32_e64 s[0:1], 64, v22
	v_or_b32_e32 v140, 1, v134
	v_or_b32_e32 v141, 2, v134
	v_or_b32_e32 v142, 3, v134
	v_add_u32_e32 v145, 16, v134
	v_add_u32_e32 v146, 17, v134
	;; [unrolled: 1-line block ×12, first 2 shown]
	v_lshl_add_u64 v[70:71], v[16:17], 0, v[2:3]
	v_lshl_add_u64 v[74:75], v[16:17], 0, v[4:5]
	;; [unrolled: 1-line block ×3, first 2 shown]
	v_add_u32_e32 v157, v139, v6
	v_mov_b32_e32 v80, 0
	s_branch .LBB115_91
.LBB115_90:                             ;   in Loop: Header=BB115_91 Depth=1
	s_or_b64 exec, exec, s[4:5]
	v_mul_f32_e32 v0, v91, v85
	v_fma_f32 v0, v90, v84, -v0
	v_mul_f32_e32 v2, v93, v83
	v_add_f32_e32 v0, v32, v0
	v_fma_f32 v2, v92, v82, -v2
	v_add_f32_e32 v0, v0, v2
	v_mul_f32_e32 v2, v95, v87
	v_fma_f32 v2, v94, v86, -v2
	v_mul_f32_e32 v1, v91, v84
	v_add_f32_e32 v0, v0, v2
	v_mul_f32_e32 v2, v97, v89
	v_mul_f32_e32 v3, v93, v82
	v_fma_f32 v2, v96, v88, -v2
	v_fmac_f32_e32 v1, v90, v85
	v_mul_f32_e32 v4, v95, v86
	v_add_f32_e32 v0, v0, v2
	v_add_f32_e32 v1, v33, v1
	v_fmac_f32_e32 v3, v92, v83
	v_mul_f32_e32 v2, v107, v101
	v_mul_f32_e32 v5, v97, v88
	v_add_f32_e32 v1, v1, v3
	v_fmac_f32_e32 v4, v94, v87
	v_fma_f32 v2, v106, v100, -v2
	v_add_f32_e32 v1, v1, v4
	v_fmac_f32_e32 v5, v96, v89
	v_mul_f32_e32 v6, v107, v100
	v_add_f32_e32 v0, v0, v2
	v_mul_f32_e32 v2, v109, v99
	v_add_f32_e32 v1, v1, v5
	v_fma_f32 v2, v108, v98, -v2
	v_mul_f32_e32 v7, v109, v98
	v_fmac_f32_e32 v6, v106, v101
	v_add_f32_e32 v0, v0, v2
	v_mul_f32_e32 v2, v111, v103
	v_mul_f32_e32 v3, v111, v102
	v_add_f32_e32 v1, v1, v6
	v_fmac_f32_e32 v7, v108, v99
	v_fma_f32 v2, v110, v102, -v2
	v_add_f32_e32 v1, v1, v7
	v_fmac_f32_e32 v3, v110, v103
	v_mul_f32_e32 v4, v113, v105
	v_mul_f32_e32 v5, v113, v104
	v_pk_add_f32 v[0:1], v[0:1], v[2:3]
	v_mov_b32_e32 v2, v117
	v_fma_f32 v4, v112, v104, -v4
	v_fmac_f32_e32 v5, v112, v105
	v_pk_mul_f32 v[2:3], v[122:123], v[2:3] op_sel_hi:[1,0]
	v_pk_add_f32 v[0:1], v[0:1], v[4:5]
	v_pk_fma_f32 v[4:5], v[122:123], v[116:117], v[2:3] op_sel:[0,0,1] op_sel_hi:[1,1,0] neg_lo:[0,0,1] neg_hi:[0,0,1]
	v_pk_fma_f32 v[2:3], v[122:123], v[116:117], v[2:3] op_sel:[0,0,1] op_sel_hi:[1,0,0]
	s_add_i32 s4, s2, 1
	v_mov_b32_e32 v2, v115
	v_mov_b32_e32 v5, v3
	v_pk_mul_f32 v[2:3], v[8:9], v[2:3] op_sel_hi:[1,0]
	v_pk_add_f32 v[0:1], v[0:1], v[4:5]
	v_pk_fma_f32 v[4:5], v[8:9], v[114:115], v[2:3] op_sel:[0,0,1] op_sel_hi:[1,1,0] neg_lo:[0,0,1] neg_hi:[0,0,1]
	v_pk_fma_f32 v[2:3], v[8:9], v[114:115], v[2:3] op_sel:[0,0,1] op_sel_hi:[1,0,0]
	s_add_i32 s8, s8, s17
	v_mov_b32_e32 v2, v119
	v_mov_b32_e32 v5, v3
	;; [unrolled: 7-line block ×3, first 2 shown]
	v_pk_mul_f32 v[2:3], v[126:127], v[2:3] op_sel_hi:[1,0]
	v_pk_add_f32 v[0:1], v[0:1], v[4:5]
	v_pk_fma_f32 v[4:5], v[126:127], v[120:121], v[2:3] op_sel:[0,0,1] op_sel_hi:[1,1,0] neg_lo:[0,0,1] neg_hi:[0,0,1]
	v_pk_fma_f32 v[2:3], v[126:127], v[120:121], v[2:3] op_sel:[0,0,1] op_sel_hi:[1,0,0]
	v_add_u32_e32 v36, 64, v36
	v_mov_b32_e32 v2, v129
	v_mov_b32_e32 v5, v3
	v_pk_mul_f32 v[2:3], v[16:17], v[2:3] op_sel_hi:[1,0]
	v_pk_add_f32 v[0:1], v[0:1], v[4:5]
	v_pk_fma_f32 v[4:5], v[16:17], v[128:129], v[2:3] op_sel:[0,0,1] op_sel_hi:[1,1,0] neg_lo:[0,0,1] neg_hi:[0,0,1]
	v_pk_fma_f32 v[2:3], v[16:17], v[128:129], v[2:3] op_sel:[0,0,1] op_sel_hi:[1,0,0]
	v_lshl_add_u64 v[40:41], v[40:41], 0, s[10:11]
	v_mov_b32_e32 v2, v125
	v_mov_b32_e32 v5, v3
	v_pk_mul_f32 v[2:3], v[18:19], v[2:3] op_sel_hi:[1,0]
	v_pk_add_f32 v[0:1], v[0:1], v[4:5]
	v_pk_fma_f32 v[6:7], v[18:19], v[124:125], v[2:3] op_sel:[0,0,1] op_sel_hi:[1,1,0] neg_lo:[0,0,1] neg_hi:[0,0,1]
	v_pk_fma_f32 v[2:3], v[18:19], v[124:125], v[2:3] op_sel:[0,0,1] op_sel_hi:[1,0,0]
	v_lshl_add_u64 v[42:43], v[42:43], 0, s[10:11]
	;; [unrolled: 7-line block ×4, first 2 shown]
	v_mov_b32_e32 v11, v3
	v_pk_add_f32 v[32:33], v[0:1], v[10:11]
	v_lshl_add_u64 v[48:49], v[48:49], 0, s[10:11]
	v_lshl_add_u64 v[50:51], v[50:51], 0, s[10:11]
	;; [unrolled: 1-line block ×16, first 2 shown]
	s_cmp_ge_u32 s2, s33
	s_mov_b32 s2, s4
	s_barrier
	s_cbranch_scc1 .LBB115_146
.LBB115_91:                             ; =>This Inner Loop Header: Depth=1
	s_cmp_eq_u32 s3, s2
	s_cselect_b32 s26, s34, 0
	s_and_saveexec_b64 s[4:5], s[12:13]
	s_cbranch_execz .LBB115_96
; %bb.92:                               ;   in Loop: Header=BB115_91 Depth=1
	s_cmp_lg_u32 s26, 0
	s_cselect_b64 s[14:15], -1, 0
	v_cmp_le_i32_e32 vcc, s26, v30
	s_and_b64 s[14:15], s[14:15], vcc
	s_and_saveexec_b64 s[18:19], s[14:15]
	s_xor_b64 s[14:15], exec, s[18:19]
	s_cbranch_execz .LBB115_94
; %bb.93:                               ;   in Loop: Header=BB115_91 Depth=1
	v_mov_b32_e32 v81, v80
	ds_write_b64 v135, v[80:81]
.LBB115_94:                             ;   in Loop: Header=BB115_91 Depth=1
	s_andn2_saveexec_b64 s[14:15], s[14:15]
	s_cbranch_execz .LBB115_96
; %bb.95:                               ;   in Loop: Header=BB115_91 Depth=1
	s_ashr_i32 s9, s8, 31
	v_lshl_add_u64 v[0:1], s[8:9], 3, v[34:35]
	global_load_dwordx2 v[0:1], v[0:1], off
	s_waitcnt vmcnt(0)
	ds_write_b64 v135, v[0:1]
.LBB115_96:                             ;   in Loop: Header=BB115_91 Depth=1
	s_or_b64 exec, exec, s[4:5]
	s_cmp_eq_u32 s26, 0
	s_cselect_b64 s[14:15], -1, 0
	s_cmp_lg_u32 s26, 0
	s_cselect_b64 s[18:19], -1, 0
	v_lshl_add_u64 v[0:1], v[40:41], 0, v[38:39]
	s_and_b64 vcc, exec, s[18:19]
	s_waitcnt lgkmcnt(0)
	s_barrier
	s_cbranch_vccz .LBB115_104
; %bb.97:                               ;   in Loop: Header=BB115_91 Depth=1
	v_mov_b64_e32 v[82:83], 0
	v_cmp_gt_i32_e32 vcc, s26, v134
	v_mov_b64_e32 v[84:85], v[82:83]
	s_and_saveexec_b64 s[4:5], vcc
	s_cbranch_execz .LBB115_99
; %bb.98:                               ;   in Loop: Header=BB115_91 Depth=1
	global_load_dwordx2 v[84:85], v[0:1], off
.LBB115_99:                             ;   in Loop: Header=BB115_91 Depth=1
	s_or_b64 exec, exec, s[4:5]
	v_cmp_gt_i32_e32 vcc, s26, v140
	s_and_saveexec_b64 s[4:5], vcc
	s_cbranch_execz .LBB115_101
; %bb.100:                              ;   in Loop: Header=BB115_91 Depth=1
	v_lshl_add_u64 v[2:3], v[44:45], 0, v[38:39]
	global_load_dwordx2 v[82:83], v[2:3], off
.LBB115_101:                            ;   in Loop: Header=BB115_91 Depth=1
	s_or_b64 exec, exec, s[4:5]
	v_cmp_gt_i32_e32 vcc, s26, v141
	v_mov_b64_e32 v[86:87], 0
	s_and_saveexec_b64 s[4:5], vcc
	s_cbranch_execz .LBB115_103
; %bb.102:                              ;   in Loop: Header=BB115_91 Depth=1
	v_lshl_add_u64 v[2:3], v[46:47], 0, v[38:39]
	global_load_dwordx2 v[86:87], v[2:3], off
.LBB115_103:                            ;   in Loop: Header=BB115_91 Depth=1
	s_or_b64 exec, exec, s[4:5]
	v_cmp_gt_i32_e64 s[4:5], s26, v142
	s_mov_b64 s[22:23], 0
	s_branch .LBB115_106
.LBB115_104:                            ;   in Loop: Header=BB115_91 Depth=1
	s_mov_b64 s[4:5], 0
                                        ; implicit-def: $sgpr22_sgpr23
                                        ; implicit-def: $vgpr86_vgpr87
                                        ; implicit-def: $vgpr82_vgpr83
                                        ; implicit-def: $vgpr84_vgpr85
	s_cbranch_execz .LBB115_106
; %bb.105:                              ;   in Loop: Header=BB115_91 Depth=1
	global_load_dwordx2 v[84:85], v[0:1], off
	v_lshl_add_u64 v[0:1], v[44:45], 0, v[38:39]
	global_load_dwordx2 v[82:83], v[0:1], off
	v_lshl_add_u64 v[0:1], v[42:43], 0, v[38:39]
	global_load_dwordx2 v[86:87], v[0:1], off
	s_or_b64 s[4:5], s[4:5], exec
                                        ; implicit-def: $sgpr22_sgpr23
.LBB115_106:                            ;   in Loop: Header=BB115_91 Depth=1
	v_mov_b64_e32 v[88:89], s[22:23]
	s_and_saveexec_b64 s[22:23], s[4:5]
	s_cbranch_execz .LBB115_108
; %bb.107:                              ;   in Loop: Header=BB115_91 Depth=1
	v_lshl_add_u64 v[0:1], v[48:49], 0, v[38:39]
	global_load_dwordx2 v[88:89], v[0:1], off
.LBB115_108:                            ;   in Loop: Header=BB115_91 Depth=1
	s_or_b64 exec, exec, s[22:23]
	ds_read_b64 v[0:1], v136
	ds_read_b64 v[90:91], v143
	v_cndmask_b32_e64 v8, 0, 1, s[18:19]
	v_cmp_ne_u32_e64 s[4:5], 1, v8
	s_andn2_b64 vcc, exec, s[18:19]
	s_waitcnt vmcnt(0) lgkmcnt(1)
	v_mul_f32_e32 v2, v1, v85
	v_mul_f32_e32 v3, v1, v84
	v_fma_f32 v2, v0, v84, -v2
	v_fmac_f32_e32 v3, v0, v85
	v_mul_f32_e32 v4, v1, v83
	ds_write_b64 v144, v[2:3]
	v_mul_f32_e32 v3, v1, v82
	v_fma_f32 v2, v0, v82, -v4
	v_fmac_f32_e32 v3, v0, v83
	ds_read_b64 v[92:93], v143 offset:8
	ds_write_b64 v144, v[2:3] offset:536
	v_mul_f32_e32 v2, v1, v87
	v_mul_f32_e32 v3, v1, v86
	v_fma_f32 v2, v0, v86, -v2
	v_fmac_f32_e32 v3, v0, v87
	ds_read_b64 v[94:95], v143 offset:16
	ds_write_b64 v144, v[2:3] offset:1072
	v_mul_f32_e32 v2, v1, v89
	v_mul_f32_e32 v3, v0, v89
	v_fma_f32 v2, v0, v88, -v2
	v_fmac_f32_e32 v3, v1, v88
	ds_read_b64 v[96:97], v143 offset:24
	ds_write_b64 v144, v[2:3] offset:1608
	s_waitcnt lgkmcnt(0)
	s_barrier
	ds_read2_b64 v[4:7], v139 offset1:1
	ds_read2_b64 v[0:3], v139 offset0:2 offset1:3
	v_lshl_add_u64 v[8:9], v[50:51], 0, v[38:39]
	s_waitcnt lgkmcnt(0)
	s_barrier
	s_cbranch_vccnz .LBB115_116
; %bb.109:                              ;   in Loop: Header=BB115_91 Depth=1
	v_mov_b64_e32 v[98:99], 0
	v_cmp_gt_i32_e32 vcc, s26, v145
	v_mov_b64_e32 v[100:101], v[98:99]
	s_and_saveexec_b64 s[18:19], vcc
	s_cbranch_execz .LBB115_111
; %bb.110:                              ;   in Loop: Header=BB115_91 Depth=1
	global_load_dwordx2 v[100:101], v[8:9], off
.LBB115_111:                            ;   in Loop: Header=BB115_91 Depth=1
	s_or_b64 exec, exec, s[18:19]
	v_cmp_gt_i32_e32 vcc, s26, v146
	s_and_saveexec_b64 s[18:19], vcc
	s_cbranch_execz .LBB115_113
; %bb.112:                              ;   in Loop: Header=BB115_91 Depth=1
	v_lshl_add_u64 v[10:11], v[52:53], 0, v[38:39]
	global_load_dwordx2 v[98:99], v[10:11], off
.LBB115_113:                            ;   in Loop: Header=BB115_91 Depth=1
	s_or_b64 exec, exec, s[18:19]
	v_cmp_gt_i32_e32 vcc, s26, v147
	v_mov_b64_e32 v[102:103], 0
	s_and_saveexec_b64 s[18:19], vcc
	s_cbranch_execz .LBB115_115
; %bb.114:                              ;   in Loop: Header=BB115_91 Depth=1
	v_lshl_add_u64 v[10:11], v[54:55], 0, v[38:39]
	global_load_dwordx2 v[102:103], v[10:11], off
.LBB115_115:                            ;   in Loop: Header=BB115_91 Depth=1
	s_or_b64 exec, exec, s[18:19]
	v_cmp_gt_i32_e64 s[18:19], s26, v148
	s_mov_b64 s[22:23], 0
	s_branch .LBB115_118
.LBB115_116:                            ;   in Loop: Header=BB115_91 Depth=1
	s_mov_b64 s[18:19], 0
                                        ; implicit-def: $sgpr22_sgpr23
                                        ; implicit-def: $vgpr102_vgpr103
                                        ; implicit-def: $vgpr98_vgpr99
                                        ; implicit-def: $vgpr100_vgpr101
	s_cbranch_execz .LBB115_118
; %bb.117:                              ;   in Loop: Header=BB115_91 Depth=1
	global_load_dwordx2 v[100:101], v[8:9], off
	v_lshl_add_u64 v[8:9], v[52:53], 0, v[38:39]
	global_load_dwordx2 v[98:99], v[8:9], off
	v_lshl_add_u64 v[8:9], v[56:57], 0, v[38:39]
	global_load_dwordx2 v[102:103], v[8:9], off
	s_or_b64 s[18:19], s[18:19], exec
                                        ; implicit-def: $sgpr22_sgpr23
.LBB115_118:                            ;   in Loop: Header=BB115_91 Depth=1
	v_mov_b64_e32 v[104:105], s[22:23]
	s_and_saveexec_b64 s[22:23], s[18:19]
	s_cbranch_execz .LBB115_120
; %bb.119:                              ;   in Loop: Header=BB115_91 Depth=1
	v_lshl_add_u64 v[8:9], v[58:59], 0, v[38:39]
	global_load_dwordx2 v[104:105], v[8:9], off
.LBB115_120:                            ;   in Loop: Header=BB115_91 Depth=1
	s_or_b64 exec, exec, s[22:23]
	ds_read_b64 v[8:9], v136
	ds_read_b64 v[106:107], v143 offset:128
	s_and_b64 vcc, exec, s[4:5]
	s_waitcnt vmcnt(0) lgkmcnt(1)
	v_mul_f32_e32 v10, v9, v101
	v_mul_f32_e32 v11, v9, v100
	v_fma_f32 v10, v8, v100, -v10
	v_fmac_f32_e32 v11, v8, v101
	v_mul_f32_e32 v12, v9, v99
	ds_write_b64 v144, v[10:11]
	v_mul_f32_e32 v11, v9, v98
	v_fma_f32 v10, v8, v98, -v12
	v_fmac_f32_e32 v11, v8, v99
	ds_read_b64 v[108:109], v143 offset:136
	ds_write_b64 v144, v[10:11] offset:536
	v_mul_f32_e32 v10, v9, v103
	v_mul_f32_e32 v11, v9, v102
	v_fma_f32 v10, v8, v102, -v10
	v_fmac_f32_e32 v11, v8, v103
	ds_read_b64 v[110:111], v143 offset:144
	ds_write_b64 v144, v[10:11] offset:1072
	v_mul_f32_e32 v10, v9, v105
	v_mul_f32_e32 v11, v8, v105
	v_fma_f32 v10, v8, v104, -v10
	v_fmac_f32_e32 v11, v9, v104
	ds_read_b64 v[112:113], v143 offset:152
	ds_write_b64 v144, v[10:11] offset:1608
	s_waitcnt lgkmcnt(0)
	s_barrier
	ds_read2_b64 v[16:19], v139 offset1:1
	ds_read2_b64 v[12:15], v139 offset0:2 offset1:3
	v_lshl_add_u64 v[8:9], v[60:61], 0, v[38:39]
	s_waitcnt lgkmcnt(0)
	s_barrier
	s_cbranch_vccnz .LBB115_128
; %bb.121:                              ;   in Loop: Header=BB115_91 Depth=1
	v_mov_b64_e32 v[114:115], 0
	v_cmp_gt_i32_e32 vcc, s26, v149
	v_mov_b64_e32 v[116:117], v[114:115]
	s_and_saveexec_b64 s[18:19], vcc
	s_cbranch_execz .LBB115_123
; %bb.122:                              ;   in Loop: Header=BB115_91 Depth=1
	global_load_dwordx2 v[116:117], v[8:9], off
.LBB115_123:                            ;   in Loop: Header=BB115_91 Depth=1
	s_or_b64 exec, exec, s[18:19]
	v_cmp_gt_i32_e32 vcc, s26, v150
	s_and_saveexec_b64 s[18:19], vcc
	s_cbranch_execz .LBB115_125
; %bb.124:                              ;   in Loop: Header=BB115_91 Depth=1
	v_lshl_add_u64 v[10:11], v[62:63], 0, v[38:39]
	global_load_dwordx2 v[114:115], v[10:11], off
.LBB115_125:                            ;   in Loop: Header=BB115_91 Depth=1
	s_or_b64 exec, exec, s[18:19]
	v_cmp_gt_i32_e32 vcc, s26, v151
	v_mov_b64_e32 v[118:119], 0
	s_and_saveexec_b64 s[18:19], vcc
	s_cbranch_execz .LBB115_127
; %bb.126:                              ;   in Loop: Header=BB115_91 Depth=1
	v_lshl_add_u64 v[10:11], v[64:65], 0, v[38:39]
	global_load_dwordx2 v[118:119], v[10:11], off
.LBB115_127:                            ;   in Loop: Header=BB115_91 Depth=1
	s_or_b64 exec, exec, s[18:19]
	v_cmp_gt_i32_e64 s[18:19], s26, v152
	s_mov_b64 s[22:23], 0
	s_branch .LBB115_130
.LBB115_128:                            ;   in Loop: Header=BB115_91 Depth=1
	s_mov_b64 s[18:19], 0
                                        ; implicit-def: $sgpr22_sgpr23
                                        ; implicit-def: $vgpr118_vgpr119
                                        ; implicit-def: $vgpr114_vgpr115
                                        ; implicit-def: $vgpr116_vgpr117
	s_cbranch_execz .LBB115_130
; %bb.129:                              ;   in Loop: Header=BB115_91 Depth=1
	global_load_dwordx2 v[116:117], v[8:9], off
	v_lshl_add_u64 v[8:9], v[62:63], 0, v[38:39]
	global_load_dwordx2 v[114:115], v[8:9], off
	v_lshl_add_u64 v[8:9], v[66:67], 0, v[38:39]
	global_load_dwordx2 v[118:119], v[8:9], off
	s_or_b64 s[18:19], s[18:19], exec
                                        ; implicit-def: $sgpr22_sgpr23
.LBB115_130:                            ;   in Loop: Header=BB115_91 Depth=1
	v_mov_b64_e32 v[120:121], s[22:23]
	s_and_saveexec_b64 s[22:23], s[18:19]
	s_cbranch_execz .LBB115_132
; %bb.131:                              ;   in Loop: Header=BB115_91 Depth=1
	v_lshl_add_u64 v[8:9], v[68:69], 0, v[38:39]
	global_load_dwordx2 v[120:121], v[8:9], off
.LBB115_132:                            ;   in Loop: Header=BB115_91 Depth=1
	s_or_b64 exec, exec, s[22:23]
	ds_read_b64 v[8:9], v136
	ds_read_b64 v[122:123], v143 offset:256
	s_and_b64 vcc, exec, s[4:5]
	v_lshl_add_u64 v[132:133], v[70:71], 0, v[38:39]
	s_waitcnt vmcnt(0) lgkmcnt(1)
	v_mul_f32_e32 v10, v9, v117
	v_mul_f32_e32 v11, v9, v116
	;; [unrolled: 1-line block ×4, first 2 shown]
	v_fma_f32 v10, v8, v116, -v10
	v_fmac_f32_e32 v11, v8, v117
	v_fma_f32 v20, v8, v114, -v20
	v_fmac_f32_e32 v21, v8, v115
	ds_write2_b64 v144, v[10:11], v[20:21] offset1:67
	v_mul_f32_e32 v10, v9, v119
	v_mul_f32_e32 v11, v9, v118
	;; [unrolled: 1-line block ×4, first 2 shown]
	v_fma_f32 v10, v8, v118, -v10
	v_fmac_f32_e32 v11, v8, v119
	v_fma_f32 v20, v8, v120, -v20
	v_fmac_f32_e32 v21, v9, v120
	ds_write2_b64 v144, v[10:11], v[20:21] offset0:134 offset1:201
	ds_read2_b64 v[8:11], v143 offset0:33 offset1:34
	ds_read_b64 v[126:127], v143 offset:280
	s_waitcnt lgkmcnt(0)
	s_barrier
	ds_read2_b64 v[24:27], v139 offset1:1
	ds_read2_b64 v[20:23], v139 offset0:2 offset1:3
	s_waitcnt lgkmcnt(0)
	s_barrier
	s_cbranch_vccnz .LBB115_140
; %bb.133:                              ;   in Loop: Header=BB115_91 Depth=1
	v_mov_b64_e32 v[124:125], 0
	v_cmp_gt_i32_e32 vcc, s26, v153
	v_mov_b64_e32 v[128:129], v[124:125]
	s_and_saveexec_b64 s[4:5], vcc
	s_cbranch_execz .LBB115_135
; %bb.134:                              ;   in Loop: Header=BB115_91 Depth=1
	global_load_dwordx2 v[128:129], v[132:133], off
.LBB115_135:                            ;   in Loop: Header=BB115_91 Depth=1
	s_or_b64 exec, exec, s[4:5]
	v_cmp_gt_i32_e32 vcc, s26, v154
	s_and_saveexec_b64 s[4:5], vcc
	s_cbranch_execz .LBB115_137
; %bb.136:                              ;   in Loop: Header=BB115_91 Depth=1
	v_lshl_add_u64 v[124:125], v[72:73], 0, v[38:39]
	global_load_dwordx2 v[124:125], v[124:125], off
.LBB115_137:                            ;   in Loop: Header=BB115_91 Depth=1
	s_or_b64 exec, exec, s[4:5]
	v_cmp_gt_i32_e32 vcc, s26, v155
	v_mov_b64_e32 v[130:131], 0
	s_and_saveexec_b64 s[4:5], vcc
	s_cbranch_execz .LBB115_139
; %bb.138:                              ;   in Loop: Header=BB115_91 Depth=1
	v_lshl_add_u64 v[130:131], v[74:75], 0, v[38:39]
	global_load_dwordx2 v[130:131], v[130:131], off
.LBB115_139:                            ;   in Loop: Header=BB115_91 Depth=1
	s_or_b64 exec, exec, s[4:5]
	v_cmp_gt_i32_e64 s[4:5], s26, v156
	s_mov_b64 s[18:19], 0
	s_branch .LBB115_142
.LBB115_140:                            ;   in Loop: Header=BB115_91 Depth=1
	s_mov_b64 s[4:5], 0
                                        ; implicit-def: $sgpr18_sgpr19
                                        ; implicit-def: $vgpr130_vgpr131
                                        ; implicit-def: $vgpr124_vgpr125
                                        ; implicit-def: $vgpr128_vgpr129
	s_cbranch_execz .LBB115_142
; %bb.141:                              ;   in Loop: Header=BB115_91 Depth=1
	s_waitcnt vmcnt(0)
	v_lshl_add_u64 v[124:125], v[72:73], 0, v[38:39]
	v_lshl_add_u64 v[130:131], v[76:77], 0, v[38:39]
	global_load_dwordx2 v[128:129], v[132:133], off
	s_or_b64 s[4:5], s[4:5], exec
	global_load_dwordx2 v[124:125], v[124:125], off
                                        ; implicit-def: $sgpr18_sgpr19
	s_nop 0
	global_load_dwordx2 v[130:131], v[130:131], off
.LBB115_142:                            ;   in Loop: Header=BB115_91 Depth=1
	v_mov_b64_e32 v[132:133], s[18:19]
	s_and_saveexec_b64 s[18:19], s[4:5]
	s_cbranch_execz .LBB115_144
; %bb.143:                              ;   in Loop: Header=BB115_91 Depth=1
	v_lshl_add_u64 v[132:133], v[78:79], 0, v[38:39]
	global_load_dwordx2 v[132:133], v[132:133], off
.LBB115_144:                            ;   in Loop: Header=BB115_91 Depth=1
	s_or_b64 exec, exec, s[18:19]
	v_pk_add_f32 v[24:25], v[24:25], 0 op_sel_hi:[1,0]
	v_pk_add_f32 v[16:17], v[16:17], 0 op_sel_hi:[1,0]
	v_pk_add_f32 v[24:25], v[24:25], v[26:27]
	v_pk_add_f32 v[16:17], v[16:17], v[18:19]
	;; [unrolled: 1-line block ×5, first 2 shown]
	ds_read_b64 v[20:21], v136
	v_pk_add_f32 v[26:27], v[12:13], v[14:15]
	v_pk_add_f32 v[4:5], v[4:5], 0 op_sel_hi:[1,0]
	v_cmp_gt_i32_e32 vcc, s26, v30
	v_pk_add_f32 v[158:159], v[4:5], v[6:7]
	s_waitcnt vmcnt(0) lgkmcnt(0)
	v_mul_f32_e32 v12, v21, v129
	v_mul_f32_e32 v13, v21, v128
	;; [unrolled: 1-line block ×4, first 2 shown]
	v_fma_f32 v12, v20, v128, -v12
	v_fmac_f32_e32 v13, v20, v129
	v_fma_f32 v14, v20, v124, -v14
	v_fmac_f32_e32 v15, v20, v125
	ds_write2_b64 v144, v[12:13], v[14:15] offset1:67
	v_mul_f32_e32 v12, v21, v131
	v_mul_f32_e32 v13, v21, v130
	;; [unrolled: 1-line block ×4, first 2 shown]
	v_fma_f32 v12, v20, v130, -v12
	v_fmac_f32_e32 v13, v20, v131
	v_fma_f32 v14, v20, v132, -v14
	v_fmac_f32_e32 v15, v21, v132
	ds_write2_b64 v144, v[12:13], v[14:15] offset0:134 offset1:201
	ds_read_b128 v[16:19], v143 offset:384
	ds_read_b128 v[12:15], v143 offset:400
	s_waitcnt lgkmcnt(0)
	s_barrier
	ds_read2_b64 v[20:23], v139 offset1:1
	ds_read2_b64 v[4:7], v139 offset0:2 offset1:3
	v_pk_add_f32 v[0:1], v[158:159], v[0:1]
	s_or_b64 s[4:5], s[14:15], vcc
	v_pk_add_f32 v[0:1], v[0:1], v[2:3]
	s_waitcnt lgkmcnt(1)
	v_pk_add_f32 v[2:3], v[20:21], 0 op_sel_hi:[1,0]
	s_and_b64 s[14:15], s[0:1], s[4:5]
	v_pk_add_f32 v[2:3], v[2:3], v[22:23]
	s_waitcnt lgkmcnt(0)
	v_pk_add_f32 v[2:3], v[2:3], v[4:5]
	s_barrier
	v_pk_add_f32 v[2:3], v[2:3], v[6:7]
	ds_write2_b64 v157, v[0:1], v[26:27] offset1:16
	ds_write2_b64 v157, v[24:25], v[2:3] offset0:32 offset1:48
	s_waitcnt lgkmcnt(0)
	s_barrier
	s_and_saveexec_b64 s[4:5], s[14:15]
	s_cbranch_execz .LBB115_90
; %bb.145:                              ;   in Loop: Header=BB115_91 Depth=1
	ds_read_b64 v[20:21], v137
	ds_read2_b64 v[0:3], v137 offset0:1 offset1:2
	ds_read2_b64 v[4:7], v137 offset0:3 offset1:4
	v_ashrrev_i32_e32 v37, 31, v36
	v_lshl_add_u64 v[24:25], v[36:37], 3, s[6:7]
	s_waitcnt lgkmcnt(1)
	v_add_f32_e32 v0, v0, v20
	v_add_f32_e32 v1, v1, v21
	;; [unrolled: 1-line block ×4, first 2 shown]
	ds_read2_b64 v[0:3], v137 offset0:5 offset1:6
	s_waitcnt lgkmcnt(1)
	v_add_f32_e32 v4, v20, v4
	v_add_f32_e32 v5, v21, v5
	;; [unrolled: 1-line block ×4, first 2 shown]
	ds_read2_b64 v[4:7], v137 offset0:7 offset1:8
	s_waitcnt lgkmcnt(1)
	v_pk_add_f32 v[0:1], v[20:21], v[0:1]
	ds_read2_b64 v[20:23], v137 offset0:9 offset1:10
	v_pk_add_f32 v[0:1], v[0:1], v[2:3]
	s_waitcnt lgkmcnt(1)
	v_pk_add_f32 v[0:1], v[0:1], v[4:5]
	s_nop 0
	v_pk_add_f32 v[4:5], v[0:1], v[6:7]
	ds_read2_b64 v[0:3], v137 offset0:11 offset1:12
	s_waitcnt lgkmcnt(1)
	v_pk_add_f32 v[20:21], v[4:5], v[20:21]
	ds_read2_b64 v[4:7], v137 offset0:13 offset1:14
	v_pk_add_f32 v[20:21], v[20:21], v[22:23]
	ds_read_b64 v[22:23], v138
	s_waitcnt lgkmcnt(2)
	v_pk_add_f32 v[0:1], v[20:21], v[0:1]
	s_nop 0
	v_pk_add_f32 v[0:1], v[0:1], v[2:3]
	s_waitcnt lgkmcnt(1)
	v_pk_add_f32 v[0:1], v[0:1], v[4:5]
	s_nop 0
	v_pk_add_f32 v[0:1], v[0:1], v[6:7]
	s_waitcnt lgkmcnt(0)
	v_pk_add_f32 v[0:1], v[0:1], v[22:23]
	global_store_dwordx2 v[24:25], v[0:1], off
	s_branch .LBB115_90
.LBB115_146:
	s_movk_i32 s0, 0x218
	v_cmp_gt_i32_e32 vcc, s16, v30
	v_mad_u32_u24 v0, v29, s0, v31
	s_or_b64 s[0:1], s[20:21], vcc
	s_and_b64 s[0:1], s[12:13], s[0:1]
	ds_write_b64 v0, v[32:33]
	s_waitcnt lgkmcnt(0)
	s_barrier
	s_and_saveexec_b64 s[2:3], s[0:1]
	s_cbranch_execz .LBB115_148
; %bb.147:
	ds_read2_b64 v[0:3], v31 offset1:67
	ds_read2_b64 v[4:7], v31 offset0:134 offset1:201
	v_ashrrev_i32_e32 v29, 31, v28
	v_lshl_add_u64 v[8:9], v[28:29], 3, s[6:7]
	s_waitcnt lgkmcnt(1)
	v_pk_add_f32 v[0:1], v[2:3], v[0:1]
	s_waitcnt lgkmcnt(0)
	v_pk_add_f32 v[0:1], v[0:1], v[4:5]
	s_nop 0
	v_pk_add_f32 v[0:1], v[0:1], v[6:7]
	global_store_dwordx2 v[8:9], v[0:1], off
.LBB115_148:
	s_endpgm
	.section	.rodata,"a",@progbits
	.p2align	6, 0x0
	.amdhsa_kernel _ZL26rocblas_hemvn_kernel_upperILb0ELi64ELi4ELi33ELi32ELi16EiPK19rocblas_complex_numIfES3_PS1_EviT6_lT7_lT5_lS6_lS7_lS5_lT8_i
		.amdhsa_group_segment_fixed_size 9600
		.amdhsa_private_segment_fixed_size 0
		.amdhsa_kernarg_size 376
		.amdhsa_user_sgpr_count 2
		.amdhsa_user_sgpr_dispatch_ptr 0
		.amdhsa_user_sgpr_queue_ptr 0
		.amdhsa_user_sgpr_kernarg_segment_ptr 1
		.amdhsa_user_sgpr_dispatch_id 0
		.amdhsa_user_sgpr_kernarg_preload_length 0
		.amdhsa_user_sgpr_kernarg_preload_offset 0
		.amdhsa_user_sgpr_private_segment_size 0
		.amdhsa_uses_dynamic_stack 0
		.amdhsa_enable_private_segment 0
		.amdhsa_system_sgpr_workgroup_id_x 1
		.amdhsa_system_sgpr_workgroup_id_y 0
		.amdhsa_system_sgpr_workgroup_id_z 1
		.amdhsa_system_sgpr_workgroup_info 0
		.amdhsa_system_vgpr_workitem_id 1
		.amdhsa_next_free_vgpr 160
		.amdhsa_next_free_sgpr 44
		.amdhsa_accum_offset 160
		.amdhsa_reserve_vcc 1
		.amdhsa_float_round_mode_32 0
		.amdhsa_float_round_mode_16_64 0
		.amdhsa_float_denorm_mode_32 3
		.amdhsa_float_denorm_mode_16_64 3
		.amdhsa_dx10_clamp 1
		.amdhsa_ieee_mode 1
		.amdhsa_fp16_overflow 0
		.amdhsa_tg_split 0
		.amdhsa_exception_fp_ieee_invalid_op 0
		.amdhsa_exception_fp_denorm_src 0
		.amdhsa_exception_fp_ieee_div_zero 0
		.amdhsa_exception_fp_ieee_overflow 0
		.amdhsa_exception_fp_ieee_underflow 0
		.amdhsa_exception_fp_ieee_inexact 0
		.amdhsa_exception_int_div_zero 0
	.end_amdhsa_kernel
	.section	.text._ZL26rocblas_hemvn_kernel_upperILb0ELi64ELi4ELi33ELi32ELi16EiPK19rocblas_complex_numIfES3_PS1_EviT6_lT7_lT5_lS6_lS7_lS5_lT8_i,"axG",@progbits,_ZL26rocblas_hemvn_kernel_upperILb0ELi64ELi4ELi33ELi32ELi16EiPK19rocblas_complex_numIfES3_PS1_EviT6_lT7_lT5_lS6_lS7_lS5_lT8_i,comdat
.Lfunc_end115:
	.size	_ZL26rocblas_hemvn_kernel_upperILb0ELi64ELi4ELi33ELi32ELi16EiPK19rocblas_complex_numIfES3_PS1_EviT6_lT7_lT5_lS6_lS7_lS5_lT8_i, .Lfunc_end115-_ZL26rocblas_hemvn_kernel_upperILb0ELi64ELi4ELi33ELi32ELi16EiPK19rocblas_complex_numIfES3_PS1_EviT6_lT7_lT5_lS6_lS7_lS5_lT8_i
                                        ; -- End function
	.section	.AMDGPU.csdata,"",@progbits
; Kernel info:
; codeLenInByte = 8376
; NumSgprs: 50
; NumVgprs: 160
; NumAgprs: 0
; TotalNumVgprs: 160
; ScratchSize: 0
; MemoryBound: 1
; FloatMode: 240
; IeeeMode: 1
; LDSByteSize: 9600 bytes/workgroup (compile time only)
; SGPRBlocks: 6
; VGPRBlocks: 19
; NumSGPRsForWavesPerEU: 50
; NumVGPRsForWavesPerEU: 160
; AccumOffset: 160
; Occupancy: 3
; WaveLimiterHint : 1
; COMPUTE_PGM_RSRC2:SCRATCH_EN: 0
; COMPUTE_PGM_RSRC2:USER_SGPR: 2
; COMPUTE_PGM_RSRC2:TRAP_HANDLER: 0
; COMPUTE_PGM_RSRC2:TGID_X_EN: 1
; COMPUTE_PGM_RSRC2:TGID_Y_EN: 0
; COMPUTE_PGM_RSRC2:TGID_Z_EN: 1
; COMPUTE_PGM_RSRC2:TIDIG_COMP_CNT: 1
; COMPUTE_PGM_RSRC3_GFX90A:ACCUM_OFFSET: 39
; COMPUTE_PGM_RSRC3_GFX90A:TG_SPLIT: 0
	.section	.text._ZL26rocblas_hemvn_kernel_upperILb0ELi64ELi4ELi33ELi32ELi16El19rocblas_complex_numIfEPKS1_PS1_EviT6_lT7_lT5_lS6_lS7_lS5_lT8_i,"axG",@progbits,_ZL26rocblas_hemvn_kernel_upperILb0ELi64ELi4ELi33ELi32ELi16El19rocblas_complex_numIfEPKS1_PS1_EviT6_lT7_lT5_lS6_lS7_lS5_lT8_i,comdat
	.globl	_ZL26rocblas_hemvn_kernel_upperILb0ELi64ELi4ELi33ELi32ELi16El19rocblas_complex_numIfEPKS1_PS1_EviT6_lT7_lT5_lS6_lS7_lS5_lT8_i ; -- Begin function _ZL26rocblas_hemvn_kernel_upperILb0ELi64ELi4ELi33ELi32ELi16El19rocblas_complex_numIfEPKS1_PS1_EviT6_lT7_lT5_lS6_lS7_lS5_lT8_i
	.p2align	8
	.type	_ZL26rocblas_hemvn_kernel_upperILb0ELi64ELi4ELi33ELi32ELi16El19rocblas_complex_numIfEPKS1_PS1_EviT6_lT7_lT5_lS6_lS7_lS5_lT8_i,@function
_ZL26rocblas_hemvn_kernel_upperILb0ELi64ELi4ELi33ELi32ELi16El19rocblas_complex_numIfEPKS1_PS1_EviT6_lT7_lT5_lS6_lS7_lS5_lT8_i: ; @_ZL26rocblas_hemvn_kernel_upperILb0ELi64ELi4ELi33ELi32ELi16El19rocblas_complex_numIfEPKS1_PS1_EviT6_lT7_lT5_lS6_lS7_lS5_lT8_i
; %bb.0:
	s_load_dwordx2 s[6:7], s[0:1], 0x84
	s_add_u32 s4, s0, 0x78
	s_addc_u32 s5, s1, 0
	s_waitcnt lgkmcnt(0)
	s_lshr_b32 s8, s6, 16
	s_and_b32 s6, s6, 0xffff
	s_and_b32 s7, s7, 0xffff
	s_mul_i32 s6, s8, s6
	s_mul_i32 s6, s6, s7
	s_cmpk_lg_i32 s6, 0x100
	s_cbranch_scc1 .LBB116_148
; %bb.1:
	s_load_dwordx2 s[6:7], s[0:1], 0x4
	s_mov_b64 s[8:9], -1
	s_waitcnt lgkmcnt(0)
	s_or_b32 s6, s6, s7
	s_bitset0_b32 s6, 31
	s_cmp_lg_u32 s6, 0
	s_cselect_b64 s[6:7], -1, 0
	s_and_b64 vcc, exec, s[6:7]
	s_cbranch_vccnz .LBB116_3
; %bb.2:
	s_load_dwordx2 s[8:9], s[0:1], 0x58
	s_waitcnt lgkmcnt(0)
	v_cmp_neq_f32_e64 s[10:11], s8, 1.0
	v_cmp_neq_f32_e64 s[8:9], s9, 0
	s_or_b64 s[8:9], s[10:11], s[8:9]
.LBB116_3:
	s_andn2_b64 vcc, exec, s[8:9]
	s_cbranch_vccnz .LBB116_148
; %bb.4:
	s_andn2_b64 vcc, exec, s[6:7]
	s_cbranch_vccnz .LBB116_148
; %bb.5:
	s_load_dwordx16 s[16:31], s[0:1], 0x18
	s_load_dword s33, s[4:5], 0x0
	s_load_dword s35, s[0:1], 0x0
	v_and_b32_e32 v122, 0x3ff, v0
	v_bfe_u32 v123, v0, 10, 10
	s_waitcnt lgkmcnt(0)
	s_mul_i32 s5, s3, s31
	s_mul_hi_u32 s6, s3, s30
	s_mul_i32 s4, s3, s30
	s_add_i32 s5, s6, s5
	s_lshl_b64 s[4:5], s[4:5], 3
	s_add_u32 s6, s24, s4
	s_addc_u32 s7, s25, s5
	s_lshl_b64 s[4:5], s[26:27], 3
	s_add_u32 s4, s6, s4
	s_addc_u32 s5, s7, s5
	s_ashr_i32 s36, s35, 31
	s_lshr_b32 s7, s36, 26
	s_lshl_b32 s26, s2, 6
	s_add_i32 s7, s35, s7
	s_andn2_b32 s7, s7, 63
	v_add_u32_e32 v28, s26, v122
	s_add_i32 s6, s33, -1
	s_sub_i32 s34, s35, s7
	v_ashrrev_i32_e32 v29, 31, v28
	s_cmp_eq_u32 s2, s6
	v_mul_lo_u32 v2, v29, s28
	v_mul_lo_u32 v3, v28, s29
	v_mad_u64_u32 v[0:1], s[6:7], v28, s28, 0
	v_add3_u32 v1, v1, v3, v2
	s_cselect_b32 s24, s34, 0
	v_lshl_add_u64 v[12:13], v[0:1], 3, s[4:5]
	v_cmp_eq_u32_e64 s[4:5], 0, v123
	s_and_saveexec_b64 s[6:7], s[4:5]
	s_cbranch_execz .LBB116_10
; %bb.6:
	s_cmp_lg_u32 s24, 0
	s_cselect_b64 s[8:9], -1, 0
	v_cmp_le_i32_e32 vcc, s24, v122
	v_mov_b32_e32 v0, 0x2380
	s_and_b64 s[8:9], s[8:9], vcc
	v_lshl_add_u32 v0, v122, 3, v0
	s_and_saveexec_b64 s[10:11], s[8:9]
	s_xor_b64 s[8:9], exec, s[10:11]
	s_cbranch_execz .LBB116_8
; %bb.7:
	v_mov_b32_e32 v2, 0
	v_mov_b32_e32 v3, v2
	ds_write_b64 v0, v[2:3]
                                        ; implicit-def: $vgpr0
.LBB116_8:
	s_andn2_saveexec_b64 s[8:9], s[8:9]
	s_cbranch_execz .LBB116_10
; %bb.9:
	global_load_dwordx2 v[2:3], v[12:13], off
	s_waitcnt vmcnt(0)
	ds_write_b64 v0, v[2:3]
.LBB116_10:
	s_or_b64 exec, exec, s[6:7]
	s_mul_i32 s6, s3, s23
	s_mul_hi_u32 s7, s3, s22
	s_add_i32 s7, s7, s6
	s_mul_i32 s6, s3, s22
	s_lshl_b64 s[6:7], s[6:7], 3
	s_add_u32 s8, s16, s6
	s_addc_u32 s9, s17, s7
	s_lshl_b64 s[6:7], s[18:19], 3
	s_add_u32 s8, s8, s6
	s_addc_u32 s9, s9, s7
	s_ashr_i32 s27, s26, 31
	v_lshl_add_u32 v22, v123, 6, v122
	s_lshl_b64 s[6:7], s[26:27], 3
	v_and_b32_e32 v0, 31, v122
	v_lshrrev_b32_e32 v18, 5, v22
	s_add_u32 s8, s8, s6
	v_mov_b32_e32 v1, 0
	s_addc_u32 s9, s9, s7
	v_mad_u64_u32 v[14:15], s[6:7], v18, s20, v[0:1]
	v_mov_b32_e32 v2, v15
	v_mad_u64_u32 v[2:3], s[6:7], v18, s21, v[2:3]
	s_mul_i32 s6, s26, s21
	s_mul_hi_u32 s7, s26, s20
	s_add_i32 s6, s7, s6
	s_mul_i32 s7, s27, s20
	s_add_i32 s7, s6, s7
	s_mul_i32 s6, s26, s20
	s_lshl_b64 s[6:7], s[6:7], 3
	s_add_u32 s6, s6, s8
	s_addc_u32 s7, s7, s9
	s_cmp_eq_u32 s24, 0
	s_cselect_b64 s[18:19], -1, 0
	s_cmp_lg_u32 s24, 0
	v_mov_b32_e32 v15, v2
	s_cselect_b64 s[22:23], -1, 0
	v_lshl_add_u64 v[4:5], v[14:15], 3, s[6:7]
	s_and_b64 vcc, exec, s[22:23]
	v_cmp_gt_i32_e64 s[6:7], s24, v0
	v_lshlrev_b32_e32 v2, 3, v0
	s_mul_i32 s37, s21, 0xc0
	s_cbranch_vccz .LBB116_26
; %bb.11:
	v_sub_co_u32_e32 v6, vcc, v4, v2
	s_ashr_i32 s25, s24, 31
	s_nop 0
	v_subbrev_co_u32_e32 v7, vcc, 0, v5, vcc
	v_lshl_add_u64 v[6:7], s[24:25], 3, v[6:7]
	v_lshl_add_u64 v[6:7], v[6:7], 0, -8
	v_cndmask_b32_e64 v7, v7, v5, s[6:7]
	v_cndmask_b32_e64 v6, v6, v4, s[6:7]
	v_cmp_gt_i32_e32 vcc, s24, v18
	v_mov_b32_e32 v9, 0
	s_and_saveexec_b64 s[8:9], vcc
	s_cbranch_execz .LBB116_13
; %bb.12:
	global_load_dwordx2 v[8:9], v[6:7], off
	s_waitcnt vmcnt(0)
	v_mov_b32_e32 v1, v8
.LBB116_13:
	s_or_b64 exec, exec, s[8:9]
	v_mul_u32_u24_e32 v3, 33, v18
	v_mov_b32_e32 v8, v1
	v_add_u32_e32 v1, 8, v18
	v_add_lshl_u32 v3, v3, v0, 3
	v_cmp_le_i32_e32 vcc, s24, v1
	ds_write_b64 v3, v[8:9]
	s_and_saveexec_b64 s[8:9], vcc
	s_xor_b64 s[8:9], exec, s[8:9]
	s_cbranch_execz .LBB116_15
; %bb.14:
	v_mul_u32_u24_e32 v1, 33, v1
	v_mov_b32_e32 v8, 0
	v_add_lshl_u32 v1, v1, v0, 3
	v_mov_b32_e32 v9, v8
	ds_write_b64 v1, v[8:9]
.LBB116_15:
	s_andn2_saveexec_b64 s[8:9], s[8:9]
	s_cbranch_execz .LBB116_17
; %bb.16:
	s_lshl_b64 s[10:11], s[20:21], 6
	v_lshl_add_u64 v[8:9], v[6:7], 0, s[10:11]
	global_load_dwordx2 v[8:9], v[8:9], off
	s_waitcnt vmcnt(0)
	ds_write_b64 v3, v[8:9] offset:2112
.LBB116_17:
	s_or_b64 exec, exec, s[8:9]
	v_add_u32_e32 v1, 16, v18
	v_cmp_le_i32_e32 vcc, s24, v1
	s_and_saveexec_b64 s[8:9], vcc
	s_xor_b64 s[8:9], exec, s[8:9]
	s_cbranch_execz .LBB116_19
; %bb.18:
	v_mov_b32_e32 v8, 0
	v_mov_b32_e32 v9, v8
	ds_write_b64 v3, v[8:9] offset:4224
.LBB116_19:
	s_andn2_saveexec_b64 s[8:9], s[8:9]
	s_cbranch_execz .LBB116_21
; %bb.20:
	s_lshl_b64 s[10:11], s[20:21], 7
	v_lshl_add_u64 v[8:9], v[6:7], 0, s[10:11]
	global_load_dwordx2 v[8:9], v[8:9], off
	s_waitcnt vmcnt(0)
	ds_write_b64 v3, v[8:9] offset:4224
.LBB116_21:
	s_or_b64 exec, exec, s[8:9]
	v_add_u32_e32 v1, 24, v18
	v_cmp_le_i32_e32 vcc, s24, v1
	s_and_saveexec_b64 s[8:9], vcc
	s_xor_b64 s[8:9], exec, s[8:9]
	s_cbranch_execz .LBB116_23
; %bb.22:
	v_mov_b32_e32 v8, 0
	v_mov_b32_e32 v9, v8
	ds_write_b64 v3, v[8:9] offset:6336
                                        ; implicit-def: $vgpr3
.LBB116_23:
	s_andn2_saveexec_b64 s[8:9], s[8:9]
	s_cbranch_execz .LBB116_25
; %bb.24:
	v_mov_b32_e32 v1, 0xc0
	v_mad_u64_u32 v[8:9], s[10:11], s20, v1, v[6:7]
	v_add_u32_e32 v9, s37, v9
	global_load_dwordx2 v[8:9], v[8:9], off
	s_waitcnt vmcnt(0)
	ds_write_b64 v3, v[8:9] offset:6336
.LBB116_25:
	s_or_b64 exec, exec, s[8:9]
	v_mov_b32_e32 v3, 0
	v_lshl_add_u64 v[6:7], v[6:7], 0, v[2:3]
	s_lshl_b64 s[8:9], s[24:25], 3
	v_mov_b32_e32 v1, s9
	v_subrev_co_u32_e32 v6, vcc, s8, v6
	s_nop 1
	v_subb_co_u32_e32 v7, vcc, v7, v1, vcc
	v_lshl_add_u64 v[6:7], v[6:7], 0, 8
	v_cndmask_b32_e64 v7, v7, v5, s[6:7]
	v_cndmask_b32_e64 v6, v6, v4, s[6:7]
	v_mul_u32_u24_e32 v1, 33, v18
	s_branch .LBB116_28
.LBB116_26:
                                        ; implicit-def: $vgpr6_vgpr7
	v_mul_u32_u24_e32 v1, 33, v18
	s_cbranch_execz .LBB116_28
; %bb.27:
	s_lshl_b64 s[6:7], s[20:21], 6
	v_lshl_add_u64 v[6:7], v[4:5], 0, s[6:7]
	global_load_dwordx2 v[8:9], v[4:5], off
	global_load_dwordx2 v[10:11], v[6:7], off
	v_mov_b32_e32 v3, 0xc0
	v_lshl_add_u64 v[6:7], v[6:7], 0, s[6:7]
	v_mad_u64_u32 v[16:17], s[6:7], s20, v3, v[4:5]
	global_load_dwordx2 v[6:7], v[6:7], off
	v_add_u32_e32 v17, s37, v17
	global_load_dwordx2 v[16:17], v[16:17], off
	v_add_lshl_u32 v3, v1, v0, 3
	s_waitcnt vmcnt(3)
	ds_write_b64 v3, v[8:9]
	s_waitcnt vmcnt(2)
	ds_write_b64 v3, v[10:11] offset:2112
	s_waitcnt vmcnt(1)
	ds_write_b64 v3, v[6:7] offset:4224
	;; [unrolled: 2-line block ×3, first 2 shown]
	v_mov_b64_e32 v[6:7], v[4:5]
.LBB116_28:
	v_lshlrev_b32_e32 v3, 2, v18
	v_mul_u32_u24_e32 v19, 33, v0
	v_cmp_gt_u32_e64 s[6:7], v3, v0
	v_add_lshl_u32 v16, v3, v19, 3
	s_waitcnt lgkmcnt(0)
	s_barrier
	s_and_saveexec_b64 s[8:9], s[6:7]
	s_cbranch_execz .LBB116_30
; %bb.29:
	v_mul_u32_u24_e32 v4, 0x84, v18
	v_add_lshl_u32 v4, v4, v0, 3
	ds_read_b64 v[4:5], v4
	s_waitcnt lgkmcnt(0)
	ds_write_b64 v16, v[4:5]
.LBB116_30:
	s_or_b64 exec, exec, s[8:9]
	v_cmp_ge_u32_e64 s[8:9], v3, v0
	s_and_saveexec_b64 s[10:11], s[8:9]
	s_cbranch_execz .LBB116_32
; %bb.31:
	v_or_b32_e32 v4, 1, v3
	v_mul_u32_u24_e32 v4, 33, v4
	v_add_lshl_u32 v4, v4, v0, 3
	ds_read_b64 v[4:5], v4
	s_waitcnt lgkmcnt(0)
	ds_write_b64 v16, v[4:5] offset:8
.LBB116_32:
	s_or_b64 exec, exec, s[10:11]
	v_or_b32_e32 v4, 2, v3
	v_cmp_gt_u32_e64 s[10:11], v4, v0
	s_and_saveexec_b64 s[12:13], s[10:11]
	s_cbranch_execz .LBB116_34
; %bb.33:
	v_mul_u32_u24_e32 v4, 33, v4
	v_add_lshl_u32 v4, v4, v0, 3
	ds_read_b64 v[4:5], v4
	s_waitcnt lgkmcnt(0)
	ds_write_b64 v16, v[4:5] offset:16
.LBB116_34:
	s_or_b64 exec, exec, s[12:13]
	v_or_b32_e32 v4, 3, v3
	v_cmp_gt_u32_e64 s[12:13], v4, v0
	v_mad_u32_u24 v4, v4, 33, v0
	v_lshlrev_b32_e32 v25, 3, v4
	s_and_saveexec_b64 s[14:15], s[12:13]
	s_cbranch_execz .LBB116_36
; %bb.35:
	ds_read_b64 v[4:5], v25
	s_waitcnt lgkmcnt(0)
	ds_write_b64 v16, v[4:5] offset:24
.LBB116_36:
	s_or_b64 exec, exec, s[14:15]
	v_mul_u32_u24_e32 v4, 0x84, v18
	v_add_lshl_u32 v20, v4, v0, 3
	s_waitcnt lgkmcnt(0)
	s_barrier
	v_lshlrev_b32_e32 v17, 3, v3
	v_add_u32_e32 v21, 0xfffffdf0, v25
	ds_read_b64 v[4:5], v20
	ds_read_b128 v[8:11], v17 offset:9088
	ds_read2_b64 v[30:33], v21 offset1:33
	ds_read_b64 v[26:27], v25
	ds_read_b128 v[34:37], v17 offset:9104
	s_mov_b32 s16, 0
	s_mov_b32 s17, s16
	s_waitcnt lgkmcnt(3)
	v_pk_mul_f32 v[38:39], v[8:9], v[4:5] op_sel:[0,1]
	v_add_lshl_u32 v23, v18, v19, 3
	v_pk_fma_f32 v[40:41], v[8:9], v[4:5], v[38:39] op_sel:[0,0,1] op_sel_hi:[1,1,0] neg_lo:[0,0,1] neg_hi:[0,0,1]
	v_pk_fma_f32 v[4:5], v[8:9], v[4:5], v[38:39] op_sel:[0,0,1] op_sel_hi:[1,0,0]
	s_waitcnt lgkmcnt(2)
	v_pk_mul_f32 v[8:9], v[10:11], v[30:31] op_sel:[0,1]
	v_mov_b32_e32 v41, v5
	v_pk_fma_f32 v[38:39], v[10:11], v[30:31], v[8:9] op_sel:[0,0,1] op_sel_hi:[1,1,0] neg_lo:[0,0,1] neg_hi:[0,0,1]
	v_pk_fma_f32 v[8:9], v[10:11], v[30:31], v[8:9] op_sel:[0,0,1] op_sel_hi:[1,0,0]
	v_pk_add_f32 v[4:5], v[40:41], 0 op_sel_hi:[1,0]
	v_mov_b32_e32 v39, v9
	s_waitcnt lgkmcnt(0)
	v_pk_mul_f32 v[8:9], v[34:35], v[32:33] op_sel:[0,1]
	v_pk_add_f32 v[4:5], v[4:5], v[38:39]
	v_pk_fma_f32 v[10:11], v[34:35], v[32:33], v[8:9] op_sel:[0,0,1] op_sel_hi:[1,1,0] neg_lo:[0,0,1] neg_hi:[0,0,1]
	v_pk_fma_f32 v[8:9], v[34:35], v[32:33], v[8:9] op_sel:[0,0,1] op_sel_hi:[1,0,0]
	v_cmp_gt_u32_e64 s[14:15], 32, v22
	v_mov_b32_e32 v11, v9
	v_pk_mul_f32 v[8:9], v[36:37], v[26:27] op_sel:[0,1]
	v_pk_add_f32 v[4:5], v[4:5], v[10:11]
	v_pk_fma_f32 v[10:11], v[36:37], v[26:27], v[8:9] op_sel:[0,0,1] op_sel_hi:[1,1,0] neg_lo:[0,0,1] neg_hi:[0,0,1]
	v_pk_fma_f32 v[8:9], v[36:37], v[26:27], v[8:9] op_sel:[0,0,1] op_sel_hi:[1,0,0]
	v_mov_b64_e32 v[30:31], s[16:17]
	v_mov_b32_e32 v11, v9
	v_pk_add_f32 v[4:5], v[4:5], v[10:11]
	v_lshlrev_b32_e32 v24, 3, v19
	s_barrier
	ds_write_b64 v23, v[4:5]
	s_waitcnt lgkmcnt(0)
	s_barrier
	s_and_saveexec_b64 s[16:17], s[14:15]
	s_cbranch_execz .LBB116_38
; %bb.37:
	ds_read2_b64 v[8:11], v24 offset1:7
	ds_read2_b64 v[30:33], v24 offset0:1 offset1:2
	ds_read2_b64 v[34:37], v24 offset0:3 offset1:4
	s_waitcnt lgkmcnt(1)
	v_add_f32_e32 v3, v30, v8
	v_add_f32_e32 v4, v31, v9
	v_add_f32_e32 v3, v3, v32
	v_add_f32_e32 v4, v4, v33
	ds_read2_b64 v[30:33], v24 offset0:5 offset1:6
	s_waitcnt lgkmcnt(1)
	v_add_f32_e32 v3, v3, v34
	v_add_f32_e32 v4, v4, v35
	;; [unrolled: 1-line block ×4, first 2 shown]
	s_waitcnt lgkmcnt(0)
	v_add_f32_e32 v3, v3, v30
	v_add_f32_e32 v5, v4, v31
	;; [unrolled: 1-line block ×4, first 2 shown]
	v_pk_add_f32 v[30:31], v[4:5], v[10:11]
.LBB116_38:
	s_or_b64 exec, exec, s[16:17]
	s_lshl_b64 s[16:17], s[20:21], 8
	v_lshl_add_u64 v[8:9], v[6:7], 0, s[16:17]
	s_mov_b64 s[16:17], 0x100
	v_lshl_add_u64 v[6:7], v[8:9], 0, s[16:17]
	s_and_b64 vcc, exec, s[22:23]
	s_barrier
	s_cbranch_vccz .LBB116_54
; %bb.39:
	v_sub_co_u32_e32 v4, vcc, v6, v2
	s_ashr_i32 s25, s24, 31
	s_nop 0
	v_subbrev_co_u32_e32 v5, vcc, 0, v7, vcc
	s_movk_i32 s16, 0xfef8
	v_or_b32_e32 v3, 32, v0
	v_lshl_add_u64 v[4:5], s[24:25], 3, v[4:5]
	s_mov_b32 s17, -1
	v_lshl_add_u64 v[4:5], v[4:5], 0, s[16:17]
	v_cmp_gt_i32_e32 vcc, s24, v3
	s_sub_i32 s38, s24, 32
	v_mov_b32_e32 v10, 0
	v_cndmask_b32_e32 v5, v5, v7, vcc
	v_cndmask_b32_e32 v4, v4, v6, vcc
	v_cmp_gt_i32_e64 s[16:17], s38, v18
	v_mov_b32_e32 v11, v10
	s_and_saveexec_b64 s[30:31], s[16:17]
	s_cbranch_execz .LBB116_41
; %bb.40:
	global_load_dwordx2 v[10:11], v[4:5], off
.LBB116_41:
	s_or_b64 exec, exec, s[30:31]
	v_add_lshl_u32 v3, v1, v0, 3
	s_waitcnt vmcnt(0)
	ds_write_b64 v3, v[10:11]
	v_add_u32_e32 v10, 8, v18
	v_cmp_le_i32_e64 s[16:17], s38, v10
	s_and_saveexec_b64 s[30:31], s[16:17]
	s_xor_b64 s[16:17], exec, s[30:31]
	s_cbranch_execz .LBB116_43
; %bb.42:
	v_mul_u32_u24_e32 v10, 33, v10
	v_add_lshl_u32 v26, v10, v0, 3
	v_mov_b32_e32 v10, 0
	v_mov_b32_e32 v11, v10
	ds_write_b64 v26, v[10:11]
.LBB116_43:
	s_andn2_saveexec_b64 s[16:17], s[16:17]
	s_cbranch_execz .LBB116_45
; %bb.44:
	s_lshl_b64 s[30:31], s[20:21], 6
	v_lshl_add_u64 v[10:11], v[4:5], 0, s[30:31]
	global_load_dwordx2 v[10:11], v[10:11], off
	s_waitcnt vmcnt(0)
	ds_write_b64 v3, v[10:11] offset:2112
.LBB116_45:
	s_or_b64 exec, exec, s[16:17]
	v_add_u32_e32 v10, 16, v18
	v_cmp_le_i32_e64 s[16:17], s38, v10
	s_and_saveexec_b64 s[30:31], s[16:17]
	s_xor_b64 s[16:17], exec, s[30:31]
	s_cbranch_execz .LBB116_47
; %bb.46:
	v_mov_b32_e32 v10, 0
	v_mov_b32_e32 v11, v10
	ds_write_b64 v3, v[10:11] offset:4224
.LBB116_47:
	s_andn2_saveexec_b64 s[16:17], s[16:17]
	s_cbranch_execz .LBB116_49
; %bb.48:
	s_lshl_b64 s[30:31], s[20:21], 7
	v_lshl_add_u64 v[10:11], v[4:5], 0, s[30:31]
	global_load_dwordx2 v[10:11], v[10:11], off
	s_waitcnt vmcnt(0)
	ds_write_b64 v3, v[10:11] offset:4224
.LBB116_49:
	s_or_b64 exec, exec, s[16:17]
	v_add_u32_e32 v10, 24, v18
	v_cmp_le_i32_e64 s[16:17], s38, v10
	s_and_saveexec_b64 s[30:31], s[16:17]
	s_xor_b64 s[16:17], exec, s[30:31]
	s_cbranch_execz .LBB116_51
; %bb.50:
	v_mov_b32_e32 v10, 0
	v_mov_b32_e32 v11, v10
	ds_write_b64 v3, v[10:11] offset:6336
                                        ; implicit-def: $vgpr3
.LBB116_51:
	s_andn2_saveexec_b64 s[16:17], s[16:17]
	s_cbranch_execz .LBB116_53
; %bb.52:
	v_mov_b32_e32 v10, 0xc0
	v_mad_u64_u32 v[10:11], s[30:31], s20, v10, v[4:5]
	v_add_u32_e32 v11, s37, v11
	global_load_dwordx2 v[10:11], v[10:11], off
	s_waitcnt vmcnt(0)
	ds_write_b64 v3, v[10:11] offset:6336
.LBB116_53:
	s_or_b64 exec, exec, s[16:17]
	v_mov_b32_e32 v3, 0
	v_lshl_add_u64 v[4:5], v[4:5], 0, v[2:3]
	s_lshl_b64 s[16:17], s[24:25], 3
	v_mov_b32_e32 v3, s17
	v_subrev_co_u32_e64 v4, s[16:17], s16, v4
	s_nop 1
	v_subb_co_u32_e64 v5, s[16:17], v5, v3, s[16:17]
	s_mov_b64 s[16:17], 0x108
	s_nop 0
	v_lshl_add_u64 v[4:5], v[4:5], 0, s[16:17]
	v_cndmask_b32_e32 v5, v5, v7, vcc
	v_cndmask_b32_e32 v4, v4, v6, vcc
	s_branch .LBB116_56
.LBB116_54:
                                        ; implicit-def: $vgpr4_vgpr5
	s_cbranch_execz .LBB116_56
; %bb.55:
	s_lshl_b64 s[16:17], s[20:21], 6
	v_lshl_add_u64 v[4:5], v[8:9], 0, s[16:17]
	v_mov_b32_e32 v3, 0xc0
	v_lshl_add_u64 v[10:11], v[4:5], 0, s[16:17]
	v_mad_u64_u32 v[26:27], s[16:17], s20, v3, v[8:9]
	v_add_u32_e32 v27, s37, v27
	global_load_dwordx2 v[32:33], v[8:9], off offset:256
	global_load_dwordx2 v[34:35], v[4:5], off offset:256
	;; [unrolled: 1-line block ×4, first 2 shown]
	v_add_lshl_u32 v3, v1, v0, 3
	v_mov_b64_e32 v[4:5], v[6:7]
	s_waitcnt vmcnt(3)
	ds_write_b64 v3, v[32:33]
	s_waitcnt vmcnt(2)
	ds_write_b64 v3, v[34:35] offset:2112
	s_waitcnt vmcnt(1)
	ds_write_b64 v3, v[36:37] offset:4224
	;; [unrolled: 2-line block ×3, first 2 shown]
.LBB116_56:
	s_waitcnt lgkmcnt(0)
	s_barrier
	s_and_saveexec_b64 s[16:17], s[6:7]
	s_cbranch_execnz .LBB116_79
; %bb.57:
	s_or_b64 exec, exec, s[16:17]
	s_and_saveexec_b64 s[6:7], s[8:9]
	s_cbranch_execnz .LBB116_80
.LBB116_58:
	s_or_b64 exec, exec, s[6:7]
	s_and_saveexec_b64 s[6:7], s[10:11]
	s_cbranch_execnz .LBB116_81
.LBB116_59:
	s_or_b64 exec, exec, s[6:7]
	v_add_u32_e32 v26, 0x2380, v17
	s_and_saveexec_b64 s[6:7], s[12:13]
	s_cbranch_execz .LBB116_61
.LBB116_60:
	ds_read_b64 v[6:7], v25
	s_waitcnt lgkmcnt(0)
	ds_write_b64 v16, v[6:7] offset:24
.LBB116_61:
	s_or_b64 exec, exec, s[6:7]
	s_waitcnt lgkmcnt(0)
	s_barrier
	ds_read_b64 v[10:11], v20
	ds_read_b128 v[6:9], v26 offset:256
	ds_read2_b64 v[32:35], v21 offset1:33
	ds_read_b64 v[16:17], v25
	ds_read_b128 v[36:39], v26 offset:272
	v_cmp_eq_u32_e64 s[6:7], 1, v18
	s_waitcnt lgkmcnt(3)
	v_pk_mul_f32 v[40:41], v[6:7], v[10:11] op_sel:[0,1]
	s_waitcnt lgkmcnt(0)
	v_pk_fma_f32 v[42:43], v[6:7], v[10:11], v[40:41] op_sel:[0,0,1] op_sel_hi:[1,1,0] neg_lo:[0,0,1] neg_hi:[0,0,1]
	v_pk_fma_f32 v[6:7], v[6:7], v[10:11], v[40:41] op_sel:[0,0,1] op_sel_hi:[1,0,0]
	v_pk_mul_f32 v[10:11], v[8:9], v[32:33] op_sel:[0,1]
	v_mov_b32_e32 v43, v7
	v_pk_fma_f32 v[40:41], v[8:9], v[32:33], v[10:11] op_sel:[0,0,1] op_sel_hi:[1,1,0] neg_lo:[0,0,1] neg_hi:[0,0,1]
	v_pk_fma_f32 v[8:9], v[8:9], v[32:33], v[10:11] op_sel:[0,0,1] op_sel_hi:[1,0,0]
	v_pk_add_f32 v[6:7], v[42:43], 0 op_sel_hi:[1,0]
	v_mov_b32_e32 v41, v9
	v_pk_mul_f32 v[8:9], v[36:37], v[34:35] op_sel:[0,1]
	v_pk_add_f32 v[6:7], v[6:7], v[40:41]
	v_pk_fma_f32 v[10:11], v[36:37], v[34:35], v[8:9] op_sel:[0,0,1] op_sel_hi:[1,1,0] neg_lo:[0,0,1] neg_hi:[0,0,1]
	v_pk_fma_f32 v[8:9], v[36:37], v[34:35], v[8:9] op_sel:[0,0,1] op_sel_hi:[1,0,0]
	s_barrier
	v_mov_b32_e32 v11, v9
	v_pk_mul_f32 v[8:9], v[38:39], v[16:17] op_sel:[0,1]
	v_pk_add_f32 v[6:7], v[6:7], v[10:11]
	v_pk_fma_f32 v[10:11], v[38:39], v[16:17], v[8:9] op_sel:[0,0,1] op_sel_hi:[1,1,0] neg_lo:[0,0,1] neg_hi:[0,0,1]
	v_pk_fma_f32 v[8:9], v[38:39], v[16:17], v[8:9] op_sel:[0,0,1] op_sel_hi:[1,0,0]
	s_nop 0
	v_mov_b32_e32 v11, v9
	v_pk_add_f32 v[6:7], v[6:7], v[10:11]
	ds_write_b64 v23, v[6:7]
	s_waitcnt lgkmcnt(0)
	s_barrier
	s_and_saveexec_b64 s[8:9], s[6:7]
	s_cbranch_execz .LBB116_63
; %bb.62:
	ds_read2_b64 v[6:9], v24 offset1:7
	ds_read2_b64 v[30:33], v24 offset0:1 offset1:2
	ds_read2_b64 v[34:37], v24 offset0:3 offset1:4
	s_waitcnt lgkmcnt(1)
	v_add_f32_e32 v3, v30, v6
	v_add_f32_e32 v6, v31, v7
	;; [unrolled: 1-line block ×4, first 2 shown]
	ds_read2_b64 v[30:33], v24 offset0:5 offset1:6
	s_waitcnt lgkmcnt(1)
	v_add_f32_e32 v3, v3, v34
	v_add_f32_e32 v6, v6, v35
	;; [unrolled: 1-line block ×4, first 2 shown]
	s_waitcnt lgkmcnt(0)
	v_add_f32_e32 v6, v3, v30
	v_add_f32_e32 v7, v7, v31
	v_pk_add_f32 v[6:7], v[6:7], v[32:33]
	s_nop 0
	v_pk_add_f32 v[30:31], v[6:7], v[8:9]
.LBB116_63:
	s_or_b64 exec, exec, s[8:9]
	s_movk_i32 s8, 0xff00
	s_mov_b32 s9, -1
	v_lshl_add_u64 v[6:7], v[4:5], 0, s[8:9]
	s_and_b64 vcc, exec, s[22:23]
	s_barrier
	s_cbranch_vccz .LBB116_82
; %bb.64:
	v_sub_co_u32_e32 v8, vcc, v4, v2
	s_ashr_i32 s25, s24, 31
	s_nop 0
	v_subbrev_co_u32_e32 v9, vcc, 0, v5, vcc
	s_movk_i32 s8, 0xfef8
	v_lshl_add_u64 v[8:9], s[24:25], 3, v[8:9]
	s_mov_b32 s9, -1
	v_lshl_add_u64 v[8:9], v[8:9], 0, s[8:9]
	v_cmp_gt_i32_e32 vcc, s24, v0
	s_sub_i32 s12, s24, 32
	v_mov_b32_e32 v10, 0
	v_cndmask_b32_e32 v9, v9, v7, vcc
	v_cndmask_b32_e32 v8, v8, v6, vcc
	v_cmp_gt_i32_e64 s[8:9], s12, v18
	v_mov_b32_e32 v11, v10
	s_and_saveexec_b64 s[10:11], s[8:9]
	s_cbranch_execz .LBB116_66
; %bb.65:
	global_load_dwordx2 v[10:11], v[8:9], off
.LBB116_66:
	s_or_b64 exec, exec, s[10:11]
	v_add_lshl_u32 v3, v1, v0, 3
	s_waitcnt vmcnt(0)
	ds_write_b64 v3, v[10:11]
	v_add_u32_e32 v10, 8, v18
	v_cmp_le_i32_e64 s[8:9], s12, v10
	s_and_saveexec_b64 s[10:11], s[8:9]
	s_xor_b64 s[8:9], exec, s[10:11]
	s_cbranch_execz .LBB116_68
; %bb.67:
	v_mul_u32_u24_e32 v11, 33, v10
	v_mov_b32_e32 v16, 0
	v_add_lshl_u32 v11, v11, v0, 3
	v_mov_b32_e32 v17, v16
	ds_write_b64 v11, v[16:17]
.LBB116_68:
	s_andn2_saveexec_b64 s[8:9], s[8:9]
	s_cbranch_execz .LBB116_70
; %bb.69:
	s_lshl_b64 s[10:11], s[20:21], 6
	v_lshl_add_u64 v[16:17], v[8:9], 0, s[10:11]
	global_load_dwordx2 v[16:17], v[16:17], off
	s_waitcnt vmcnt(0)
	ds_write_b64 v3, v[16:17] offset:2112
.LBB116_70:
	s_or_b64 exec, exec, s[8:9]
	v_add_u32_e32 v11, 16, v18
	v_cmp_le_i32_e64 s[8:9], s12, v11
	s_and_saveexec_b64 s[10:11], s[8:9]
	s_xor_b64 s[8:9], exec, s[10:11]
	s_cbranch_execz .LBB116_72
; %bb.71:
	v_mov_b32_e32 v16, 0
	v_mov_b32_e32 v17, v16
	ds_write_b64 v3, v[16:17] offset:4224
.LBB116_72:
	s_andn2_saveexec_b64 s[8:9], s[8:9]
	s_cbranch_execz .LBB116_74
; %bb.73:
	s_lshl_b64 s[10:11], s[20:21], 7
	v_lshl_add_u64 v[16:17], v[8:9], 0, s[10:11]
	global_load_dwordx2 v[16:17], v[16:17], off
	s_waitcnt vmcnt(0)
	ds_write_b64 v3, v[16:17] offset:4224
.LBB116_74:
	s_or_b64 exec, exec, s[8:9]
	v_add_u32_e32 v27, 24, v18
	v_cmp_le_i32_e64 s[8:9], s12, v27
	s_and_saveexec_b64 s[10:11], s[8:9]
	s_xor_b64 s[8:9], exec, s[10:11]
	s_cbranch_execz .LBB116_76
; %bb.75:
	v_mov_b32_e32 v16, 0
	v_mov_b32_e32 v17, v16
	ds_write_b64 v3, v[16:17] offset:6336
                                        ; implicit-def: $vgpr3
.LBB116_76:
	s_andn2_saveexec_b64 s[8:9], s[8:9]
	s_cbranch_execz .LBB116_78
; %bb.77:
	v_mov_b32_e32 v16, 0xc0
	v_mad_u64_u32 v[16:17], s[10:11], s20, v16, v[8:9]
	v_add_u32_e32 v17, s37, v17
	global_load_dwordx2 v[16:17], v[16:17], off
	s_waitcnt vmcnt(0)
	ds_write_b64 v3, v[16:17] offset:6336
.LBB116_78:
	s_or_b64 exec, exec, s[8:9]
	v_mov_b32_e32 v3, 0
	v_lshl_add_u64 v[2:3], v[8:9], 0, v[2:3]
	s_lshl_b64 s[8:9], s[24:25], 3
	v_mov_b32_e32 v8, s9
	v_subrev_co_u32_e64 v2, s[8:9], s8, v2
	s_nop 1
	v_subb_co_u32_e64 v3, s[8:9], v3, v8, s[8:9]
	v_lshl_add_u64 v[2:3], v[2:3], 0, 8
	v_cndmask_b32_e32 v17, v3, v7, vcc
	v_cndmask_b32_e32 v16, v2, v6, vcc
	s_branch .LBB116_84
.LBB116_79:
	ds_read_b64 v[6:7], v20
	s_waitcnt lgkmcnt(0)
	ds_write_b64 v16, v[6:7]
	s_or_b64 exec, exec, s[16:17]
	s_and_saveexec_b64 s[6:7], s[8:9]
	s_cbranch_execz .LBB116_58
.LBB116_80:
	ds_read_b64 v[6:7], v21
	s_waitcnt lgkmcnt(0)
	ds_write_b64 v16, v[6:7] offset:8
	s_or_b64 exec, exec, s[6:7]
	s_and_saveexec_b64 s[6:7], s[10:11]
	s_cbranch_execz .LBB116_59
.LBB116_81:
	ds_read_b64 v[6:7], v21 offset:264
	s_waitcnt lgkmcnt(0)
	ds_write_b64 v16, v[6:7] offset:16
	s_or_b64 exec, exec, s[6:7]
	v_add_u32_e32 v26, 0x2380, v17
	s_and_saveexec_b64 s[6:7], s[12:13]
	s_cbranch_execnz .LBB116_60
	s_branch .LBB116_61
.LBB116_82:
                                        ; implicit-def: $vgpr16_vgpr17
                                        ; implicit-def: $vgpr10
                                        ; implicit-def: $vgpr11
                                        ; implicit-def: $vgpr27
	s_cbranch_execz .LBB116_84
; %bb.83:
	s_lshl_b64 s[8:9], s[20:21], 6
	v_lshl_add_u64 v[2:3], v[4:5], 0, s[8:9]
	v_lshl_add_u64 v[8:9], v[2:3], 0, s[8:9]
	global_load_dwordx2 v[16:17], v[2:3], off offset:-256
	global_load_dwordx2 v[32:33], v[8:9], off offset:-256
	v_mov_b32_e32 v8, 0xc0
	global_load_dwordx2 v[2:3], v[4:5], off offset:-256
	v_mad_u64_u32 v[4:5], s[8:9], s20, v8, v[4:5]
	v_add_u32_e32 v5, s37, v5
	global_load_dwordx2 v[4:5], v[4:5], off offset:-256
	v_add_lshl_u32 v0, v1, v0, 3
	v_add_u32_e32 v10, 8, v18
	v_add_u32_e32 v11, 16, v18
	;; [unrolled: 1-line block ×3, first 2 shown]
	s_waitcnt vmcnt(1)
	ds_write_b64 v0, v[2:3]
	ds_write_b64 v0, v[16:17] offset:2112
	ds_write_b64 v0, v[32:33] offset:4224
	s_waitcnt vmcnt(0)
	ds_write_b64 v0, v[4:5] offset:6336
	v_mov_b64_e32 v[16:17], v[6:7]
.LBB116_84:
	v_lshlrev_b32_e32 v18, 3, v18
	v_add_lshl_u32 v36, v10, v19, 3
	v_lshlrev_b32_e32 v34, 3, v10
	v_add_lshl_u32 v35, v11, v19, 3
	;; [unrolled: 2-line block ×3, first 2 shown]
	v_lshlrev_b32_e32 v40, 3, v27
	s_waitcnt lgkmcnt(0)
	s_barrier
	ds_read2_b64 v[4:7], v21 offset1:33
	ds_read_b64 v[20:21], v20
	ds_read_b128 v[8:11], v26 offset:256
	ds_read_b64 v[32:33], v23
	ds_read_b128 v[0:3], v26 offset:272
	ds_read_b64 v[26:27], v35
	ds_read_b64 v[34:35], v34 offset:9088
	ds_read_b64 v[36:37], v36
	ds_read_b64 v[38:39], v18 offset:9088
	;; [unrolled: 2-line block ×4, first 2 shown]
	s_waitcnt lgkmcnt(4)
	v_pk_mul_f32 v[46:47], v[38:39], v[32:33] op_sel:[0,1]
	s_waitcnt lgkmcnt(0)
	v_pk_fma_f32 v[48:49], v[38:39], v[32:33], v[46:47] op_sel:[0,0,1] op_sel_hi:[1,1,0] neg_lo:[0,0,1] neg_hi:[0,0,1]
	v_pk_fma_f32 v[32:33], v[38:39], v[32:33], v[46:47] op_sel:[0,0,1] op_sel_hi:[1,0,0]
	v_pk_mul_f32 v[38:39], v[34:35], v[36:37] op_sel:[0,1]
	v_mov_b32_e32 v49, v33
	v_pk_fma_f32 v[46:47], v[34:35], v[36:37], v[38:39] op_sel:[0,0,1] op_sel_hi:[1,1,0] neg_lo:[0,0,1] neg_hi:[0,0,1]
	v_pk_fma_f32 v[34:35], v[34:35], v[36:37], v[38:39] op_sel:[0,0,1] op_sel_hi:[1,0,0]
	v_pk_add_f32 v[32:33], v[48:49], 0 op_sel_hi:[1,0]
	v_mov_b32_e32 v47, v35
	v_pk_mul_f32 v[34:35], v[44:45], v[26:27] op_sel:[0,1]
	v_pk_add_f32 v[32:33], v[32:33], v[46:47]
	v_pk_fma_f32 v[36:37], v[44:45], v[26:27], v[34:35] op_sel:[0,0,1] op_sel_hi:[1,1,0] neg_lo:[0,0,1] neg_hi:[0,0,1]
	v_pk_fma_f32 v[26:27], v[44:45], v[26:27], v[34:35] op_sel:[0,0,1] op_sel_hi:[1,0,0]
	s_barrier
	v_mov_b32_e32 v37, v27
	v_pk_add_f32 v[26:27], v[32:33], v[36:37]
	v_pk_mul_f32 v[32:33], v[40:41], v[42:43] op_sel:[0,1]
	s_nop 0
	v_pk_fma_f32 v[34:35], v[40:41], v[42:43], v[32:33] op_sel:[0,0,1] op_sel_hi:[1,1,0] neg_lo:[0,0,1] neg_hi:[0,0,1]
	v_pk_fma_f32 v[32:33], v[40:41], v[42:43], v[32:33] op_sel:[0,0,1] op_sel_hi:[1,0,0]
	s_nop 0
	v_mov_b32_e32 v35, v33
	v_pk_add_f32 v[26:27], v[26:27], v[34:35]
	ds_write_b64 v23, v[26:27]
	s_waitcnt lgkmcnt(0)
	s_barrier
	s_and_saveexec_b64 s[8:9], s[6:7]
	s_cbranch_execz .LBB116_86
; %bb.85:
	ds_read2_b64 v[32:35], v24 offset1:1
	ds_read2_b64 v[36:39], v24 offset0:2 offset1:3
	ds_read2_b64 v[40:43], v24 offset0:6 offset1:7
	s_waitcnt lgkmcnt(2)
	v_pk_add_f32 v[26:27], v[30:31], v[32:33]
	ds_read2_b64 v[30:33], v24 offset0:4 offset1:5
	v_pk_add_f32 v[26:27], v[26:27], v[34:35]
	s_waitcnt lgkmcnt(2)
	v_pk_add_f32 v[26:27], v[26:27], v[36:37]
	s_nop 0
	v_pk_add_f32 v[26:27], v[26:27], v[38:39]
	s_waitcnt lgkmcnt(0)
	v_pk_add_f32 v[26:27], v[26:27], v[30:31]
	s_nop 0
	v_pk_add_f32 v[26:27], v[26:27], v[32:33]
	s_nop 0
	;; [unrolled: 2-line block ×3, first 2 shown]
	v_pk_add_f32 v[30:31], v[26:27], v[42:43]
.LBB116_86:
	s_or_b64 exec, exec, s[8:9]
	v_pk_mul_f32 v[26:27], v[8:9], v[20:21] op_sel:[0,1]
	s_nop 0
	v_pk_fma_f32 v[32:33], v[8:9], v[20:21], v[26:27] op_sel:[0,0,1] op_sel_hi:[1,1,0] neg_lo:[0,0,1] neg_hi:[0,0,1]
	v_pk_fma_f32 v[8:9], v[8:9], v[20:21], v[26:27] op_sel:[0,0,1] op_sel_hi:[1,0,0]
	v_pk_mul_f32 v[20:21], v[10:11], v[4:5] op_sel:[0,1]
	v_mov_b32_e32 v33, v9
	v_pk_fma_f32 v[26:27], v[10:11], v[4:5], v[20:21] op_sel:[0,0,1] op_sel_hi:[1,1,0] neg_lo:[0,0,1] neg_hi:[0,0,1]
	v_pk_fma_f32 v[4:5], v[10:11], v[4:5], v[20:21] op_sel:[0,0,1] op_sel_hi:[1,0,0]
	v_pk_add_f32 v[8:9], v[32:33], 0 op_sel_hi:[1,0]
	v_mov_b32_e32 v27, v5
	v_pk_add_f32 v[4:5], v[8:9], v[26:27]
	v_pk_mul_f32 v[8:9], v[0:1], v[6:7] op_sel:[0,1]
	s_barrier
	v_pk_fma_f32 v[10:11], v[0:1], v[6:7], v[8:9] op_sel:[0,0,1] op_sel_hi:[1,1,0] neg_lo:[0,0,1] neg_hi:[0,0,1]
	v_pk_fma_f32 v[0:1], v[0:1], v[6:7], v[8:9] op_sel:[0,0,1] op_sel_hi:[1,0,0]
	s_nop 0
	v_mov_b32_e32 v11, v1
	v_pk_add_f32 v[0:1], v[4:5], v[10:11]
	v_pk_mul_f32 v[4:5], v[2:3], v[18:19] op_sel:[0,1]
	s_nop 0
	v_pk_fma_f32 v[6:7], v[2:3], v[18:19], v[4:5] op_sel:[0,0,1] op_sel_hi:[1,1,0] neg_lo:[0,0,1] neg_hi:[0,0,1]
	v_pk_fma_f32 v[2:3], v[2:3], v[18:19], v[4:5] op_sel:[0,0,1] op_sel_hi:[1,0,0]
	s_nop 0
	v_mov_b32_e32 v7, v3
	v_pk_add_f32 v[0:1], v[0:1], v[6:7]
	ds_write_b64 v23, v[0:1]
	s_waitcnt lgkmcnt(0)
	s_barrier
	s_and_saveexec_b64 s[6:7], s[14:15]
	s_cbranch_execz .LBB116_88
; %bb.87:
	ds_read2_b64 v[0:3], v24 offset1:1
	ds_read2_b64 v[4:7], v24 offset0:2 offset1:3
	ds_read2_b64 v[8:11], v24 offset0:4 offset1:5
	s_waitcnt lgkmcnt(2)
	v_pk_add_f32 v[0:1], v[30:31], v[0:1]
	s_nop 0
	v_pk_add_f32 v[18:19], v[0:1], v[2:3]
	ds_read2_b64 v[0:3], v24 offset0:6 offset1:7
	s_waitcnt lgkmcnt(2)
	v_pk_add_f32 v[4:5], v[18:19], v[4:5]
	s_nop 0
	v_pk_add_f32 v[4:5], v[4:5], v[6:7]
	s_waitcnt lgkmcnt(1)
	v_pk_add_f32 v[4:5], v[4:5], v[8:9]
	s_nop 0
	v_pk_add_f32 v[4:5], v[4:5], v[10:11]
	;; [unrolled: 4-line block ×3, first 2 shown]
.LBB116_88:
	s_or_b64 exec, exec, s[6:7]
	s_load_dwordx2 s[0:1], s[0:1], 0x68
	s_mul_hi_u32 s6, s35, s3
	s_mul_i32 s36, s36, s3
	s_add_i32 s6, s6, s36
	s_mul_i32 s3, s35, s3
	s_mul_i32 s6, s6, s33
	s_mul_hi_u32 s7, s3, s33
	s_add_i32 s7, s7, s6
	s_mul_i32 s6, s3, s33
	s_lshl_b64 s[6:7], s[6:7], 3
	s_waitcnt lgkmcnt(0)
	s_add_u32 s3, s0, s6
	s_addc_u32 s6, s1, s7
	s_mul_hi_i32 s1, s35, s2
	s_mul_i32 s0, s35, s2
	s_lshl_b64 s[0:1], s[0:1], 3
	s_add_u32 s8, s3, s0
	s_addc_u32 s9, s6, s1
	s_add_i32 s0, s2, 1
	s_cmp_ge_u32 s0, s33
	v_lshlrev_b32_e32 v32, 3, v122
	s_barrier
	s_cbranch_scc1 .LBB116_146
; %bb.89:
	s_mul_i32 s0, s26, s29
	s_mul_hi_u32 s1, s26, s28
	s_add_i32 s0, s1, s0
	s_mul_i32 s1, s27, s28
	s_add_i32 s1, s0, s1
	s_mul_i32 s0, s26, s28
	s_lshl_b64 s[0:1], s[0:1], 3
	v_mov_b32_e32 v0, s1
	v_subrev_co_u32_e32 v34, vcc, s0, v12
	v_and_b32_e32 v2, 48, v122
	s_nop 0
	v_subb_co_u32_e32 v35, vcc, v13, v0, vcc
	v_and_b32_e32 v0, 15, v122
	v_lshlrev_b32_e32 v3, 3, v2
	s_movk_i32 s0, 0x218
	v_lshrrev_b32_e32 v1, 4, v22
	v_mad_u32_u24 v127, v0, s0, v3
	v_or_b32_e32 v3, 0x78, v32
	v_mad_u32_u24 v128, v0, s0, v3
	v_lshlrev_b32_e32 v3, 5, v1
	v_lshlrev_b32_e32 v6, 5, v123
	v_mad_u32_u24 v129, v0, s0, v3
	s_movk_i32 s0, 0x860
	v_add_u32_e32 v3, 0x100, v6
	v_mad_u32_u24 v134, v123, s0, v32
	v_mul_i32_i24_e32 v7, 0xffffffe8, v1
	v_or_b32_e32 v147, v2, v0
	v_mad_u64_u32 v[0:1], s[0:1], s20, v3, 0
	v_mov_b32_e32 v2, v1
	v_mad_u64_u32 v[2:3], s[0:1], s21, v3, v[2:3]
	v_mov_b32_e32 v1, v2
	v_lshlrev_b64 v[2:3], 3, v[14:15]
	v_sub_co_u32_e32 v0, vcc, v0, v2
	v_add_u32_e32 v5, 0x110, v6
	s_nop 0
	v_subb_co_u32_e32 v1, vcc, v1, v3, vcc
	v_lshl_add_u64 v[38:39], v[16:17], 0, v[0:1]
	v_mad_u64_u32 v[0:1], s[0:1], s20, v5, 0
	v_mov_b32_e32 v4, v1
	v_mad_u64_u32 v[4:5], s[0:1], s21, v5, v[4:5]
	v_mov_b32_e32 v1, v4
	v_sub_co_u32_e32 v0, vcc, v0, v2
	v_add_u32_e32 v5, 0x108, v6
	s_nop 0
	v_subb_co_u32_e32 v1, vcc, v1, v3, vcc
	v_lshl_add_u64 v[40:41], v[16:17], 0, v[0:1]
	v_mad_u64_u32 v[0:1], s[0:1], s20, v5, 0
	v_mov_b32_e32 v4, v1
	v_mad_u64_u32 v[4:5], s[0:1], s21, v5, v[4:5]
	v_mov_b32_e32 v1, v4
	;; [unrolled: 9-line block ×15, first 2 shown]
	v_sub_co_u32_e32 v0, vcc, v0, v2
	v_lshlrev_b32_e32 v124, 2, v123
	v_mov_b32_e32 v36, 0
	v_subb_co_u32_e32 v1, vcc, v1, v3, vcc
	s_add_i32 s3, s33, -2
	v_add_u32_e32 v125, 0x2180, v32
	v_add_u32_e32 v126, 0x2380, v32
	v_cmp_gt_u32_e64 s[6:7], 64, v22
	v_or_b32_e32 v130, 1, v124
	v_or_b32_e32 v131, 2, v124
	;; [unrolled: 1-line block ×3, first 2 shown]
	v_add_u32_e32 v133, 0x2180, v6
	v_add_u32_e32 v135, 16, v124
	;; [unrolled: 1-line block ×13, first 2 shown]
	s_add_i32 s22, s26, 64
	v_mov_b32_e32 v33, v36
	s_lshl_b64 s[10:11], s[20:21], 9
	v_lshl_add_u64 v[68:69], v[16:17], 0, v[0:1]
	v_add_u32_e32 v148, v129, v7
	s_branch .LBB116_91
.LBB116_90:                             ;   in Loop: Header=BB116_91 Depth=1
	s_or_b64 exec, exec, s[0:1]
	v_mul_f32_e32 v0, v79, v73
	v_fma_f32 v0, v78, v72, -v0
	v_mul_f32_e32 v2, v81, v71
	v_add_f32_e32 v0, v30, v0
	v_fma_f32 v2, v80, v70, -v2
	v_add_f32_e32 v0, v0, v2
	v_mul_f32_e32 v2, v83, v75
	v_fma_f32 v2, v82, v74, -v2
	v_mul_f32_e32 v1, v79, v72
	v_add_f32_e32 v0, v0, v2
	v_mul_f32_e32 v2, v85, v77
	v_mul_f32_e32 v3, v81, v70
	v_fma_f32 v2, v84, v76, -v2
	v_fmac_f32_e32 v1, v78, v73
	v_mul_f32_e32 v4, v83, v74
	v_add_f32_e32 v0, v0, v2
	v_add_f32_e32 v1, v31, v1
	v_fmac_f32_e32 v3, v80, v71
	v_mul_f32_e32 v2, v95, v89
	v_mul_f32_e32 v5, v85, v76
	v_add_f32_e32 v1, v1, v3
	v_fmac_f32_e32 v4, v82, v75
	v_fma_f32 v2, v94, v88, -v2
	v_add_f32_e32 v1, v1, v4
	v_fmac_f32_e32 v5, v84, v77
	v_mul_f32_e32 v6, v95, v88
	v_add_f32_e32 v0, v0, v2
	v_mul_f32_e32 v2, v97, v87
	v_add_f32_e32 v1, v1, v5
	v_fma_f32 v2, v96, v86, -v2
	v_mul_f32_e32 v7, v97, v86
	v_fmac_f32_e32 v6, v94, v89
	v_add_f32_e32 v0, v0, v2
	v_mul_f32_e32 v2, v99, v91
	v_mul_f32_e32 v3, v99, v90
	v_add_f32_e32 v1, v1, v6
	v_fmac_f32_e32 v7, v96, v87
	v_fma_f32 v2, v98, v90, -v2
	v_add_f32_e32 v1, v1, v7
	v_fmac_f32_e32 v3, v98, v91
	v_mul_f32_e32 v4, v101, v93
	v_mul_f32_e32 v5, v101, v92
	v_pk_add_f32 v[0:1], v[0:1], v[2:3]
	v_mov_b32_e32 v2, v105
	v_fma_f32 v4, v100, v92, -v4
	v_fmac_f32_e32 v5, v100, v93
	v_pk_mul_f32 v[2:3], v[110:111], v[2:3] op_sel_hi:[1,0]
	v_pk_add_f32 v[0:1], v[0:1], v[4:5]
	v_pk_fma_f32 v[4:5], v[110:111], v[104:105], v[2:3] op_sel:[0,0,1] op_sel_hi:[1,1,0] neg_lo:[0,0,1] neg_hi:[0,0,1]
	v_pk_fma_f32 v[2:3], v[110:111], v[104:105], v[2:3] op_sel:[0,0,1] op_sel_hi:[1,0,0]
	s_add_i32 s0, s2, 1
	v_mov_b32_e32 v2, v103
	v_mov_b32_e32 v5, v3
	v_pk_mul_f32 v[2:3], v[8:9], v[2:3] op_sel_hi:[1,0]
	v_pk_add_f32 v[0:1], v[0:1], v[4:5]
	v_pk_fma_f32 v[4:5], v[8:9], v[102:103], v[2:3] op_sel:[0,0,1] op_sel_hi:[1,1,0] neg_lo:[0,0,1] neg_hi:[0,0,1]
	v_pk_fma_f32 v[2:3], v[8:9], v[102:103], v[2:3] op_sel:[0,0,1] op_sel_hi:[1,0,0]
	s_add_i32 s22, s22, 64
	v_mov_b32_e32 v2, v107
	v_mov_b32_e32 v5, v3
	;; [unrolled: 7-line block ×3, first 2 shown]
	v_pk_mul_f32 v[2:3], v[114:115], v[2:3] op_sel_hi:[1,0]
	v_pk_add_f32 v[0:1], v[0:1], v[4:5]
	v_pk_fma_f32 v[4:5], v[114:115], v[108:109], v[2:3] op_sel:[0,0,1] op_sel_hi:[1,1,0] neg_lo:[0,0,1] neg_hi:[0,0,1]
	v_pk_fma_f32 v[2:3], v[114:115], v[108:109], v[2:3] op_sel:[0,0,1] op_sel_hi:[1,0,0]
	v_lshl_add_u64 v[38:39], v[38:39], 0, s[10:11]
	v_mov_b32_e32 v2, v117
	v_mov_b32_e32 v5, v3
	v_pk_mul_f32 v[2:3], v[16:17], v[2:3] op_sel_hi:[1,0]
	v_pk_add_f32 v[0:1], v[0:1], v[4:5]
	v_pk_fma_f32 v[4:5], v[16:17], v[116:117], v[2:3] op_sel:[0,0,1] op_sel_hi:[1,1,0] neg_lo:[0,0,1] neg_hi:[0,0,1]
	v_pk_fma_f32 v[2:3], v[16:17], v[116:117], v[2:3] op_sel:[0,0,1] op_sel_hi:[1,0,0]
	v_lshl_add_u64 v[40:41], v[40:41], 0, s[10:11]
	v_mov_b32_e32 v2, v113
	v_mov_b32_e32 v5, v3
	;; [unrolled: 7-line block ×4, first 2 shown]
	v_pk_mul_f32 v[2:3], v[14:15], v[2:3] op_sel_hi:[1,0]
	v_pk_add_f32 v[0:1], v[0:1], v[8:9]
	v_pk_fma_f32 v[10:11], v[14:15], v[120:121], v[2:3] op_sel:[0,0,1] op_sel_hi:[1,1,0] neg_lo:[0,0,1] neg_hi:[0,0,1]
	v_pk_fma_f32 v[2:3], v[14:15], v[120:121], v[2:3] op_sel:[0,0,1] op_sel_hi:[1,0,0]
	v_lshl_add_u64 v[46:47], v[46:47], 0, s[10:11]
	v_mov_b32_e32 v11, v3
	v_pk_add_f32 v[30:31], v[0:1], v[10:11]
	v_lshl_add_u64 v[48:49], v[48:49], 0, s[10:11]
	v_lshl_add_u64 v[50:51], v[50:51], 0, s[10:11]
	;; [unrolled: 1-line block ×11, first 2 shown]
	s_cmp_ge_u32 s1, s33
	s_mov_b32 s2, s0
	s_barrier
	s_cbranch_scc1 .LBB116_146
.LBB116_91:                             ; =>This Inner Loop Header: Depth=1
	s_cmp_eq_u32 s3, s2
	s_cselect_b32 s23, s34, 0
	s_and_saveexec_b64 s[0:1], s[4:5]
	s_cbranch_execz .LBB116_96
; %bb.92:                               ;   in Loop: Header=BB116_91 Depth=1
	s_cmp_lg_u32 s23, 0
	s_cselect_b64 s[12:13], -1, 0
	v_cmp_le_i32_e32 vcc, s23, v122
	s_and_b64 s[12:13], s[12:13], vcc
	s_and_saveexec_b64 s[14:15], s[12:13]
	s_xor_b64 s[12:13], exec, s[14:15]
	s_cbranch_execz .LBB116_94
; %bb.93:                               ;   in Loop: Header=BB116_91 Depth=1
	v_mov_b32_e32 v37, v36
	ds_write_b64 v125, v[36:37]
.LBB116_94:                             ;   in Loop: Header=BB116_91 Depth=1
	s_andn2_saveexec_b64 s[12:13], s[12:13]
	s_cbranch_execz .LBB116_96
; %bb.95:                               ;   in Loop: Header=BB116_91 Depth=1
	s_ashr_i32 s12, s22, 31
	s_mul_i32 s13, s22, s29
	s_mul_hi_u32 s14, s22, s28
	s_add_i32 s13, s14, s13
	s_mul_i32 s12, s12, s28
	s_add_i32 s13, s13, s12
	s_mul_i32 s12, s22, s28
	v_lshl_add_u64 v[0:1], s[12:13], 3, v[34:35]
	global_load_dwordx2 v[0:1], v[0:1], off
	s_waitcnt vmcnt(0)
	ds_write_b64 v125, v[0:1]
.LBB116_96:                             ;   in Loop: Header=BB116_91 Depth=1
	s_or_b64 exec, exec, s[0:1]
	s_cmp_eq_u32 s23, 0
	s_cselect_b64 s[12:13], -1, 0
	s_cmp_lg_u32 s23, 0
	s_cselect_b64 s[14:15], -1, 0
	v_lshl_add_u64 v[0:1], v[38:39], 0, v[32:33]
	s_and_b64 vcc, exec, s[14:15]
	s_waitcnt lgkmcnt(0)
	s_barrier
	s_cbranch_vccz .LBB116_104
; %bb.97:                               ;   in Loop: Header=BB116_91 Depth=1
	v_mov_b64_e32 v[70:71], 0
	v_cmp_gt_i32_e32 vcc, s23, v124
	v_mov_b64_e32 v[72:73], v[70:71]
	s_and_saveexec_b64 s[0:1], vcc
	s_cbranch_execz .LBB116_99
; %bb.98:                               ;   in Loop: Header=BB116_91 Depth=1
	global_load_dwordx2 v[72:73], v[0:1], off
.LBB116_99:                             ;   in Loop: Header=BB116_91 Depth=1
	s_or_b64 exec, exec, s[0:1]
	v_cmp_gt_i32_e32 vcc, s23, v130
	s_and_saveexec_b64 s[0:1], vcc
	s_cbranch_execz .LBB116_101
; %bb.100:                              ;   in Loop: Header=BB116_91 Depth=1
	v_lshl_add_u64 v[2:3], v[42:43], 0, v[32:33]
	global_load_dwordx2 v[70:71], v[2:3], off
.LBB116_101:                            ;   in Loop: Header=BB116_91 Depth=1
	s_or_b64 exec, exec, s[0:1]
	v_cmp_gt_i32_e32 vcc, s23, v131
	v_mov_b64_e32 v[74:75], 0
	s_and_saveexec_b64 s[0:1], vcc
	s_cbranch_execz .LBB116_103
; %bb.102:                              ;   in Loop: Header=BB116_91 Depth=1
	v_lshl_add_u64 v[2:3], v[40:41], 0, v[32:33]
	global_load_dwordx2 v[74:75], v[2:3], off
.LBB116_103:                            ;   in Loop: Header=BB116_91 Depth=1
	s_or_b64 exec, exec, s[0:1]
	v_cmp_gt_i32_e64 s[0:1], s23, v132
	s_mov_b64 s[16:17], 0
	s_branch .LBB116_106
.LBB116_104:                            ;   in Loop: Header=BB116_91 Depth=1
	s_mov_b64 s[0:1], 0
                                        ; implicit-def: $sgpr16_sgpr17
                                        ; implicit-def: $vgpr74_vgpr75
                                        ; implicit-def: $vgpr70_vgpr71
                                        ; implicit-def: $vgpr72_vgpr73
	s_cbranch_execz .LBB116_106
; %bb.105:                              ;   in Loop: Header=BB116_91 Depth=1
	global_load_dwordx2 v[72:73], v[0:1], off
	v_lshl_add_u64 v[0:1], v[42:43], 0, v[32:33]
	global_load_dwordx2 v[70:71], v[0:1], off
	v_lshl_add_u64 v[0:1], v[40:41], 0, v[32:33]
	global_load_dwordx2 v[74:75], v[0:1], off
	s_or_b64 s[0:1], s[0:1], exec
                                        ; implicit-def: $sgpr16_sgpr17
.LBB116_106:                            ;   in Loop: Header=BB116_91 Depth=1
	v_mov_b64_e32 v[76:77], s[16:17]
	s_and_saveexec_b64 s[16:17], s[0:1]
	s_cbranch_execz .LBB116_108
; %bb.107:                              ;   in Loop: Header=BB116_91 Depth=1
	v_lshl_add_u64 v[0:1], v[44:45], 0, v[32:33]
	global_load_dwordx2 v[76:77], v[0:1], off
.LBB116_108:                            ;   in Loop: Header=BB116_91 Depth=1
	s_or_b64 exec, exec, s[16:17]
	ds_read_b64 v[0:1], v126
	ds_read_b64 v[78:79], v133
	v_cndmask_b32_e64 v8, 0, 1, s[14:15]
	v_cmp_ne_u32_e64 s[0:1], 1, v8
	s_andn2_b64 vcc, exec, s[14:15]
	s_waitcnt vmcnt(0) lgkmcnt(1)
	v_mul_f32_e32 v2, v1, v73
	v_mul_f32_e32 v3, v1, v72
	v_fma_f32 v2, v0, v72, -v2
	v_fmac_f32_e32 v3, v0, v73
	v_mul_f32_e32 v4, v1, v71
	ds_write_b64 v134, v[2:3]
	v_mul_f32_e32 v3, v1, v70
	v_fma_f32 v2, v0, v70, -v4
	v_fmac_f32_e32 v3, v0, v71
	ds_read_b64 v[80:81], v133 offset:8
	ds_write_b64 v134, v[2:3] offset:536
	v_mul_f32_e32 v2, v1, v75
	v_mul_f32_e32 v3, v1, v74
	v_fma_f32 v2, v0, v74, -v2
	v_fmac_f32_e32 v3, v0, v75
	ds_read_b64 v[82:83], v133 offset:16
	ds_write_b64 v134, v[2:3] offset:1072
	v_mul_f32_e32 v2, v1, v77
	v_mul_f32_e32 v3, v0, v77
	v_fma_f32 v2, v0, v76, -v2
	v_fmac_f32_e32 v3, v1, v76
	ds_read_b64 v[84:85], v133 offset:24
	ds_write_b64 v134, v[2:3] offset:1608
	s_waitcnt lgkmcnt(0)
	s_barrier
	ds_read2_b64 v[4:7], v129 offset1:1
	ds_read2_b64 v[0:3], v129 offset0:2 offset1:3
	v_lshl_add_u64 v[8:9], v[46:47], 0, v[32:33]
	s_waitcnt lgkmcnt(0)
	s_barrier
	s_cbranch_vccnz .LBB116_116
; %bb.109:                              ;   in Loop: Header=BB116_91 Depth=1
	v_mov_b64_e32 v[86:87], 0
	v_cmp_gt_i32_e32 vcc, s23, v135
	v_mov_b64_e32 v[88:89], v[86:87]
	s_and_saveexec_b64 s[14:15], vcc
	s_cbranch_execz .LBB116_111
; %bb.110:                              ;   in Loop: Header=BB116_91 Depth=1
	global_load_dwordx2 v[88:89], v[8:9], off
.LBB116_111:                            ;   in Loop: Header=BB116_91 Depth=1
	s_or_b64 exec, exec, s[14:15]
	v_cmp_gt_i32_e32 vcc, s23, v136
	s_and_saveexec_b64 s[14:15], vcc
	s_cbranch_execz .LBB116_113
; %bb.112:                              ;   in Loop: Header=BB116_91 Depth=1
	v_lshl_add_u64 v[10:11], v[48:49], 0, v[32:33]
	global_load_dwordx2 v[86:87], v[10:11], off
.LBB116_113:                            ;   in Loop: Header=BB116_91 Depth=1
	s_or_b64 exec, exec, s[14:15]
	v_cmp_gt_i32_e32 vcc, s23, v137
	v_mov_b64_e32 v[90:91], 0
	s_and_saveexec_b64 s[14:15], vcc
	s_cbranch_execz .LBB116_115
; %bb.114:                              ;   in Loop: Header=BB116_91 Depth=1
	v_lshl_add_u64 v[10:11], v[50:51], 0, v[32:33]
	global_load_dwordx2 v[90:91], v[10:11], off
.LBB116_115:                            ;   in Loop: Header=BB116_91 Depth=1
	s_or_b64 exec, exec, s[14:15]
	v_cmp_gt_i32_e64 s[14:15], s23, v138
	s_mov_b64 s[16:17], 0
	s_branch .LBB116_118
.LBB116_116:                            ;   in Loop: Header=BB116_91 Depth=1
	s_mov_b64 s[14:15], 0
                                        ; implicit-def: $sgpr16_sgpr17
                                        ; implicit-def: $vgpr90_vgpr91
                                        ; implicit-def: $vgpr86_vgpr87
                                        ; implicit-def: $vgpr88_vgpr89
	s_cbranch_execz .LBB116_118
; %bb.117:                              ;   in Loop: Header=BB116_91 Depth=1
	global_load_dwordx2 v[88:89], v[8:9], off
	v_lshl_add_u64 v[8:9], v[48:49], 0, v[32:33]
	global_load_dwordx2 v[86:87], v[8:9], off
	v_lshl_add_u64 v[8:9], v[50:51], 0, v[32:33]
	global_load_dwordx2 v[90:91], v[8:9], off
	s_or_b64 s[14:15], s[14:15], exec
                                        ; implicit-def: $sgpr16_sgpr17
.LBB116_118:                            ;   in Loop: Header=BB116_91 Depth=1
	v_mov_b64_e32 v[92:93], s[16:17]
	s_and_saveexec_b64 s[16:17], s[14:15]
	s_cbranch_execz .LBB116_120
; %bb.119:                              ;   in Loop: Header=BB116_91 Depth=1
	v_lshl_add_u64 v[8:9], v[52:53], 0, v[32:33]
	global_load_dwordx2 v[92:93], v[8:9], off
.LBB116_120:                            ;   in Loop: Header=BB116_91 Depth=1
	s_or_b64 exec, exec, s[16:17]
	ds_read_b64 v[8:9], v126
	ds_read_b64 v[94:95], v133 offset:128
	s_and_b64 vcc, exec, s[0:1]
	s_waitcnt vmcnt(0) lgkmcnt(1)
	v_mul_f32_e32 v10, v9, v89
	v_mul_f32_e32 v11, v9, v88
	v_fma_f32 v10, v8, v88, -v10
	v_fmac_f32_e32 v11, v8, v89
	v_mul_f32_e32 v12, v9, v87
	ds_write_b64 v134, v[10:11]
	v_mul_f32_e32 v11, v9, v86
	v_fma_f32 v10, v8, v86, -v12
	v_fmac_f32_e32 v11, v8, v87
	ds_read_b64 v[96:97], v133 offset:136
	ds_write_b64 v134, v[10:11] offset:536
	v_mul_f32_e32 v10, v9, v91
	v_mul_f32_e32 v11, v9, v90
	v_fma_f32 v10, v8, v90, -v10
	v_fmac_f32_e32 v11, v8, v91
	ds_read_b64 v[98:99], v133 offset:144
	ds_write_b64 v134, v[10:11] offset:1072
	v_mul_f32_e32 v10, v9, v93
	v_mul_f32_e32 v11, v8, v93
	v_fma_f32 v10, v8, v92, -v10
	v_fmac_f32_e32 v11, v9, v92
	ds_read_b64 v[100:101], v133 offset:152
	ds_write_b64 v134, v[10:11] offset:1608
	s_waitcnt lgkmcnt(0)
	s_barrier
	ds_read2_b64 v[16:19], v129 offset1:1
	ds_read2_b64 v[12:15], v129 offset0:2 offset1:3
	v_lshl_add_u64 v[8:9], v[54:55], 0, v[32:33]
	s_waitcnt lgkmcnt(0)
	s_barrier
	s_cbranch_vccnz .LBB116_128
; %bb.121:                              ;   in Loop: Header=BB116_91 Depth=1
	v_mov_b64_e32 v[102:103], 0
	v_cmp_gt_i32_e32 vcc, s23, v139
	v_mov_b64_e32 v[104:105], v[102:103]
	s_and_saveexec_b64 s[14:15], vcc
	s_cbranch_execz .LBB116_123
; %bb.122:                              ;   in Loop: Header=BB116_91 Depth=1
	global_load_dwordx2 v[104:105], v[8:9], off
.LBB116_123:                            ;   in Loop: Header=BB116_91 Depth=1
	s_or_b64 exec, exec, s[14:15]
	v_cmp_gt_i32_e32 vcc, s23, v140
	s_and_saveexec_b64 s[14:15], vcc
	s_cbranch_execz .LBB116_125
; %bb.124:                              ;   in Loop: Header=BB116_91 Depth=1
	v_lshl_add_u64 v[10:11], v[56:57], 0, v[32:33]
	global_load_dwordx2 v[102:103], v[10:11], off
.LBB116_125:                            ;   in Loop: Header=BB116_91 Depth=1
	s_or_b64 exec, exec, s[14:15]
	v_cmp_gt_i32_e32 vcc, s23, v141
	v_mov_b64_e32 v[106:107], 0
	s_and_saveexec_b64 s[14:15], vcc
	s_cbranch_execz .LBB116_127
; %bb.126:                              ;   in Loop: Header=BB116_91 Depth=1
	v_lshl_add_u64 v[10:11], v[58:59], 0, v[32:33]
	global_load_dwordx2 v[106:107], v[10:11], off
.LBB116_127:                            ;   in Loop: Header=BB116_91 Depth=1
	s_or_b64 exec, exec, s[14:15]
	v_cmp_gt_i32_e64 s[14:15], s23, v142
	s_mov_b64 s[16:17], 0
	s_branch .LBB116_130
.LBB116_128:                            ;   in Loop: Header=BB116_91 Depth=1
	s_mov_b64 s[14:15], 0
                                        ; implicit-def: $sgpr16_sgpr17
                                        ; implicit-def: $vgpr106_vgpr107
                                        ; implicit-def: $vgpr102_vgpr103
                                        ; implicit-def: $vgpr104_vgpr105
	s_cbranch_execz .LBB116_130
; %bb.129:                              ;   in Loop: Header=BB116_91 Depth=1
	global_load_dwordx2 v[104:105], v[8:9], off
	v_lshl_add_u64 v[8:9], v[56:57], 0, v[32:33]
	global_load_dwordx2 v[102:103], v[8:9], off
	v_lshl_add_u64 v[8:9], v[58:59], 0, v[32:33]
	global_load_dwordx2 v[106:107], v[8:9], off
	s_or_b64 s[14:15], s[14:15], exec
                                        ; implicit-def: $sgpr16_sgpr17
.LBB116_130:                            ;   in Loop: Header=BB116_91 Depth=1
	v_mov_b64_e32 v[108:109], s[16:17]
	s_and_saveexec_b64 s[16:17], s[14:15]
	s_cbranch_execz .LBB116_132
; %bb.131:                              ;   in Loop: Header=BB116_91 Depth=1
	v_lshl_add_u64 v[8:9], v[60:61], 0, v[32:33]
	global_load_dwordx2 v[108:109], v[8:9], off
.LBB116_132:                            ;   in Loop: Header=BB116_91 Depth=1
	s_or_b64 exec, exec, s[16:17]
	ds_read_b64 v[8:9], v126
	ds_read_b64 v[110:111], v133 offset:256
	s_and_b64 vcc, exec, s[0:1]
	v_lshl_add_u64 v[120:121], v[62:63], 0, v[32:33]
	s_waitcnt vmcnt(0) lgkmcnt(1)
	v_mul_f32_e32 v10, v9, v105
	v_mul_f32_e32 v11, v9, v104
	;; [unrolled: 1-line block ×4, first 2 shown]
	v_fma_f32 v10, v8, v104, -v10
	v_fmac_f32_e32 v11, v8, v105
	v_fma_f32 v20, v8, v102, -v20
	v_fmac_f32_e32 v21, v8, v103
	ds_write2_b64 v134, v[10:11], v[20:21] offset1:67
	v_mul_f32_e32 v10, v9, v107
	v_mul_f32_e32 v11, v9, v106
	;; [unrolled: 1-line block ×4, first 2 shown]
	v_fma_f32 v10, v8, v106, -v10
	v_fmac_f32_e32 v11, v8, v107
	v_fma_f32 v20, v8, v108, -v20
	v_fmac_f32_e32 v21, v9, v108
	ds_write2_b64 v134, v[10:11], v[20:21] offset0:134 offset1:201
	ds_read2_b64 v[8:11], v133 offset0:33 offset1:34
	ds_read_b64 v[114:115], v133 offset:280
	s_waitcnt lgkmcnt(0)
	s_barrier
	ds_read2_b64 v[24:27], v129 offset1:1
	ds_read2_b64 v[20:23], v129 offset0:2 offset1:3
	s_waitcnt lgkmcnt(0)
	s_barrier
	s_cbranch_vccnz .LBB116_140
; %bb.133:                              ;   in Loop: Header=BB116_91 Depth=1
	v_mov_b64_e32 v[112:113], 0
	v_cmp_gt_i32_e32 vcc, s23, v143
	v_mov_b64_e32 v[116:117], v[112:113]
	s_and_saveexec_b64 s[0:1], vcc
	s_cbranch_execz .LBB116_135
; %bb.134:                              ;   in Loop: Header=BB116_91 Depth=1
	global_load_dwordx2 v[116:117], v[120:121], off
.LBB116_135:                            ;   in Loop: Header=BB116_91 Depth=1
	s_or_b64 exec, exec, s[0:1]
	v_cmp_gt_i32_e32 vcc, s23, v144
	s_and_saveexec_b64 s[0:1], vcc
	s_cbranch_execz .LBB116_137
; %bb.136:                              ;   in Loop: Header=BB116_91 Depth=1
	v_lshl_add_u64 v[112:113], v[64:65], 0, v[32:33]
	global_load_dwordx2 v[112:113], v[112:113], off
.LBB116_137:                            ;   in Loop: Header=BB116_91 Depth=1
	s_or_b64 exec, exec, s[0:1]
	v_cmp_gt_i32_e32 vcc, s23, v145
	v_mov_b64_e32 v[118:119], 0
	s_and_saveexec_b64 s[0:1], vcc
	s_cbranch_execz .LBB116_139
; %bb.138:                              ;   in Loop: Header=BB116_91 Depth=1
	v_lshl_add_u64 v[118:119], v[66:67], 0, v[32:33]
	global_load_dwordx2 v[118:119], v[118:119], off
.LBB116_139:                            ;   in Loop: Header=BB116_91 Depth=1
	s_or_b64 exec, exec, s[0:1]
	v_cmp_gt_i32_e64 s[0:1], s23, v146
	s_mov_b64 s[14:15], 0
	s_branch .LBB116_142
.LBB116_140:                            ;   in Loop: Header=BB116_91 Depth=1
	s_mov_b64 s[0:1], 0
                                        ; implicit-def: $sgpr14_sgpr15
                                        ; implicit-def: $vgpr118_vgpr119
                                        ; implicit-def: $vgpr112_vgpr113
                                        ; implicit-def: $vgpr116_vgpr117
	s_cbranch_execz .LBB116_142
; %bb.141:                              ;   in Loop: Header=BB116_91 Depth=1
	s_waitcnt vmcnt(0)
	v_lshl_add_u64 v[112:113], v[64:65], 0, v[32:33]
	v_lshl_add_u64 v[118:119], v[66:67], 0, v[32:33]
	global_load_dwordx2 v[116:117], v[120:121], off
	s_or_b64 s[0:1], s[0:1], exec
	global_load_dwordx2 v[112:113], v[112:113], off
                                        ; implicit-def: $sgpr14_sgpr15
	s_nop 0
	global_load_dwordx2 v[118:119], v[118:119], off
.LBB116_142:                            ;   in Loop: Header=BB116_91 Depth=1
	v_mov_b64_e32 v[120:121], s[14:15]
	s_and_saveexec_b64 s[14:15], s[0:1]
	s_cbranch_execz .LBB116_144
; %bb.143:                              ;   in Loop: Header=BB116_91 Depth=1
	v_lshl_add_u64 v[120:121], v[68:69], 0, v[32:33]
	global_load_dwordx2 v[120:121], v[120:121], off
.LBB116_144:                            ;   in Loop: Header=BB116_91 Depth=1
	s_or_b64 exec, exec, s[14:15]
	v_pk_add_f32 v[24:25], v[24:25], 0 op_sel_hi:[1,0]
	v_pk_add_f32 v[16:17], v[16:17], 0 op_sel_hi:[1,0]
	v_pk_add_f32 v[24:25], v[24:25], v[26:27]
	v_pk_add_f32 v[16:17], v[16:17], v[18:19]
	;; [unrolled: 1-line block ×5, first 2 shown]
	ds_read_b64 v[20:21], v126
	v_pk_add_f32 v[26:27], v[12:13], v[14:15]
	v_pk_add_f32 v[4:5], v[4:5], 0 op_sel_hi:[1,0]
	v_cmp_gt_i32_e32 vcc, s23, v122
	v_pk_add_f32 v[150:151], v[4:5], v[6:7]
	s_waitcnt vmcnt(0) lgkmcnt(0)
	v_mul_f32_e32 v12, v21, v117
	v_mul_f32_e32 v13, v21, v116
	;; [unrolled: 1-line block ×4, first 2 shown]
	v_fma_f32 v12, v20, v116, -v12
	v_fmac_f32_e32 v13, v20, v117
	v_fma_f32 v14, v20, v112, -v14
	v_fmac_f32_e32 v15, v20, v113
	ds_write2_b64 v134, v[12:13], v[14:15] offset1:67
	v_mul_f32_e32 v12, v21, v119
	v_mul_f32_e32 v13, v21, v118
	;; [unrolled: 1-line block ×4, first 2 shown]
	v_fma_f32 v12, v20, v118, -v12
	v_fmac_f32_e32 v13, v20, v119
	v_fma_f32 v14, v20, v120, -v14
	v_fmac_f32_e32 v15, v21, v120
	ds_write2_b64 v134, v[12:13], v[14:15] offset0:134 offset1:201
	ds_read_b128 v[16:19], v133 offset:384
	ds_read_b128 v[12:15], v133 offset:400
	s_waitcnt lgkmcnt(0)
	s_barrier
	ds_read2_b64 v[20:23], v129 offset1:1
	ds_read2_b64 v[4:7], v129 offset0:2 offset1:3
	v_pk_add_f32 v[0:1], v[150:151], v[0:1]
	s_or_b64 s[0:1], s[12:13], vcc
	v_pk_add_f32 v[0:1], v[0:1], v[2:3]
	s_waitcnt lgkmcnt(1)
	v_pk_add_f32 v[2:3], v[20:21], 0 op_sel_hi:[1,0]
	s_and_b64 s[12:13], s[6:7], s[0:1]
	v_pk_add_f32 v[2:3], v[2:3], v[22:23]
	s_waitcnt lgkmcnt(0)
	v_pk_add_f32 v[2:3], v[2:3], v[4:5]
	s_barrier
	v_pk_add_f32 v[2:3], v[2:3], v[6:7]
	ds_write2_b64 v148, v[0:1], v[26:27] offset1:16
	ds_write2_b64 v148, v[24:25], v[2:3] offset0:32 offset1:48
	s_waitcnt lgkmcnt(0)
	s_barrier
	s_and_saveexec_b64 s[0:1], s[12:13]
	s_cbranch_execz .LBB116_90
; %bb.145:                              ;   in Loop: Header=BB116_91 Depth=1
	ds_read_b64 v[20:21], v127
	ds_read2_b64 v[0:3], v127 offset0:1 offset1:2
	ds_read2_b64 v[4:7], v127 offset0:3 offset1:4
	v_add_u32_e32 v22, s22, v147
	v_ashrrev_i32_e32 v23, 31, v22
	v_lshl_add_u64 v[24:25], v[22:23], 3, s[8:9]
	s_waitcnt lgkmcnt(1)
	v_add_f32_e32 v0, v0, v20
	v_add_f32_e32 v1, v1, v21
	;; [unrolled: 1-line block ×4, first 2 shown]
	ds_read2_b64 v[0:3], v127 offset0:5 offset1:6
	s_waitcnt lgkmcnt(1)
	v_add_f32_e32 v4, v20, v4
	v_add_f32_e32 v5, v21, v5
	;; [unrolled: 1-line block ×4, first 2 shown]
	ds_read2_b64 v[4:7], v127 offset0:7 offset1:8
	s_waitcnt lgkmcnt(1)
	v_pk_add_f32 v[0:1], v[20:21], v[0:1]
	ds_read2_b64 v[20:23], v127 offset0:9 offset1:10
	v_pk_add_f32 v[0:1], v[0:1], v[2:3]
	s_waitcnt lgkmcnt(1)
	v_pk_add_f32 v[0:1], v[0:1], v[4:5]
	s_nop 0
	v_pk_add_f32 v[4:5], v[0:1], v[6:7]
	ds_read2_b64 v[0:3], v127 offset0:11 offset1:12
	s_waitcnt lgkmcnt(1)
	v_pk_add_f32 v[20:21], v[4:5], v[20:21]
	ds_read2_b64 v[4:7], v127 offset0:13 offset1:14
	v_pk_add_f32 v[20:21], v[20:21], v[22:23]
	ds_read_b64 v[22:23], v128
	s_waitcnt lgkmcnt(2)
	v_pk_add_f32 v[0:1], v[20:21], v[0:1]
	s_nop 0
	v_pk_add_f32 v[0:1], v[0:1], v[2:3]
	s_waitcnt lgkmcnt(1)
	v_pk_add_f32 v[0:1], v[0:1], v[4:5]
	s_nop 0
	v_pk_add_f32 v[0:1], v[0:1], v[6:7]
	s_waitcnt lgkmcnt(0)
	v_pk_add_f32 v[0:1], v[0:1], v[22:23]
	global_store_dwordx2 v[24:25], v[0:1], off
	s_branch .LBB116_90
.LBB116_146:
	s_movk_i32 s0, 0x218
	v_cmp_gt_i32_e32 vcc, s24, v122
	v_mad_u32_u24 v0, v123, s0, v32
	s_or_b64 s[0:1], s[18:19], vcc
	s_and_b64 s[0:1], s[4:5], s[0:1]
	ds_write_b64 v0, v[30:31]
	s_waitcnt lgkmcnt(0)
	s_barrier
	s_and_saveexec_b64 s[2:3], s[0:1]
	s_cbranch_execz .LBB116_148
; %bb.147:
	ds_read2_b64 v[0:3], v32 offset1:67
	ds_read2_b64 v[4:7], v32 offset0:134 offset1:201
	v_lshl_add_u64 v[8:9], v[28:29], 3, s[8:9]
	s_waitcnt lgkmcnt(1)
	v_pk_add_f32 v[0:1], v[2:3], v[0:1]
	s_waitcnt lgkmcnt(0)
	v_pk_add_f32 v[0:1], v[0:1], v[4:5]
	s_nop 0
	v_pk_add_f32 v[0:1], v[0:1], v[6:7]
	global_store_dwordx2 v[8:9], v[0:1], off
.LBB116_148:
	s_endpgm
	.section	.rodata,"a",@progbits
	.p2align	6, 0x0
	.amdhsa_kernel _ZL26rocblas_hemvn_kernel_upperILb0ELi64ELi4ELi33ELi32ELi16El19rocblas_complex_numIfEPKS1_PS1_EviT6_lT7_lT5_lS6_lS7_lS5_lT8_i
		.amdhsa_group_segment_fixed_size 9600
		.amdhsa_private_segment_fixed_size 0
		.amdhsa_kernarg_size 376
		.amdhsa_user_sgpr_count 2
		.amdhsa_user_sgpr_dispatch_ptr 0
		.amdhsa_user_sgpr_queue_ptr 0
		.amdhsa_user_sgpr_kernarg_segment_ptr 1
		.amdhsa_user_sgpr_dispatch_id 0
		.amdhsa_user_sgpr_kernarg_preload_length 0
		.amdhsa_user_sgpr_kernarg_preload_offset 0
		.amdhsa_user_sgpr_private_segment_size 0
		.amdhsa_uses_dynamic_stack 0
		.amdhsa_enable_private_segment 0
		.amdhsa_system_sgpr_workgroup_id_x 1
		.amdhsa_system_sgpr_workgroup_id_y 0
		.amdhsa_system_sgpr_workgroup_id_z 1
		.amdhsa_system_sgpr_workgroup_info 0
		.amdhsa_system_vgpr_workitem_id 1
		.amdhsa_next_free_vgpr 152
		.amdhsa_next_free_sgpr 39
		.amdhsa_accum_offset 152
		.amdhsa_reserve_vcc 1
		.amdhsa_float_round_mode_32 0
		.amdhsa_float_round_mode_16_64 0
		.amdhsa_float_denorm_mode_32 3
		.amdhsa_float_denorm_mode_16_64 3
		.amdhsa_dx10_clamp 1
		.amdhsa_ieee_mode 1
		.amdhsa_fp16_overflow 0
		.amdhsa_tg_split 0
		.amdhsa_exception_fp_ieee_invalid_op 0
		.amdhsa_exception_fp_denorm_src 0
		.amdhsa_exception_fp_ieee_div_zero 0
		.amdhsa_exception_fp_ieee_overflow 0
		.amdhsa_exception_fp_ieee_underflow 0
		.amdhsa_exception_fp_ieee_inexact 0
		.amdhsa_exception_int_div_zero 0
	.end_amdhsa_kernel
	.section	.text._ZL26rocblas_hemvn_kernel_upperILb0ELi64ELi4ELi33ELi32ELi16El19rocblas_complex_numIfEPKS1_PS1_EviT6_lT7_lT5_lS6_lS7_lS5_lT8_i,"axG",@progbits,_ZL26rocblas_hemvn_kernel_upperILb0ELi64ELi4ELi33ELi32ELi16El19rocblas_complex_numIfEPKS1_PS1_EviT6_lT7_lT5_lS6_lS7_lS5_lT8_i,comdat
.Lfunc_end116:
	.size	_ZL26rocblas_hemvn_kernel_upperILb0ELi64ELi4ELi33ELi32ELi16El19rocblas_complex_numIfEPKS1_PS1_EviT6_lT7_lT5_lS6_lS7_lS5_lT8_i, .Lfunc_end116-_ZL26rocblas_hemvn_kernel_upperILb0ELi64ELi4ELi33ELi32ELi16El19rocblas_complex_numIfEPKS1_PS1_EviT6_lT7_lT5_lS6_lS7_lS5_lT8_i
                                        ; -- End function
	.section	.AMDGPU.csdata,"",@progbits
; Kernel info:
; codeLenInByte = 8584
; NumSgprs: 45
; NumVgprs: 152
; NumAgprs: 0
; TotalNumVgprs: 152
; ScratchSize: 0
; MemoryBound: 1
; FloatMode: 240
; IeeeMode: 1
; LDSByteSize: 9600 bytes/workgroup (compile time only)
; SGPRBlocks: 5
; VGPRBlocks: 18
; NumSGPRsForWavesPerEU: 45
; NumVGPRsForWavesPerEU: 152
; AccumOffset: 152
; Occupancy: 3
; WaveLimiterHint : 0
; COMPUTE_PGM_RSRC2:SCRATCH_EN: 0
; COMPUTE_PGM_RSRC2:USER_SGPR: 2
; COMPUTE_PGM_RSRC2:TRAP_HANDLER: 0
; COMPUTE_PGM_RSRC2:TGID_X_EN: 1
; COMPUTE_PGM_RSRC2:TGID_Y_EN: 0
; COMPUTE_PGM_RSRC2:TGID_Z_EN: 1
; COMPUTE_PGM_RSRC2:TIDIG_COMP_CNT: 1
; COMPUTE_PGM_RSRC3_GFX90A:ACCUM_OFFSET: 37
; COMPUTE_PGM_RSRC3_GFX90A:TG_SPLIT: 0
	.section	.text._ZL26rocblas_hemvn_kernel_upperILb0ELi64ELi4ELi33ELi32ELi16Ei19rocblas_complex_numIfEPKS1_PS1_EviT6_lT7_lT5_lS6_lS7_lS5_lT8_i,"axG",@progbits,_ZL26rocblas_hemvn_kernel_upperILb0ELi64ELi4ELi33ELi32ELi16Ei19rocblas_complex_numIfEPKS1_PS1_EviT6_lT7_lT5_lS6_lS7_lS5_lT8_i,comdat
	.globl	_ZL26rocblas_hemvn_kernel_upperILb0ELi64ELi4ELi33ELi32ELi16Ei19rocblas_complex_numIfEPKS1_PS1_EviT6_lT7_lT5_lS6_lS7_lS5_lT8_i ; -- Begin function _ZL26rocblas_hemvn_kernel_upperILb0ELi64ELi4ELi33ELi32ELi16Ei19rocblas_complex_numIfEPKS1_PS1_EviT6_lT7_lT5_lS6_lS7_lS5_lT8_i
	.p2align	8
	.type	_ZL26rocblas_hemvn_kernel_upperILb0ELi64ELi4ELi33ELi32ELi16Ei19rocblas_complex_numIfEPKS1_PS1_EviT6_lT7_lT5_lS6_lS7_lS5_lT8_i,@function
_ZL26rocblas_hemvn_kernel_upperILb0ELi64ELi4ELi33ELi32ELi16Ei19rocblas_complex_numIfEPKS1_PS1_EviT6_lT7_lT5_lS6_lS7_lS5_lT8_i: ; @_ZL26rocblas_hemvn_kernel_upperILb0ELi64ELi4ELi33ELi32ELi16Ei19rocblas_complex_numIfEPKS1_PS1_EviT6_lT7_lT5_lS6_lS7_lS5_lT8_i
; %bb.0:
	s_load_dwordx2 s[6:7], s[0:1], 0x84
	s_add_u32 s4, s0, 0x78
	s_addc_u32 s5, s1, 0
	s_waitcnt lgkmcnt(0)
	s_lshr_b32 s8, s6, 16
	s_and_b32 s6, s6, 0xffff
	s_and_b32 s7, s7, 0xffff
	s_mul_i32 s6, s8, s6
	s_mul_i32 s6, s6, s7
	s_cmpk_lg_i32 s6, 0x100
	s_cbranch_scc1 .LBB117_148
; %bb.1:
	s_load_dwordx2 s[6:7], s[0:1], 0x4
	s_mov_b64 s[8:9], -1
	s_waitcnt lgkmcnt(0)
	s_or_b32 s6, s6, s7
	s_bitset0_b32 s6, 31
	s_cmp_lg_u32 s6, 0
	s_cselect_b64 s[6:7], -1, 0
	s_and_b64 vcc, exec, s[6:7]
	s_cbranch_vccnz .LBB117_3
; %bb.2:
	s_load_dwordx2 s[8:9], s[0:1], 0x58
	s_waitcnt lgkmcnt(0)
	v_cmp_neq_f32_e64 s[10:11], s8, 1.0
	v_cmp_neq_f32_e64 s[8:9], s9, 0
	s_or_b64 s[8:9], s[10:11], s[8:9]
.LBB117_3:
	s_andn2_b64 vcc, exec, s[8:9]
	s_cbranch_vccnz .LBB117_148
; %bb.4:
	s_andn2_b64 vcc, exec, s[6:7]
	s_cbranch_vccnz .LBB117_148
; %bb.5:
	s_load_dwordx2 s[6:7], s[0:1], 0x50
	s_load_dwordx2 s[12:13], s[0:1], 0x40
	s_load_dword s35, s[0:1], 0x48
	s_load_dword s33, s[4:5], 0x0
	;; [unrolled: 1-line block ×3, first 2 shown]
	s_load_dwordx4 s[8:11], s[0:1], 0x30
	s_waitcnt lgkmcnt(0)
	s_mul_i32 s4, s3, s7
	s_mul_hi_u32 s5, s3, s6
	s_add_i32 s5, s5, s4
	s_mul_i32 s4, s3, s6
	s_lshl_b64 s[4:5], s[4:5], 3
	s_add_u32 s6, s10, s4
	s_addc_u32 s7, s11, s5
	s_lshl_b64 s[4:5], s[12:13], 3
	s_add_u32 s4, s6, s4
	s_addc_u32 s5, s7, s5
	s_ashr_i32 s37, s36, 31
	s_lshr_b32 s7, s37, 26
	v_and_b32_e32 v30, 0x3ff, v0
	s_lshl_b32 s24, s2, 6
	s_add_i32 s7, s36, s7
	s_andn2_b32 s7, s7, 63
	v_add_u32_e32 v28, s24, v30
	v_bfe_u32 v29, v0, 10, 10
	s_add_i32 s6, s33, -1
	s_sub_i32 s34, s36, s7
	v_mul_lo_u32 v0, v28, s35
	s_cmp_eq_u32 s2, s6
	v_ashrrev_i32_e32 v1, 31, v0
	s_cselect_b32 s18, s34, 0
	v_lshl_add_u64 v[12:13], v[0:1], 3, s[4:5]
	v_cmp_eq_u32_e64 s[4:5], 0, v29
	s_and_saveexec_b64 s[6:7], s[4:5]
	s_cbranch_execz .LBB117_10
; %bb.6:
	s_cmp_lg_u32 s18, 0
	s_cselect_b64 s[10:11], -1, 0
	v_cmp_le_i32_e32 vcc, s18, v30
	v_mov_b32_e32 v0, 0x2380
	s_and_b64 s[10:11], s[10:11], vcc
	v_lshl_add_u32 v0, v30, 3, v0
	s_and_saveexec_b64 s[12:13], s[10:11]
	s_xor_b64 s[10:11], exec, s[12:13]
	s_cbranch_execz .LBB117_8
; %bb.7:
	v_mov_b32_e32 v2, 0
	v_mov_b32_e32 v3, v2
	ds_write_b64 v0, v[2:3]
                                        ; implicit-def: $vgpr0
.LBB117_8:
	s_andn2_saveexec_b64 s[10:11], s[10:11]
	s_cbranch_execz .LBB117_10
; %bb.9:
	global_load_dwordx2 v[2:3], v[12:13], off
	s_waitcnt vmcnt(0)
	ds_write_b64 v0, v[2:3]
.LBB117_10:
	s_or_b64 exec, exec, s[6:7]
	s_load_dwordx4 s[12:15], s[0:1], 0x18
	s_load_dword s22, s[0:1], 0x28
	s_mul_i32 s6, s3, s9
	s_mul_hi_u32 s7, s3, s8
	s_add_i32 s7, s7, s6
	s_mul_i32 s6, s3, s8
	s_lshl_b64 s[6:7], s[6:7], 3
	s_waitcnt lgkmcnt(0)
	s_add_u32 s8, s12, s6
	s_addc_u32 s9, s13, s7
	s_lshl_b64 s[6:7], s[14:15], 3
	s_add_u32 s8, s8, s6
	s_addc_u32 s9, s9, s7
	s_ashr_i32 s25, s24, 31
	v_lshl_add_u32 v22, v29, 6, v30
	s_lshl_b64 s[6:7], s[24:25], 3
	v_and_b32_e32 v0, 31, v30
	v_lshrrev_b32_e32 v1, 5, v22
	s_add_u32 s8, s8, s6
	s_addc_u32 s9, s9, s7
	v_mad_u64_u32 v[14:15], s[6:7], v1, s22, v[0:1]
	s_mul_i32 s6, s24, s22
	s_ashr_i32 s7, s6, 31
	s_lshl_b64 s[6:7], s[6:7], 3
	s_add_u32 s6, s6, s8
	s_addc_u32 s7, s7, s9
	s_cmp_eq_u32 s18, 0
	s_cselect_b64 s[20:21], -1, 0
	s_cmp_lg_u32 s18, 0
	v_ashrrev_i32_e32 v15, 31, v14
	s_cselect_b64 s[28:29], -1, 0
	v_lshl_add_u64 v[4:5], v[14:15], 3, s[6:7]
	s_and_b64 vcc, exec, s[28:29]
	v_cmp_gt_i32_e64 s[6:7], s18, v0
	v_lshlrev_b32_e32 v2, 3, v0
	s_cbranch_vccz .LBB117_26
; %bb.11:
	v_sub_co_u32_e32 v6, vcc, v4, v2
	s_ashr_i32 s19, s18, 31
	s_nop 0
	v_subbrev_co_u32_e32 v7, vcc, 0, v5, vcc
	v_lshl_add_u64 v[6:7], s[18:19], 3, v[6:7]
	v_lshl_add_u64 v[6:7], v[6:7], 0, -8
	v_mov_b32_e32 v8, 0
	v_cndmask_b32_e64 v7, v7, v5, s[6:7]
	v_cndmask_b32_e64 v6, v6, v4, s[6:7]
	v_cmp_gt_i32_e32 vcc, s18, v1
	v_mov_b32_e32 v9, v8
	s_and_saveexec_b64 s[8:9], vcc
	s_cbranch_execz .LBB117_13
; %bb.12:
	global_load_dwordx2 v[8:9], v[6:7], off
.LBB117_13:
	s_or_b64 exec, exec, s[8:9]
	v_mul_u32_u24_e32 v3, 33, v1
	v_add_lshl_u32 v3, v3, v0, 3
	s_waitcnt vmcnt(0)
	ds_write_b64 v3, v[8:9]
	v_add_u32_e32 v8, 8, v1
	v_cmp_le_i32_e32 vcc, s18, v8
	s_and_saveexec_b64 s[8:9], vcc
	s_xor_b64 s[8:9], exec, s[8:9]
	s_cbranch_execz .LBB117_15
; %bb.14:
	v_mul_u32_u24_e32 v8, 33, v8
	v_add_lshl_u32 v10, v8, v0, 3
	v_mov_b32_e32 v8, 0
	v_mov_b32_e32 v9, v8
	ds_write_b64 v10, v[8:9]
.LBB117_15:
	s_andn2_saveexec_b64 s[8:9], s[8:9]
	s_cbranch_execz .LBB117_17
; %bb.16:
	s_lshl_b32 s10, s22, 3
	s_ashr_i32 s11, s10, 31
	v_lshl_add_u64 v[8:9], s[10:11], 3, v[6:7]
	global_load_dwordx2 v[8:9], v[8:9], off
	s_waitcnt vmcnt(0)
	ds_write_b64 v3, v[8:9] offset:2112
.LBB117_17:
	s_or_b64 exec, exec, s[8:9]
	v_add_u32_e32 v8, 16, v1
	v_cmp_le_i32_e32 vcc, s18, v8
	s_and_saveexec_b64 s[8:9], vcc
	s_xor_b64 s[8:9], exec, s[8:9]
	s_cbranch_execz .LBB117_19
; %bb.18:
	v_mov_b32_e32 v8, 0
	v_mov_b32_e32 v9, v8
	ds_write_b64 v3, v[8:9] offset:4224
.LBB117_19:
	s_andn2_saveexec_b64 s[8:9], s[8:9]
	s_cbranch_execz .LBB117_21
; %bb.20:
	s_lshl_b32 s10, s22, 4
	s_ashr_i32 s11, s10, 31
	v_lshl_add_u64 v[8:9], s[10:11], 3, v[6:7]
	global_load_dwordx2 v[8:9], v[8:9], off
	s_waitcnt vmcnt(0)
	ds_write_b64 v3, v[8:9] offset:4224
.LBB117_21:
	s_or_b64 exec, exec, s[8:9]
	v_add_u32_e32 v8, 24, v1
	v_cmp_le_i32_e32 vcc, s18, v8
	s_and_saveexec_b64 s[8:9], vcc
	s_xor_b64 s[8:9], exec, s[8:9]
	s_cbranch_execz .LBB117_23
; %bb.22:
	v_mov_b32_e32 v8, 0
	v_mov_b32_e32 v9, v8
	ds_write_b64 v3, v[8:9] offset:6336
                                        ; implicit-def: $vgpr3
.LBB117_23:
	s_andn2_saveexec_b64 s[8:9], s[8:9]
	s_cbranch_execz .LBB117_25
; %bb.24:
	s_mul_i32 s10, s22, 24
	s_ashr_i32 s11, s10, 31
	v_lshl_add_u64 v[8:9], s[10:11], 3, v[6:7]
	global_load_dwordx2 v[8:9], v[8:9], off
	s_waitcnt vmcnt(0)
	ds_write_b64 v3, v[8:9] offset:6336
.LBB117_25:
	s_or_b64 exec, exec, s[8:9]
	v_mov_b32_e32 v3, 0
	v_lshl_add_u64 v[6:7], v[6:7], 0, v[2:3]
	s_lshl_b64 s[8:9], s[18:19], 3
	v_mov_b32_e32 v3, s9
	v_subrev_co_u32_e32 v6, vcc, s8, v6
	s_nop 1
	v_subb_co_u32_e32 v7, vcc, v7, v3, vcc
	v_lshl_add_u64 v[6:7], v[6:7], 0, 8
	v_cndmask_b32_e64 v7, v7, v5, s[6:7]
	v_cndmask_b32_e64 v6, v6, v4, s[6:7]
	v_mul_u32_u24_e32 v18, 33, v1
	s_branch .LBB117_28
.LBB117_26:
                                        ; implicit-def: $vgpr6_vgpr7
	v_mul_u32_u24_e32 v18, 33, v1
	s_cbranch_execz .LBB117_28
; %bb.27:
	s_lshl_b32 s6, s22, 3
	s_ashr_i32 s7, s6, 31
	s_ashr_i32 s23, s22, 31
	v_lshl_add_u64 v[6:7], s[6:7], 3, v[4:5]
	global_load_dwordx2 v[8:9], v[4:5], off
	global_load_dwordx2 v[10:11], v[6:7], off
	s_lshl_b64 s[6:7], s[22:23], 6
	v_lshl_add_u64 v[6:7], v[6:7], 0, s[6:7]
	global_load_dwordx2 v[16:17], v[6:7], off
	v_lshl_add_u64 v[6:7], v[6:7], 0, s[6:7]
	global_load_dwordx2 v[6:7], v[6:7], off
	v_add_lshl_u32 v3, v18, v0, 3
	s_waitcnt vmcnt(3)
	ds_write_b64 v3, v[8:9]
	s_waitcnt vmcnt(2)
	ds_write_b64 v3, v[10:11] offset:2112
	s_waitcnt vmcnt(1)
	ds_write_b64 v3, v[16:17] offset:4224
	;; [unrolled: 2-line block ×3, first 2 shown]
	v_mov_b64_e32 v[6:7], v[4:5]
.LBB117_28:
	v_lshlrev_b32_e32 v3, 2, v1
	v_mul_u32_u24_e32 v19, 33, v0
	v_cmp_gt_u32_e64 s[6:7], v3, v0
	v_add_lshl_u32 v16, v3, v19, 3
	s_waitcnt lgkmcnt(0)
	s_barrier
	s_and_saveexec_b64 s[8:9], s[6:7]
	s_cbranch_execz .LBB117_30
; %bb.29:
	v_mul_u32_u24_e32 v4, 0x84, v1
	v_add_lshl_u32 v4, v4, v0, 3
	ds_read_b64 v[4:5], v4
	s_waitcnt lgkmcnt(0)
	ds_write_b64 v16, v[4:5]
.LBB117_30:
	s_or_b64 exec, exec, s[8:9]
	v_cmp_ge_u32_e64 s[8:9], v3, v0
	s_and_saveexec_b64 s[10:11], s[8:9]
	s_cbranch_execz .LBB117_32
; %bb.31:
	v_or_b32_e32 v4, 1, v3
	v_mul_u32_u24_e32 v4, 33, v4
	v_add_lshl_u32 v4, v4, v0, 3
	ds_read_b64 v[4:5], v4
	s_waitcnt lgkmcnt(0)
	ds_write_b64 v16, v[4:5] offset:8
.LBB117_32:
	s_or_b64 exec, exec, s[10:11]
	v_or_b32_e32 v4, 2, v3
	v_cmp_gt_u32_e64 s[10:11], v4, v0
	s_and_saveexec_b64 s[12:13], s[10:11]
	s_cbranch_execz .LBB117_34
; %bb.33:
	v_mul_u32_u24_e32 v4, 33, v4
	v_add_lshl_u32 v4, v4, v0, 3
	ds_read_b64 v[4:5], v4
	s_waitcnt lgkmcnt(0)
	ds_write_b64 v16, v[4:5] offset:16
.LBB117_34:
	s_or_b64 exec, exec, s[12:13]
	v_or_b32_e32 v4, 3, v3
	v_cmp_gt_u32_e64 s[12:13], v4, v0
	v_mad_u32_u24 v4, v4, 33, v0
	v_lshlrev_b32_e32 v25, 3, v4
	s_and_saveexec_b64 s[14:15], s[12:13]
	s_cbranch_execz .LBB117_36
; %bb.35:
	ds_read_b64 v[4:5], v25
	s_waitcnt lgkmcnt(0)
	ds_write_b64 v16, v[4:5] offset:24
.LBB117_36:
	s_or_b64 exec, exec, s[14:15]
	v_mul_u32_u24_e32 v4, 0x84, v1
	v_add_lshl_u32 v20, v4, v0, 3
	s_waitcnt lgkmcnt(0)
	s_barrier
	v_lshlrev_b32_e32 v17, 3, v3
	v_add_u32_e32 v21, 0xfffffdf0, v25
	ds_read_b64 v[4:5], v20
	ds_read_b128 v[8:11], v17 offset:9088
	ds_read2_b64 v[32:35], v21 offset1:33
	ds_read_b64 v[26:27], v25
	ds_read_b128 v[36:39], v17 offset:9104
	s_mov_b32 s16, 0
	s_mov_b32 s17, s16
	s_waitcnt lgkmcnt(3)
	v_pk_mul_f32 v[40:41], v[8:9], v[4:5] op_sel:[0,1]
	v_add_lshl_u32 v23, v1, v19, 3
	v_pk_fma_f32 v[42:43], v[8:9], v[4:5], v[40:41] op_sel:[0,0,1] op_sel_hi:[1,1,0] neg_lo:[0,0,1] neg_hi:[0,0,1]
	v_pk_fma_f32 v[4:5], v[8:9], v[4:5], v[40:41] op_sel:[0,0,1] op_sel_hi:[1,0,0]
	s_waitcnt lgkmcnt(2)
	v_pk_mul_f32 v[8:9], v[10:11], v[32:33] op_sel:[0,1]
	v_mov_b32_e32 v43, v5
	v_pk_fma_f32 v[40:41], v[10:11], v[32:33], v[8:9] op_sel:[0,0,1] op_sel_hi:[1,1,0] neg_lo:[0,0,1] neg_hi:[0,0,1]
	v_pk_fma_f32 v[8:9], v[10:11], v[32:33], v[8:9] op_sel:[0,0,1] op_sel_hi:[1,0,0]
	v_pk_add_f32 v[4:5], v[42:43], 0 op_sel_hi:[1,0]
	v_mov_b32_e32 v41, v9
	s_waitcnt lgkmcnt(0)
	v_pk_mul_f32 v[8:9], v[36:37], v[34:35] op_sel:[0,1]
	v_pk_add_f32 v[4:5], v[4:5], v[40:41]
	v_pk_fma_f32 v[10:11], v[36:37], v[34:35], v[8:9] op_sel:[0,0,1] op_sel_hi:[1,1,0] neg_lo:[0,0,1] neg_hi:[0,0,1]
	v_pk_fma_f32 v[8:9], v[36:37], v[34:35], v[8:9] op_sel:[0,0,1] op_sel_hi:[1,0,0]
	v_cmp_gt_u32_e64 s[14:15], 32, v22
	v_mov_b32_e32 v11, v9
	v_pk_mul_f32 v[8:9], v[38:39], v[26:27] op_sel:[0,1]
	v_pk_add_f32 v[4:5], v[4:5], v[10:11]
	v_pk_fma_f32 v[10:11], v[38:39], v[26:27], v[8:9] op_sel:[0,0,1] op_sel_hi:[1,1,0] neg_lo:[0,0,1] neg_hi:[0,0,1]
	v_pk_fma_f32 v[8:9], v[38:39], v[26:27], v[8:9] op_sel:[0,0,1] op_sel_hi:[1,0,0]
	v_mov_b64_e32 v[32:33], s[16:17]
	v_mov_b32_e32 v11, v9
	v_pk_add_f32 v[4:5], v[4:5], v[10:11]
	v_lshlrev_b32_e32 v24, 3, v19
	s_barrier
	ds_write_b64 v23, v[4:5]
	s_waitcnt lgkmcnt(0)
	s_barrier
	s_and_saveexec_b64 s[16:17], s[14:15]
	s_cbranch_execz .LBB117_38
; %bb.37:
	ds_read2_b64 v[8:11], v24 offset1:7
	ds_read2_b64 v[32:35], v24 offset0:1 offset1:2
	ds_read2_b64 v[36:39], v24 offset0:3 offset1:4
	s_waitcnt lgkmcnt(1)
	v_add_f32_e32 v3, v32, v8
	v_add_f32_e32 v4, v33, v9
	;; [unrolled: 1-line block ×4, first 2 shown]
	ds_read2_b64 v[32:35], v24 offset0:5 offset1:6
	s_waitcnt lgkmcnt(1)
	v_add_f32_e32 v3, v3, v36
	v_add_f32_e32 v4, v4, v37
	v_add_f32_e32 v3, v3, v38
	v_add_f32_e32 v4, v4, v39
	s_waitcnt lgkmcnt(0)
	v_add_f32_e32 v3, v3, v32
	v_add_f32_e32 v5, v4, v33
	;; [unrolled: 1-line block ×4, first 2 shown]
	v_pk_add_f32 v[32:33], v[4:5], v[10:11]
.LBB117_38:
	s_or_b64 exec, exec, s[16:17]
	s_lshl_b32 s26, s22, 5
	s_ashr_i32 s27, s26, 31
	v_lshl_add_u64 v[8:9], s[26:27], 3, v[6:7]
	s_mov_b64 s[16:17], 0x100
	v_lshl_add_u64 v[6:7], v[8:9], 0, s[16:17]
	s_and_b64 vcc, exec, s[28:29]
	s_barrier
	s_cbranch_vccz .LBB117_54
; %bb.39:
	v_sub_co_u32_e32 v4, vcc, v6, v2
	s_ashr_i32 s19, s18, 31
	s_nop 0
	v_subbrev_co_u32_e32 v5, vcc, 0, v7, vcc
	s_movk_i32 s16, 0xfef8
	v_or_b32_e32 v3, 32, v0
	v_lshl_add_u64 v[4:5], s[18:19], 3, v[4:5]
	s_mov_b32 s17, -1
	v_lshl_add_u64 v[4:5], v[4:5], 0, s[16:17]
	v_cmp_gt_i32_e32 vcc, s18, v3
	s_sub_i32 s23, s18, 32
	v_mov_b32_e32 v10, 0
	v_cndmask_b32_e32 v5, v5, v7, vcc
	v_cndmask_b32_e32 v4, v4, v6, vcc
	v_cmp_gt_i32_e64 s[16:17], s23, v1
	v_mov_b32_e32 v11, v10
	s_and_saveexec_b64 s[30:31], s[16:17]
	s_cbranch_execz .LBB117_41
; %bb.40:
	global_load_dwordx2 v[10:11], v[4:5], off
.LBB117_41:
	s_or_b64 exec, exec, s[30:31]
	v_add_lshl_u32 v3, v18, v0, 3
	s_waitcnt vmcnt(0)
	ds_write_b64 v3, v[10:11]
	v_add_u32_e32 v10, 8, v1
	v_cmp_le_i32_e64 s[16:17], s23, v10
	s_and_saveexec_b64 s[30:31], s[16:17]
	s_xor_b64 s[16:17], exec, s[30:31]
	s_cbranch_execz .LBB117_43
; %bb.42:
	v_mul_u32_u24_e32 v10, 33, v10
	v_add_lshl_u32 v26, v10, v0, 3
	v_mov_b32_e32 v10, 0
	v_mov_b32_e32 v11, v10
	ds_write_b64 v26, v[10:11]
.LBB117_43:
	s_andn2_saveexec_b64 s[16:17], s[16:17]
	s_cbranch_execz .LBB117_45
; %bb.44:
	s_lshl_b32 s30, s22, 3
	s_ashr_i32 s31, s30, 31
	v_lshl_add_u64 v[10:11], s[30:31], 3, v[4:5]
	global_load_dwordx2 v[10:11], v[10:11], off
	s_waitcnt vmcnt(0)
	ds_write_b64 v3, v[10:11] offset:2112
.LBB117_45:
	s_or_b64 exec, exec, s[16:17]
	v_add_u32_e32 v10, 16, v1
	v_cmp_le_i32_e64 s[16:17], s23, v10
	s_and_saveexec_b64 s[30:31], s[16:17]
	s_xor_b64 s[16:17], exec, s[30:31]
	s_cbranch_execz .LBB117_47
; %bb.46:
	v_mul_u32_u24_e32 v10, 33, v10
	v_add_lshl_u32 v26, v10, v0, 3
	v_mov_b32_e32 v10, 0
	v_mov_b32_e32 v11, v10
	ds_write_b64 v26, v[10:11]
.LBB117_47:
	s_andn2_saveexec_b64 s[16:17], s[16:17]
	s_cbranch_execz .LBB117_49
; %bb.48:
	s_lshl_b32 s30, s22, 4
	s_ashr_i32 s31, s30, 31
	v_lshl_add_u64 v[10:11], s[30:31], 3, v[4:5]
	global_load_dwordx2 v[10:11], v[10:11], off
	s_waitcnt vmcnt(0)
	ds_write_b64 v3, v[10:11] offset:4224
.LBB117_49:
	s_or_b64 exec, exec, s[16:17]
	v_add_u32_e32 v10, 24, v1
	v_cmp_le_i32_e64 s[16:17], s23, v10
	s_and_saveexec_b64 s[30:31], s[16:17]
	s_xor_b64 s[16:17], exec, s[30:31]
	s_cbranch_execz .LBB117_51
; %bb.50:
	v_mov_b32_e32 v10, 0
	v_mov_b32_e32 v11, v10
	ds_write_b64 v3, v[10:11] offset:6336
                                        ; implicit-def: $vgpr3
.LBB117_51:
	s_andn2_saveexec_b64 s[16:17], s[16:17]
	s_cbranch_execz .LBB117_53
; %bb.52:
	s_mul_i32 s30, s22, 24
	s_ashr_i32 s31, s30, 31
	v_lshl_add_u64 v[10:11], s[30:31], 3, v[4:5]
	global_load_dwordx2 v[10:11], v[10:11], off
	s_waitcnt vmcnt(0)
	ds_write_b64 v3, v[10:11] offset:6336
.LBB117_53:
	s_or_b64 exec, exec, s[16:17]
	v_mov_b32_e32 v3, 0
	v_lshl_add_u64 v[4:5], v[4:5], 0, v[2:3]
	s_lshl_b64 s[16:17], s[18:19], 3
	v_mov_b32_e32 v3, s17
	v_subrev_co_u32_e64 v4, s[16:17], s16, v4
	s_nop 1
	v_subb_co_u32_e64 v5, s[16:17], v5, v3, s[16:17]
	s_mov_b64 s[16:17], 0x108
	s_nop 0
	v_lshl_add_u64 v[4:5], v[4:5], 0, s[16:17]
	v_cndmask_b32_e32 v5, v5, v7, vcc
	v_cndmask_b32_e32 v4, v4, v6, vcc
	s_branch .LBB117_56
.LBB117_54:
                                        ; implicit-def: $vgpr4_vgpr5
	s_cbranch_execz .LBB117_56
; %bb.55:
	s_lshl_b32 s16, s22, 3
	s_ashr_i32 s17, s16, 31
	s_ashr_i32 s23, s22, 31
	v_lshl_add_u64 v[4:5], s[16:17], 3, v[8:9]
	s_lshl_b64 s[16:17], s[22:23], 6
	v_lshl_add_u64 v[10:11], v[4:5], 0, s[16:17]
	v_lshl_add_u64 v[26:27], v[10:11], 0, s[16:17]
	global_load_dwordx2 v[34:35], v[8:9], off offset:256
	global_load_dwordx2 v[36:37], v[4:5], off offset:256
	;; [unrolled: 1-line block ×4, first 2 shown]
	v_add_lshl_u32 v3, v18, v0, 3
	v_mov_b64_e32 v[4:5], v[6:7]
	s_waitcnt vmcnt(3)
	ds_write_b64 v3, v[34:35]
	s_waitcnt vmcnt(2)
	ds_write_b64 v3, v[36:37] offset:2112
	s_waitcnt vmcnt(1)
	ds_write_b64 v3, v[38:39] offset:4224
	;; [unrolled: 2-line block ×3, first 2 shown]
.LBB117_56:
	s_waitcnt lgkmcnt(0)
	s_barrier
	s_and_saveexec_b64 s[16:17], s[6:7]
	s_cbranch_execnz .LBB117_79
; %bb.57:
	s_or_b64 exec, exec, s[16:17]
	s_and_saveexec_b64 s[6:7], s[8:9]
	s_cbranch_execnz .LBB117_80
.LBB117_58:
	s_or_b64 exec, exec, s[6:7]
	s_and_saveexec_b64 s[6:7], s[10:11]
	s_cbranch_execnz .LBB117_81
.LBB117_59:
	s_or_b64 exec, exec, s[6:7]
	v_add_u32_e32 v26, 0x2380, v17
	s_and_saveexec_b64 s[6:7], s[12:13]
	s_cbranch_execz .LBB117_61
.LBB117_60:
	ds_read_b64 v[6:7], v25
	s_waitcnt lgkmcnt(0)
	ds_write_b64 v16, v[6:7] offset:24
.LBB117_61:
	s_or_b64 exec, exec, s[6:7]
	s_waitcnt lgkmcnt(0)
	s_barrier
	ds_read_b64 v[10:11], v20
	ds_read_b128 v[6:9], v26 offset:256
	ds_read2_b64 v[34:37], v21 offset1:33
	ds_read_b64 v[16:17], v25
	ds_read_b128 v[38:41], v26 offset:272
	v_cmp_eq_u32_e64 s[6:7], 1, v1
	s_waitcnt lgkmcnt(3)
	v_pk_mul_f32 v[42:43], v[6:7], v[10:11] op_sel:[0,1]
	s_waitcnt lgkmcnt(0)
	v_pk_fma_f32 v[44:45], v[6:7], v[10:11], v[42:43] op_sel:[0,0,1] op_sel_hi:[1,1,0] neg_lo:[0,0,1] neg_hi:[0,0,1]
	v_pk_fma_f32 v[6:7], v[6:7], v[10:11], v[42:43] op_sel:[0,0,1] op_sel_hi:[1,0,0]
	v_pk_mul_f32 v[10:11], v[8:9], v[34:35] op_sel:[0,1]
	v_mov_b32_e32 v45, v7
	v_pk_fma_f32 v[42:43], v[8:9], v[34:35], v[10:11] op_sel:[0,0,1] op_sel_hi:[1,1,0] neg_lo:[0,0,1] neg_hi:[0,0,1]
	v_pk_fma_f32 v[8:9], v[8:9], v[34:35], v[10:11] op_sel:[0,0,1] op_sel_hi:[1,0,0]
	v_pk_add_f32 v[6:7], v[44:45], 0 op_sel_hi:[1,0]
	v_mov_b32_e32 v43, v9
	v_pk_mul_f32 v[8:9], v[38:39], v[36:37] op_sel:[0,1]
	v_pk_add_f32 v[6:7], v[6:7], v[42:43]
	v_pk_fma_f32 v[10:11], v[38:39], v[36:37], v[8:9] op_sel:[0,0,1] op_sel_hi:[1,1,0] neg_lo:[0,0,1] neg_hi:[0,0,1]
	v_pk_fma_f32 v[8:9], v[38:39], v[36:37], v[8:9] op_sel:[0,0,1] op_sel_hi:[1,0,0]
	s_barrier
	v_mov_b32_e32 v11, v9
	v_pk_mul_f32 v[8:9], v[40:41], v[16:17] op_sel:[0,1]
	v_pk_add_f32 v[6:7], v[6:7], v[10:11]
	v_pk_fma_f32 v[10:11], v[40:41], v[16:17], v[8:9] op_sel:[0,0,1] op_sel_hi:[1,1,0] neg_lo:[0,0,1] neg_hi:[0,0,1]
	v_pk_fma_f32 v[8:9], v[40:41], v[16:17], v[8:9] op_sel:[0,0,1] op_sel_hi:[1,0,0]
	s_nop 0
	v_mov_b32_e32 v11, v9
	v_pk_add_f32 v[6:7], v[6:7], v[10:11]
	ds_write_b64 v23, v[6:7]
	s_waitcnt lgkmcnt(0)
	s_barrier
	s_and_saveexec_b64 s[8:9], s[6:7]
	s_cbranch_execz .LBB117_63
; %bb.62:
	ds_read2_b64 v[6:9], v24 offset1:7
	ds_read2_b64 v[32:35], v24 offset0:1 offset1:2
	ds_read2_b64 v[36:39], v24 offset0:3 offset1:4
	s_waitcnt lgkmcnt(1)
	v_add_f32_e32 v3, v32, v6
	v_add_f32_e32 v6, v33, v7
	v_add_f32_e32 v3, v3, v34
	v_add_f32_e32 v6, v6, v35
	ds_read2_b64 v[32:35], v24 offset0:5 offset1:6
	s_waitcnt lgkmcnt(1)
	v_add_f32_e32 v3, v3, v36
	v_add_f32_e32 v6, v6, v37
	v_add_f32_e32 v3, v3, v38
	v_add_f32_e32 v7, v6, v39
	s_waitcnt lgkmcnt(0)
	v_add_f32_e32 v6, v3, v32
	v_add_f32_e32 v7, v7, v33
	v_pk_add_f32 v[6:7], v[6:7], v[34:35]
	s_nop 0
	v_pk_add_f32 v[32:33], v[6:7], v[8:9]
.LBB117_63:
	s_or_b64 exec, exec, s[8:9]
	s_movk_i32 s8, 0xff00
	s_mov_b32 s9, -1
	v_lshl_add_u64 v[6:7], v[4:5], 0, s[8:9]
	s_and_b64 vcc, exec, s[28:29]
	s_barrier
	s_cbranch_vccz .LBB117_82
; %bb.64:
	v_sub_co_u32_e32 v8, vcc, v4, v2
	s_ashr_i32 s19, s18, 31
	s_nop 0
	v_subbrev_co_u32_e32 v9, vcc, 0, v5, vcc
	s_movk_i32 s8, 0xfef8
	v_lshl_add_u64 v[8:9], s[18:19], 3, v[8:9]
	s_mov_b32 s9, -1
	v_lshl_add_u64 v[8:9], v[8:9], 0, s[8:9]
	v_cmp_gt_i32_e32 vcc, s18, v0
	s_sub_i32 s12, s18, 32
	v_mov_b32_e32 v10, 0
	v_cndmask_b32_e32 v9, v9, v7, vcc
	v_cndmask_b32_e32 v8, v8, v6, vcc
	v_cmp_gt_i32_e64 s[8:9], s12, v1
	v_mov_b32_e32 v11, v10
	s_and_saveexec_b64 s[10:11], s[8:9]
	s_cbranch_execz .LBB117_66
; %bb.65:
	global_load_dwordx2 v[10:11], v[8:9], off
.LBB117_66:
	s_or_b64 exec, exec, s[10:11]
	v_add_lshl_u32 v3, v18, v0, 3
	s_waitcnt vmcnt(0)
	ds_write_b64 v3, v[10:11]
	v_add_u32_e32 v10, 8, v1
	v_cmp_le_i32_e64 s[8:9], s12, v10
	s_and_saveexec_b64 s[10:11], s[8:9]
	s_xor_b64 s[8:9], exec, s[10:11]
	s_cbranch_execz .LBB117_68
; %bb.67:
	v_mul_u32_u24_e32 v11, 33, v10
	v_mov_b32_e32 v16, 0
	v_add_lshl_u32 v11, v11, v0, 3
	v_mov_b32_e32 v17, v16
	ds_write_b64 v11, v[16:17]
.LBB117_68:
	s_andn2_saveexec_b64 s[8:9], s[8:9]
	s_cbranch_execz .LBB117_70
; %bb.69:
	s_lshl_b32 s10, s22, 3
	s_ashr_i32 s11, s10, 31
	v_lshl_add_u64 v[16:17], s[10:11], 3, v[8:9]
	global_load_dwordx2 v[16:17], v[16:17], off
	s_waitcnt vmcnt(0)
	ds_write_b64 v3, v[16:17] offset:2112
.LBB117_70:
	s_or_b64 exec, exec, s[8:9]
	v_add_u32_e32 v11, 16, v1
	v_cmp_le_i32_e64 s[8:9], s12, v11
	s_and_saveexec_b64 s[10:11], s[8:9]
	s_xor_b64 s[8:9], exec, s[10:11]
	s_cbranch_execz .LBB117_72
; %bb.71:
	v_mov_b32_e32 v16, 0
	v_mov_b32_e32 v17, v16
	ds_write_b64 v3, v[16:17] offset:4224
.LBB117_72:
	s_andn2_saveexec_b64 s[8:9], s[8:9]
	s_cbranch_execz .LBB117_74
; %bb.73:
	s_lshl_b32 s10, s22, 4
	s_ashr_i32 s11, s10, 31
	v_lshl_add_u64 v[16:17], s[10:11], 3, v[8:9]
	global_load_dwordx2 v[16:17], v[16:17], off
	s_waitcnt vmcnt(0)
	ds_write_b64 v3, v[16:17] offset:4224
.LBB117_74:
	s_or_b64 exec, exec, s[8:9]
	v_add_u32_e32 v27, 24, v1
	v_cmp_le_i32_e64 s[8:9], s12, v27
	s_and_saveexec_b64 s[10:11], s[8:9]
	s_xor_b64 s[8:9], exec, s[10:11]
	s_cbranch_execz .LBB117_76
; %bb.75:
	v_mov_b32_e32 v16, 0
	v_mov_b32_e32 v17, v16
	ds_write_b64 v3, v[16:17] offset:6336
                                        ; implicit-def: $vgpr3
.LBB117_76:
	s_andn2_saveexec_b64 s[8:9], s[8:9]
	s_cbranch_execz .LBB117_78
; %bb.77:
	s_mul_i32 s10, s22, 24
	s_ashr_i32 s11, s10, 31
	v_lshl_add_u64 v[16:17], s[10:11], 3, v[8:9]
	global_load_dwordx2 v[16:17], v[16:17], off
	s_waitcnt vmcnt(0)
	ds_write_b64 v3, v[16:17] offset:6336
.LBB117_78:
	s_or_b64 exec, exec, s[8:9]
	v_mov_b32_e32 v3, 0
	v_lshl_add_u64 v[2:3], v[8:9], 0, v[2:3]
	s_lshl_b64 s[8:9], s[18:19], 3
	v_mov_b32_e32 v8, s9
	v_subrev_co_u32_e64 v2, s[8:9], s8, v2
	s_nop 1
	v_subb_co_u32_e64 v3, s[8:9], v3, v8, s[8:9]
	v_lshl_add_u64 v[2:3], v[2:3], 0, 8
	v_cndmask_b32_e32 v17, v3, v7, vcc
	v_cndmask_b32_e32 v16, v2, v6, vcc
	s_branch .LBB117_84
.LBB117_79:
	ds_read_b64 v[6:7], v20
	s_waitcnt lgkmcnt(0)
	ds_write_b64 v16, v[6:7]
	s_or_b64 exec, exec, s[16:17]
	s_and_saveexec_b64 s[6:7], s[8:9]
	s_cbranch_execz .LBB117_58
.LBB117_80:
	ds_read_b64 v[6:7], v21
	s_waitcnt lgkmcnt(0)
	ds_write_b64 v16, v[6:7] offset:8
	s_or_b64 exec, exec, s[6:7]
	s_and_saveexec_b64 s[6:7], s[10:11]
	s_cbranch_execz .LBB117_59
.LBB117_81:
	ds_read_b64 v[6:7], v21 offset:264
	s_waitcnt lgkmcnt(0)
	ds_write_b64 v16, v[6:7] offset:16
	s_or_b64 exec, exec, s[6:7]
	v_add_u32_e32 v26, 0x2380, v17
	s_and_saveexec_b64 s[6:7], s[12:13]
	s_cbranch_execnz .LBB117_60
	s_branch .LBB117_61
.LBB117_82:
                                        ; implicit-def: $vgpr16_vgpr17
                                        ; implicit-def: $vgpr10
                                        ; implicit-def: $vgpr11
                                        ; implicit-def: $vgpr27
	s_cbranch_execz .LBB117_84
; %bb.83:
	s_lshl_b32 s8, s22, 3
	s_ashr_i32 s9, s8, 31
	s_ashr_i32 s23, s22, 31
	global_load_dwordx2 v[2:3], v[4:5], off offset:-256
	v_lshl_add_u64 v[4:5], s[8:9], 3, v[4:5]
	s_lshl_b64 s[8:9], s[22:23], 6
	v_lshl_add_u64 v[8:9], v[4:5], 0, s[8:9]
	global_load_dwordx2 v[16:17], v[4:5], off offset:-256
	global_load_dwordx2 v[34:35], v[8:9], off offset:-256
	v_lshl_add_u64 v[4:5], v[8:9], 0, s[8:9]
	global_load_dwordx2 v[4:5], v[4:5], off offset:-256
	v_add_lshl_u32 v0, v18, v0, 3
	v_add_u32_e32 v10, 8, v1
	v_add_u32_e32 v11, 16, v1
	;; [unrolled: 1-line block ×3, first 2 shown]
	s_waitcnt vmcnt(3)
	ds_write_b64 v0, v[2:3]
	s_waitcnt vmcnt(2)
	ds_write_b64 v0, v[16:17] offset:2112
	s_waitcnt vmcnt(1)
	ds_write_b64 v0, v[34:35] offset:4224
	;; [unrolled: 2-line block ×3, first 2 shown]
	v_mov_b64_e32 v[16:17], v[6:7]
.LBB117_84:
	v_lshlrev_b32_e32 v18, 3, v1
	v_lshlrev_b32_e32 v36, 3, v10
	v_add_lshl_u32 v37, v11, v19, 3
	v_lshlrev_b32_e32 v46, 3, v11
	v_add_lshl_u32 v44, v27, v19, 3
	v_lshlrev_b32_e32 v42, 3, v27
	s_waitcnt lgkmcnt(0)
	s_barrier
	v_add_lshl_u32 v31, v10, v19, 3
	ds_read2_b64 v[4:7], v21 offset1:33
	ds_read_b64 v[20:21], v20
	ds_read_b128 v[8:11], v26 offset:256
	ds_read_b64 v[34:35], v23
	ds_read_b128 v[0:3], v26 offset:272
	ds_read_b64 v[26:27], v37
	ds_read_b64 v[36:37], v36 offset:9088
	ds_read_b64 v[38:39], v31
	ds_read_b64 v[40:41], v18 offset:9088
	;; [unrolled: 2-line block ×4, first 2 shown]
	s_waitcnt lgkmcnt(4)
	v_pk_mul_f32 v[48:49], v[40:41], v[34:35] op_sel:[0,1]
	s_waitcnt lgkmcnt(0)
	v_pk_fma_f32 v[50:51], v[40:41], v[34:35], v[48:49] op_sel:[0,0,1] op_sel_hi:[1,1,0] neg_lo:[0,0,1] neg_hi:[0,0,1]
	v_pk_fma_f32 v[34:35], v[40:41], v[34:35], v[48:49] op_sel:[0,0,1] op_sel_hi:[1,0,0]
	v_pk_mul_f32 v[40:41], v[36:37], v[38:39] op_sel:[0,1]
	v_mov_b32_e32 v51, v35
	v_pk_fma_f32 v[48:49], v[36:37], v[38:39], v[40:41] op_sel:[0,0,1] op_sel_hi:[1,1,0] neg_lo:[0,0,1] neg_hi:[0,0,1]
	v_pk_fma_f32 v[36:37], v[36:37], v[38:39], v[40:41] op_sel:[0,0,1] op_sel_hi:[1,0,0]
	v_pk_add_f32 v[34:35], v[50:51], 0 op_sel_hi:[1,0]
	v_mov_b32_e32 v49, v37
	v_pk_mul_f32 v[36:37], v[46:47], v[26:27] op_sel:[0,1]
	v_pk_add_f32 v[34:35], v[34:35], v[48:49]
	v_pk_fma_f32 v[38:39], v[46:47], v[26:27], v[36:37] op_sel:[0,0,1] op_sel_hi:[1,1,0] neg_lo:[0,0,1] neg_hi:[0,0,1]
	v_pk_fma_f32 v[26:27], v[46:47], v[26:27], v[36:37] op_sel:[0,0,1] op_sel_hi:[1,0,0]
	s_barrier
	v_mov_b32_e32 v39, v27
	v_pk_add_f32 v[26:27], v[34:35], v[38:39]
	v_pk_mul_f32 v[34:35], v[42:43], v[44:45] op_sel:[0,1]
	s_nop 0
	v_pk_fma_f32 v[36:37], v[42:43], v[44:45], v[34:35] op_sel:[0,0,1] op_sel_hi:[1,1,0] neg_lo:[0,0,1] neg_hi:[0,0,1]
	v_pk_fma_f32 v[34:35], v[42:43], v[44:45], v[34:35] op_sel:[0,0,1] op_sel_hi:[1,0,0]
	s_nop 0
	v_mov_b32_e32 v37, v35
	v_pk_add_f32 v[26:27], v[26:27], v[36:37]
	ds_write_b64 v23, v[26:27]
	s_waitcnt lgkmcnt(0)
	s_barrier
	s_and_saveexec_b64 s[8:9], s[6:7]
	s_cbranch_execz .LBB117_86
; %bb.85:
	ds_read2_b64 v[34:37], v24 offset1:1
	ds_read2_b64 v[38:41], v24 offset0:2 offset1:3
	ds_read2_b64 v[42:45], v24 offset0:6 offset1:7
	s_waitcnt lgkmcnt(2)
	v_pk_add_f32 v[26:27], v[32:33], v[34:35]
	ds_read2_b64 v[32:35], v24 offset0:4 offset1:5
	v_pk_add_f32 v[26:27], v[26:27], v[36:37]
	s_waitcnt lgkmcnt(2)
	v_pk_add_f32 v[26:27], v[26:27], v[38:39]
	s_nop 0
	v_pk_add_f32 v[26:27], v[26:27], v[40:41]
	s_waitcnt lgkmcnt(0)
	v_pk_add_f32 v[26:27], v[26:27], v[32:33]
	s_nop 0
	v_pk_add_f32 v[26:27], v[26:27], v[34:35]
	s_nop 0
	;; [unrolled: 2-line block ×3, first 2 shown]
	v_pk_add_f32 v[32:33], v[26:27], v[44:45]
.LBB117_86:
	s_or_b64 exec, exec, s[8:9]
	v_pk_mul_f32 v[26:27], v[8:9], v[20:21] op_sel:[0,1]
	s_nop 0
	v_pk_fma_f32 v[34:35], v[8:9], v[20:21], v[26:27] op_sel:[0,0,1] op_sel_hi:[1,1,0] neg_lo:[0,0,1] neg_hi:[0,0,1]
	v_pk_fma_f32 v[8:9], v[8:9], v[20:21], v[26:27] op_sel:[0,0,1] op_sel_hi:[1,0,0]
	v_pk_mul_f32 v[20:21], v[10:11], v[4:5] op_sel:[0,1]
	v_mov_b32_e32 v35, v9
	v_pk_fma_f32 v[26:27], v[10:11], v[4:5], v[20:21] op_sel:[0,0,1] op_sel_hi:[1,1,0] neg_lo:[0,0,1] neg_hi:[0,0,1]
	v_pk_fma_f32 v[4:5], v[10:11], v[4:5], v[20:21] op_sel:[0,0,1] op_sel_hi:[1,0,0]
	v_pk_add_f32 v[8:9], v[34:35], 0 op_sel_hi:[1,0]
	v_mov_b32_e32 v27, v5
	v_pk_add_f32 v[4:5], v[8:9], v[26:27]
	v_pk_mul_f32 v[8:9], v[0:1], v[6:7] op_sel:[0,1]
	s_barrier
	v_pk_fma_f32 v[10:11], v[0:1], v[6:7], v[8:9] op_sel:[0,0,1] op_sel_hi:[1,1,0] neg_lo:[0,0,1] neg_hi:[0,0,1]
	v_pk_fma_f32 v[0:1], v[0:1], v[6:7], v[8:9] op_sel:[0,0,1] op_sel_hi:[1,0,0]
	s_nop 0
	v_mov_b32_e32 v11, v1
	v_pk_add_f32 v[0:1], v[4:5], v[10:11]
	v_pk_mul_f32 v[4:5], v[2:3], v[18:19] op_sel:[0,1]
	s_nop 0
	v_pk_fma_f32 v[6:7], v[2:3], v[18:19], v[4:5] op_sel:[0,0,1] op_sel_hi:[1,1,0] neg_lo:[0,0,1] neg_hi:[0,0,1]
	v_pk_fma_f32 v[2:3], v[2:3], v[18:19], v[4:5] op_sel:[0,0,1] op_sel_hi:[1,0,0]
	s_nop 0
	v_mov_b32_e32 v7, v3
	v_pk_add_f32 v[0:1], v[0:1], v[6:7]
	ds_write_b64 v23, v[0:1]
	s_waitcnt lgkmcnt(0)
	s_barrier
	s_and_saveexec_b64 s[6:7], s[14:15]
	s_cbranch_execz .LBB117_88
; %bb.87:
	ds_read2_b64 v[0:3], v24 offset1:1
	ds_read2_b64 v[4:7], v24 offset0:2 offset1:3
	ds_read2_b64 v[8:11], v24 offset0:4 offset1:5
	s_waitcnt lgkmcnt(2)
	v_pk_add_f32 v[0:1], v[32:33], v[0:1]
	s_nop 0
	v_pk_add_f32 v[18:19], v[0:1], v[2:3]
	ds_read2_b64 v[0:3], v24 offset0:6 offset1:7
	s_waitcnt lgkmcnt(2)
	v_pk_add_f32 v[4:5], v[18:19], v[4:5]
	s_nop 0
	v_pk_add_f32 v[4:5], v[4:5], v[6:7]
	s_waitcnt lgkmcnt(1)
	v_pk_add_f32 v[4:5], v[4:5], v[8:9]
	s_nop 0
	v_pk_add_f32 v[4:5], v[4:5], v[10:11]
	;; [unrolled: 4-line block ×3, first 2 shown]
.LBB117_88:
	s_or_b64 exec, exec, s[6:7]
	s_load_dwordx2 s[0:1], s[0:1], 0x68
	s_mul_hi_u32 s6, s36, s3
	s_mul_i32 s37, s37, s3
	s_add_i32 s6, s6, s37
	s_mul_i32 s3, s36, s3
	s_mul_i32 s6, s6, s33
	s_mul_hi_u32 s7, s3, s33
	s_add_i32 s7, s7, s6
	s_mul_i32 s6, s3, s33
	s_lshl_b64 s[6:7], s[6:7], 3
	s_waitcnt lgkmcnt(0)
	s_add_u32 s3, s0, s6
	s_addc_u32 s6, s1, s7
	s_mul_hi_i32 s1, s36, s2
	s_mul_i32 s0, s36, s2
	s_lshl_b64 s[0:1], s[0:1], 3
	s_add_u32 s8, s3, s0
	s_addc_u32 s9, s6, s1
	s_add_i32 s10, s2, 1
	s_cmp_ge_u32 s10, s33
	v_lshlrev_b32_e32 v31, 3, v30
	s_barrier
	s_cbranch_scc1 .LBB117_146
; %bb.89:
	s_mul_i32 s0, s24, s35
	s_ashr_i32 s1, s0, 31
	s_lshl_b64 s[0:1], s[0:1], 3
	v_lshlrev_b32_e32 v134, 2, v29
	v_mov_b32_e32 v0, s1
	v_subrev_co_u32_e32 v34, vcc, s0, v12
	v_and_b32_e32 v4, 48, v30
	s_nop 0
	v_subb_co_u32_e32 v35, vcc, v13, v0, vcc
	v_mad_u64_u32 v[0:1], s[0:1], v134, s22, v[30:31]
	v_and_b32_e32 v2, 15, v30
	s_lshl_b32 s0, s22, 4
	v_lshlrev_b32_e32 v5, 3, v4
	s_movk_i32 s11, 0x218
	v_lshrrev_b32_e32 v3, 4, v22
	s_lshl_b32 s19, s35, 6
	s_ashr_i32 s1, s0, 31
	v_mad_u32_u24 v137, v2, s11, v5
	v_or_b32_e32 v5, 0x78, v31
	s_ashr_i32 s23, s22, 31
	s_lshl_b32 s16, s22, 1
	s_mul_i32 s28, s22, 3
	s_mul_i32 s35, s35, s10
	s_add_i32 s3, s33, -2
	v_mad_u32_u24 v138, v2, s11, v5
	v_lshlrev_b32_e32 v5, 5, v3
	s_ashr_i32 s17, s16, 31
	v_mul_i32_i24_e32 v6, 0xffffffe8, v3
	s_ashr_i32 s29, s28, 31
	s_lshl_b64 s[14:15], s[22:23], 3
	s_lshl_b32 s10, s35, 6
	v_add_u32_e32 v3, s24, v4
	s_lshl_b64 s[24:25], s[26:27], 3
	s_lshl_b64 s[12:13], s[0:1], 5
	;; [unrolled: 1-line block ×3, first 2 shown]
	v_mad_u32_u24 v139, v2, s11, v5
	v_add3_u32 v36, v3, v2, 64
	v_lshlrev_b64 v[2:3], 3, v[14:15]
	s_add_u32 s36, s30, s24
	v_ashrrev_i32_e32 v1, 31, v0
	v_sub_co_u32_e32 v38, vcc, 0, v2
	s_addc_u32 s37, s31, s25
	v_mov_b32_e32 v5, 0x2180
	v_subb_co_u32_e32 v39, vcc, 0, v3, vcc
	v_lshlrev_b64 v[2:3], 3, v[0:1]
	s_add_u32 s38, s14, s24
	v_lshl_add_u32 v143, v29, 5, v5
	v_lshl_add_u64 v[4:5], s[24:25], 0, v[2:3]
	s_addc_u32 s39, s15, s25
	s_lshl_b64 s[16:17], s[16:17], 3
	v_lshl_add_u64 v[40:41], v[16:17], 0, v[4:5]
	v_lshl_add_u64 v[4:5], s[36:37], 0, v[2:3]
	s_add_u32 s40, s24, s16
	v_lshl_add_u64 v[42:43], v[16:17], 0, v[4:5]
	v_lshl_add_u64 v[4:5], s[38:39], 0, v[2:3]
	s_addc_u32 s41, s25, s17
	s_lshl_b64 s[28:29], s[28:29], 3
	v_lshl_add_u64 v[44:45], v[16:17], 0, v[4:5]
	v_lshl_add_u64 v[4:5], s[40:41], 0, v[2:3]
	s_add_u32 s40, s24, s28
	s_addc_u32 s41, s25, s29
	v_lshl_add_u64 v[46:47], v[16:17], 0, v[4:5]
	v_lshl_add_u64 v[4:5], s[40:41], 0, v[2:3]
	s_lshl_b64 s[40:41], s[0:1], 3
	s_add_u32 s42, s24, s40
	s_addc_u32 s43, s25, s41
	s_add_u32 s38, s38, s40
	v_lshl_add_u64 v[48:49], v[16:17], 0, v[4:5]
	v_lshl_add_u64 v[4:5], s[42:43], 0, v[2:3]
	s_addc_u32 s39, s39, s41
	v_lshl_add_u64 v[50:51], v[16:17], 0, v[4:5]
	v_lshl_add_u64 v[4:5], s[38:39], 0, v[2:3]
	s_add_u32 s38, s42, s16
	s_addc_u32 s39, s43, s17
	v_lshl_add_u64 v[52:53], v[16:17], 0, v[4:5]
	v_lshl_add_u64 v[4:5], s[38:39], 0, v[2:3]
	s_add_u32 s38, s36, s40
	;; [unrolled: 4-line block ×3, first 2 shown]
	s_addc_u32 s39, s43, s29
	v_lshl_add_u64 v[56:57], v[16:17], 0, v[4:5]
	v_lshl_add_u64 v[4:5], s[38:39], 0, v[2:3]
	s_lshl_b64 s[38:39], s[0:1], 4
	s_add_u32 s24, s38, s24
	s_addc_u32 s25, s39, s25
	s_add_u32 s40, s24, s14
	v_lshl_add_u64 v[58:59], v[16:17], 0, v[4:5]
	v_lshl_add_u64 v[4:5], s[24:25], 0, v[2:3]
	s_addc_u32 s41, s25, s15
	v_lshl_add_u64 v[60:61], v[16:17], 0, v[4:5]
	v_lshl_add_u64 v[4:5], s[40:41], 0, v[2:3]
	s_add_u32 s40, s24, s16
	s_addc_u32 s41, s25, s17
	s_add_u32 s36, s36, s38
	s_addc_u32 s37, s37, s39
	s_add_u32 s24, s24, s28
	v_lshl_add_u64 v[62:63], v[16:17], 0, v[4:5]
	v_lshl_add_u64 v[4:5], s[40:41], 0, v[2:3]
	s_addc_u32 s25, s25, s29
	v_lshl_add_u64 v[0:1], s[26:27], 0, v[0:1]
	s_movk_i32 s11, 0x860
	v_lshl_add_u64 v[64:65], v[16:17], 0, v[4:5]
	v_lshl_add_u64 v[4:5], s[36:37], 0, v[2:3]
	;; [unrolled: 1-line block ×3, first 2 shown]
	v_lshlrev_b64 v[0:1], 3, v[0:1]
	v_mad_u32_u24 v144, v29, s11, v31
	v_lshl_add_u64 v[68:69], v[16:17], 0, v[2:3]
	s_mul_i32 s11, s22, 0x180
	s_mul_hi_i32 s22, s0, 24
	v_mad_i64_i32 v[2:3], s[0:1], s0, 24, v[0:1]
	s_add_u32 s0, s11, s30
	s_addc_u32 s1, s22, s31
	v_lshl_add_u64 v[66:67], v[16:17], 0, v[4:5]
	v_lshl_add_u64 v[4:5], v[2:3], 0, s[14:15]
	;; [unrolled: 1-line block ×7, first 2 shown]
	v_add_u32_e32 v135, 0x2180, v31
	v_add_u32_e32 v136, 0x2380, v31
	v_cmp_gt_u32_e64 s[6:7], 64, v22
	v_or_b32_e32 v140, 1, v134
	v_or_b32_e32 v141, 2, v134
	;; [unrolled: 1-line block ×3, first 2 shown]
	v_add_u32_e32 v145, 16, v134
	v_add_u32_e32 v146, 17, v134
	;; [unrolled: 1-line block ×12, first 2 shown]
	v_lshl_add_u64 v[70:71], v[16:17], 0, v[2:3]
	v_lshl_add_u64 v[74:75], v[16:17], 0, v[4:5]
	;; [unrolled: 1-line block ×3, first 2 shown]
	v_add_u32_e32 v157, v139, v6
	v_mov_b32_e32 v80, 0
	s_branch .LBB117_91
.LBB117_90:                             ;   in Loop: Header=BB117_91 Depth=1
	s_or_b64 exec, exec, s[0:1]
	v_mul_f32_e32 v0, v91, v85
	v_fma_f32 v0, v90, v84, -v0
	v_mul_f32_e32 v2, v93, v83
	v_add_f32_e32 v0, v32, v0
	v_fma_f32 v2, v92, v82, -v2
	v_add_f32_e32 v0, v0, v2
	v_mul_f32_e32 v2, v95, v87
	v_fma_f32 v2, v94, v86, -v2
	v_mul_f32_e32 v1, v91, v84
	v_add_f32_e32 v0, v0, v2
	v_mul_f32_e32 v2, v97, v89
	v_mul_f32_e32 v3, v93, v82
	v_fma_f32 v2, v96, v88, -v2
	v_fmac_f32_e32 v1, v90, v85
	v_mul_f32_e32 v4, v95, v86
	v_add_f32_e32 v0, v0, v2
	v_add_f32_e32 v1, v33, v1
	v_fmac_f32_e32 v3, v92, v83
	v_mul_f32_e32 v2, v107, v101
	v_mul_f32_e32 v5, v97, v88
	v_add_f32_e32 v1, v1, v3
	v_fmac_f32_e32 v4, v94, v87
	v_fma_f32 v2, v106, v100, -v2
	v_add_f32_e32 v1, v1, v4
	v_fmac_f32_e32 v5, v96, v89
	v_mul_f32_e32 v6, v107, v100
	v_add_f32_e32 v0, v0, v2
	v_mul_f32_e32 v2, v109, v99
	v_add_f32_e32 v1, v1, v5
	v_fma_f32 v2, v108, v98, -v2
	v_mul_f32_e32 v7, v109, v98
	v_fmac_f32_e32 v6, v106, v101
	v_add_f32_e32 v0, v0, v2
	v_mul_f32_e32 v2, v111, v103
	v_mul_f32_e32 v3, v111, v102
	v_add_f32_e32 v1, v1, v6
	v_fmac_f32_e32 v7, v108, v99
	v_fma_f32 v2, v110, v102, -v2
	v_add_f32_e32 v1, v1, v7
	v_fmac_f32_e32 v3, v110, v103
	v_mul_f32_e32 v4, v113, v105
	v_mul_f32_e32 v5, v113, v104
	v_pk_add_f32 v[0:1], v[0:1], v[2:3]
	v_mov_b32_e32 v2, v117
	v_fma_f32 v4, v112, v104, -v4
	v_fmac_f32_e32 v5, v112, v105
	v_pk_mul_f32 v[2:3], v[122:123], v[2:3] op_sel_hi:[1,0]
	v_pk_add_f32 v[0:1], v[0:1], v[4:5]
	v_pk_fma_f32 v[4:5], v[122:123], v[116:117], v[2:3] op_sel:[0,0,1] op_sel_hi:[1,1,0] neg_lo:[0,0,1] neg_hi:[0,0,1]
	v_pk_fma_f32 v[2:3], v[122:123], v[116:117], v[2:3] op_sel:[0,0,1] op_sel_hi:[1,0,0]
	s_add_i32 s0, s2, 1
	v_mov_b32_e32 v2, v115
	v_mov_b32_e32 v5, v3
	v_pk_mul_f32 v[2:3], v[8:9], v[2:3] op_sel_hi:[1,0]
	v_pk_add_f32 v[0:1], v[0:1], v[4:5]
	v_pk_fma_f32 v[4:5], v[8:9], v[114:115], v[2:3] op_sel:[0,0,1] op_sel_hi:[1,1,0] neg_lo:[0,0,1] neg_hi:[0,0,1]
	v_pk_fma_f32 v[2:3], v[8:9], v[114:115], v[2:3] op_sel:[0,0,1] op_sel_hi:[1,0,0]
	s_add_i32 s10, s10, s19
	v_mov_b32_e32 v2, v119
	v_mov_b32_e32 v5, v3
	;; [unrolled: 7-line block ×3, first 2 shown]
	v_pk_mul_f32 v[2:3], v[126:127], v[2:3] op_sel_hi:[1,0]
	v_pk_add_f32 v[0:1], v[0:1], v[4:5]
	v_pk_fma_f32 v[4:5], v[126:127], v[120:121], v[2:3] op_sel:[0,0,1] op_sel_hi:[1,1,0] neg_lo:[0,0,1] neg_hi:[0,0,1]
	v_pk_fma_f32 v[2:3], v[126:127], v[120:121], v[2:3] op_sel:[0,0,1] op_sel_hi:[1,0,0]
	v_add_u32_e32 v36, 64, v36
	v_mov_b32_e32 v2, v129
	v_mov_b32_e32 v5, v3
	v_pk_mul_f32 v[2:3], v[16:17], v[2:3] op_sel_hi:[1,0]
	v_pk_add_f32 v[0:1], v[0:1], v[4:5]
	v_pk_fma_f32 v[4:5], v[16:17], v[128:129], v[2:3] op_sel:[0,0,1] op_sel_hi:[1,1,0] neg_lo:[0,0,1] neg_hi:[0,0,1]
	v_pk_fma_f32 v[2:3], v[16:17], v[128:129], v[2:3] op_sel:[0,0,1] op_sel_hi:[1,0,0]
	v_lshl_add_u64 v[40:41], v[40:41], 0, s[12:13]
	v_mov_b32_e32 v2, v125
	v_mov_b32_e32 v5, v3
	v_pk_mul_f32 v[2:3], v[18:19], v[2:3] op_sel_hi:[1,0]
	v_pk_add_f32 v[0:1], v[0:1], v[4:5]
	v_pk_fma_f32 v[6:7], v[18:19], v[124:125], v[2:3] op_sel:[0,0,1] op_sel_hi:[1,1,0] neg_lo:[0,0,1] neg_hi:[0,0,1]
	v_pk_fma_f32 v[2:3], v[18:19], v[124:125], v[2:3] op_sel:[0,0,1] op_sel_hi:[1,0,0]
	v_lshl_add_u64 v[42:43], v[42:43], 0, s[12:13]
	;; [unrolled: 7-line block ×4, first 2 shown]
	v_mov_b32_e32 v11, v3
	v_pk_add_f32 v[32:33], v[0:1], v[10:11]
	v_lshl_add_u64 v[48:49], v[48:49], 0, s[12:13]
	v_lshl_add_u64 v[50:51], v[50:51], 0, s[12:13]
	;; [unrolled: 1-line block ×16, first 2 shown]
	s_cmp_ge_u32 s1, s33
	s_mov_b32 s2, s0
	s_barrier
	s_cbranch_scc1 .LBB117_146
.LBB117_91:                             ; =>This Inner Loop Header: Depth=1
	s_cmp_eq_u32 s3, s2
	s_cselect_b32 s26, s34, 0
	s_and_saveexec_b64 s[0:1], s[4:5]
	s_cbranch_execz .LBB117_96
; %bb.92:                               ;   in Loop: Header=BB117_91 Depth=1
	s_cmp_lg_u32 s26, 0
	s_cselect_b64 s[14:15], -1, 0
	v_cmp_le_i32_e32 vcc, s26, v30
	s_and_b64 s[14:15], s[14:15], vcc
	s_and_saveexec_b64 s[16:17], s[14:15]
	s_xor_b64 s[14:15], exec, s[16:17]
	s_cbranch_execz .LBB117_94
; %bb.93:                               ;   in Loop: Header=BB117_91 Depth=1
	v_mov_b32_e32 v81, v80
	ds_write_b64 v135, v[80:81]
.LBB117_94:                             ;   in Loop: Header=BB117_91 Depth=1
	s_andn2_saveexec_b64 s[14:15], s[14:15]
	s_cbranch_execz .LBB117_96
; %bb.95:                               ;   in Loop: Header=BB117_91 Depth=1
	s_ashr_i32 s11, s10, 31
	v_lshl_add_u64 v[0:1], s[10:11], 3, v[34:35]
	global_load_dwordx2 v[0:1], v[0:1], off
	s_waitcnt vmcnt(0)
	ds_write_b64 v135, v[0:1]
.LBB117_96:                             ;   in Loop: Header=BB117_91 Depth=1
	s_or_b64 exec, exec, s[0:1]
	s_cmp_eq_u32 s26, 0
	s_cselect_b64 s[14:15], -1, 0
	s_cmp_lg_u32 s26, 0
	s_cselect_b64 s[16:17], -1, 0
	v_lshl_add_u64 v[0:1], v[40:41], 0, v[38:39]
	s_and_b64 vcc, exec, s[16:17]
	s_waitcnt lgkmcnt(0)
	s_barrier
	s_cbranch_vccz .LBB117_104
; %bb.97:                               ;   in Loop: Header=BB117_91 Depth=1
	v_mov_b64_e32 v[82:83], 0
	v_cmp_gt_i32_e32 vcc, s26, v134
	v_mov_b64_e32 v[84:85], v[82:83]
	s_and_saveexec_b64 s[0:1], vcc
	s_cbranch_execz .LBB117_99
; %bb.98:                               ;   in Loop: Header=BB117_91 Depth=1
	global_load_dwordx2 v[84:85], v[0:1], off
.LBB117_99:                             ;   in Loop: Header=BB117_91 Depth=1
	s_or_b64 exec, exec, s[0:1]
	v_cmp_gt_i32_e32 vcc, s26, v140
	s_and_saveexec_b64 s[0:1], vcc
	s_cbranch_execz .LBB117_101
; %bb.100:                              ;   in Loop: Header=BB117_91 Depth=1
	v_lshl_add_u64 v[2:3], v[44:45], 0, v[38:39]
	global_load_dwordx2 v[82:83], v[2:3], off
.LBB117_101:                            ;   in Loop: Header=BB117_91 Depth=1
	s_or_b64 exec, exec, s[0:1]
	v_cmp_gt_i32_e32 vcc, s26, v141
	v_mov_b64_e32 v[86:87], 0
	s_and_saveexec_b64 s[0:1], vcc
	s_cbranch_execz .LBB117_103
; %bb.102:                              ;   in Loop: Header=BB117_91 Depth=1
	v_lshl_add_u64 v[2:3], v[46:47], 0, v[38:39]
	global_load_dwordx2 v[86:87], v[2:3], off
.LBB117_103:                            ;   in Loop: Header=BB117_91 Depth=1
	s_or_b64 exec, exec, s[0:1]
	v_cmp_gt_i32_e64 s[0:1], s26, v142
	s_mov_b64 s[22:23], 0
	s_branch .LBB117_106
.LBB117_104:                            ;   in Loop: Header=BB117_91 Depth=1
	s_mov_b64 s[0:1], 0
                                        ; implicit-def: $sgpr22_sgpr23
                                        ; implicit-def: $vgpr86_vgpr87
                                        ; implicit-def: $vgpr82_vgpr83
                                        ; implicit-def: $vgpr84_vgpr85
	s_cbranch_execz .LBB117_106
; %bb.105:                              ;   in Loop: Header=BB117_91 Depth=1
	global_load_dwordx2 v[84:85], v[0:1], off
	v_lshl_add_u64 v[0:1], v[44:45], 0, v[38:39]
	global_load_dwordx2 v[82:83], v[0:1], off
	v_lshl_add_u64 v[0:1], v[42:43], 0, v[38:39]
	global_load_dwordx2 v[86:87], v[0:1], off
	s_or_b64 s[0:1], s[0:1], exec
                                        ; implicit-def: $sgpr22_sgpr23
.LBB117_106:                            ;   in Loop: Header=BB117_91 Depth=1
	v_mov_b64_e32 v[88:89], s[22:23]
	s_and_saveexec_b64 s[22:23], s[0:1]
	s_cbranch_execz .LBB117_108
; %bb.107:                              ;   in Loop: Header=BB117_91 Depth=1
	v_lshl_add_u64 v[0:1], v[48:49], 0, v[38:39]
	global_load_dwordx2 v[88:89], v[0:1], off
.LBB117_108:                            ;   in Loop: Header=BB117_91 Depth=1
	s_or_b64 exec, exec, s[22:23]
	ds_read_b64 v[0:1], v136
	ds_read_b64 v[90:91], v143
	v_cndmask_b32_e64 v8, 0, 1, s[16:17]
	v_cmp_ne_u32_e64 s[0:1], 1, v8
	s_andn2_b64 vcc, exec, s[16:17]
	s_waitcnt vmcnt(0) lgkmcnt(1)
	v_mul_f32_e32 v2, v1, v85
	v_mul_f32_e32 v3, v1, v84
	v_fma_f32 v2, v0, v84, -v2
	v_fmac_f32_e32 v3, v0, v85
	v_mul_f32_e32 v4, v1, v83
	ds_write_b64 v144, v[2:3]
	v_mul_f32_e32 v3, v1, v82
	v_fma_f32 v2, v0, v82, -v4
	v_fmac_f32_e32 v3, v0, v83
	ds_read_b64 v[92:93], v143 offset:8
	ds_write_b64 v144, v[2:3] offset:536
	v_mul_f32_e32 v2, v1, v87
	v_mul_f32_e32 v3, v1, v86
	v_fma_f32 v2, v0, v86, -v2
	v_fmac_f32_e32 v3, v0, v87
	ds_read_b64 v[94:95], v143 offset:16
	ds_write_b64 v144, v[2:3] offset:1072
	v_mul_f32_e32 v2, v1, v89
	v_mul_f32_e32 v3, v0, v89
	v_fma_f32 v2, v0, v88, -v2
	v_fmac_f32_e32 v3, v1, v88
	ds_read_b64 v[96:97], v143 offset:24
	ds_write_b64 v144, v[2:3] offset:1608
	s_waitcnt lgkmcnt(0)
	s_barrier
	ds_read2_b64 v[4:7], v139 offset1:1
	ds_read2_b64 v[0:3], v139 offset0:2 offset1:3
	v_lshl_add_u64 v[8:9], v[50:51], 0, v[38:39]
	s_waitcnt lgkmcnt(0)
	s_barrier
	s_cbranch_vccnz .LBB117_116
; %bb.109:                              ;   in Loop: Header=BB117_91 Depth=1
	v_mov_b64_e32 v[98:99], 0
	v_cmp_gt_i32_e32 vcc, s26, v145
	v_mov_b64_e32 v[100:101], v[98:99]
	s_and_saveexec_b64 s[16:17], vcc
	s_cbranch_execz .LBB117_111
; %bb.110:                              ;   in Loop: Header=BB117_91 Depth=1
	global_load_dwordx2 v[100:101], v[8:9], off
.LBB117_111:                            ;   in Loop: Header=BB117_91 Depth=1
	s_or_b64 exec, exec, s[16:17]
	v_cmp_gt_i32_e32 vcc, s26, v146
	s_and_saveexec_b64 s[16:17], vcc
	s_cbranch_execz .LBB117_113
; %bb.112:                              ;   in Loop: Header=BB117_91 Depth=1
	v_lshl_add_u64 v[10:11], v[52:53], 0, v[38:39]
	global_load_dwordx2 v[98:99], v[10:11], off
.LBB117_113:                            ;   in Loop: Header=BB117_91 Depth=1
	s_or_b64 exec, exec, s[16:17]
	v_cmp_gt_i32_e32 vcc, s26, v147
	v_mov_b64_e32 v[102:103], 0
	s_and_saveexec_b64 s[16:17], vcc
	s_cbranch_execz .LBB117_115
; %bb.114:                              ;   in Loop: Header=BB117_91 Depth=1
	v_lshl_add_u64 v[10:11], v[54:55], 0, v[38:39]
	global_load_dwordx2 v[102:103], v[10:11], off
.LBB117_115:                            ;   in Loop: Header=BB117_91 Depth=1
	s_or_b64 exec, exec, s[16:17]
	v_cmp_gt_i32_e64 s[16:17], s26, v148
	s_mov_b64 s[22:23], 0
	s_branch .LBB117_118
.LBB117_116:                            ;   in Loop: Header=BB117_91 Depth=1
	s_mov_b64 s[16:17], 0
                                        ; implicit-def: $sgpr22_sgpr23
                                        ; implicit-def: $vgpr102_vgpr103
                                        ; implicit-def: $vgpr98_vgpr99
                                        ; implicit-def: $vgpr100_vgpr101
	s_cbranch_execz .LBB117_118
; %bb.117:                              ;   in Loop: Header=BB117_91 Depth=1
	global_load_dwordx2 v[100:101], v[8:9], off
	v_lshl_add_u64 v[8:9], v[52:53], 0, v[38:39]
	global_load_dwordx2 v[98:99], v[8:9], off
	v_lshl_add_u64 v[8:9], v[56:57], 0, v[38:39]
	global_load_dwordx2 v[102:103], v[8:9], off
	s_or_b64 s[16:17], s[16:17], exec
                                        ; implicit-def: $sgpr22_sgpr23
.LBB117_118:                            ;   in Loop: Header=BB117_91 Depth=1
	v_mov_b64_e32 v[104:105], s[22:23]
	s_and_saveexec_b64 s[22:23], s[16:17]
	s_cbranch_execz .LBB117_120
; %bb.119:                              ;   in Loop: Header=BB117_91 Depth=1
	v_lshl_add_u64 v[8:9], v[58:59], 0, v[38:39]
	global_load_dwordx2 v[104:105], v[8:9], off
.LBB117_120:                            ;   in Loop: Header=BB117_91 Depth=1
	s_or_b64 exec, exec, s[22:23]
	ds_read_b64 v[8:9], v136
	ds_read_b64 v[106:107], v143 offset:128
	s_and_b64 vcc, exec, s[0:1]
	s_waitcnt vmcnt(0) lgkmcnt(1)
	v_mul_f32_e32 v10, v9, v101
	v_mul_f32_e32 v11, v9, v100
	v_fma_f32 v10, v8, v100, -v10
	v_fmac_f32_e32 v11, v8, v101
	v_mul_f32_e32 v12, v9, v99
	ds_write_b64 v144, v[10:11]
	v_mul_f32_e32 v11, v9, v98
	v_fma_f32 v10, v8, v98, -v12
	v_fmac_f32_e32 v11, v8, v99
	ds_read_b64 v[108:109], v143 offset:136
	ds_write_b64 v144, v[10:11] offset:536
	v_mul_f32_e32 v10, v9, v103
	v_mul_f32_e32 v11, v9, v102
	v_fma_f32 v10, v8, v102, -v10
	v_fmac_f32_e32 v11, v8, v103
	ds_read_b64 v[110:111], v143 offset:144
	ds_write_b64 v144, v[10:11] offset:1072
	v_mul_f32_e32 v10, v9, v105
	v_mul_f32_e32 v11, v8, v105
	v_fma_f32 v10, v8, v104, -v10
	v_fmac_f32_e32 v11, v9, v104
	ds_read_b64 v[112:113], v143 offset:152
	ds_write_b64 v144, v[10:11] offset:1608
	s_waitcnt lgkmcnt(0)
	s_barrier
	ds_read2_b64 v[16:19], v139 offset1:1
	ds_read2_b64 v[12:15], v139 offset0:2 offset1:3
	v_lshl_add_u64 v[8:9], v[60:61], 0, v[38:39]
	s_waitcnt lgkmcnt(0)
	s_barrier
	s_cbranch_vccnz .LBB117_128
; %bb.121:                              ;   in Loop: Header=BB117_91 Depth=1
	v_mov_b64_e32 v[114:115], 0
	v_cmp_gt_i32_e32 vcc, s26, v149
	v_mov_b64_e32 v[116:117], v[114:115]
	s_and_saveexec_b64 s[16:17], vcc
	s_cbranch_execz .LBB117_123
; %bb.122:                              ;   in Loop: Header=BB117_91 Depth=1
	global_load_dwordx2 v[116:117], v[8:9], off
.LBB117_123:                            ;   in Loop: Header=BB117_91 Depth=1
	s_or_b64 exec, exec, s[16:17]
	v_cmp_gt_i32_e32 vcc, s26, v150
	s_and_saveexec_b64 s[16:17], vcc
	s_cbranch_execz .LBB117_125
; %bb.124:                              ;   in Loop: Header=BB117_91 Depth=1
	v_lshl_add_u64 v[10:11], v[62:63], 0, v[38:39]
	global_load_dwordx2 v[114:115], v[10:11], off
.LBB117_125:                            ;   in Loop: Header=BB117_91 Depth=1
	s_or_b64 exec, exec, s[16:17]
	v_cmp_gt_i32_e32 vcc, s26, v151
	v_mov_b64_e32 v[118:119], 0
	s_and_saveexec_b64 s[16:17], vcc
	s_cbranch_execz .LBB117_127
; %bb.126:                              ;   in Loop: Header=BB117_91 Depth=1
	v_lshl_add_u64 v[10:11], v[64:65], 0, v[38:39]
	global_load_dwordx2 v[118:119], v[10:11], off
.LBB117_127:                            ;   in Loop: Header=BB117_91 Depth=1
	s_or_b64 exec, exec, s[16:17]
	v_cmp_gt_i32_e64 s[16:17], s26, v152
	s_mov_b64 s[22:23], 0
	s_branch .LBB117_130
.LBB117_128:                            ;   in Loop: Header=BB117_91 Depth=1
	s_mov_b64 s[16:17], 0
                                        ; implicit-def: $sgpr22_sgpr23
                                        ; implicit-def: $vgpr118_vgpr119
                                        ; implicit-def: $vgpr114_vgpr115
                                        ; implicit-def: $vgpr116_vgpr117
	s_cbranch_execz .LBB117_130
; %bb.129:                              ;   in Loop: Header=BB117_91 Depth=1
	global_load_dwordx2 v[116:117], v[8:9], off
	v_lshl_add_u64 v[8:9], v[62:63], 0, v[38:39]
	global_load_dwordx2 v[114:115], v[8:9], off
	v_lshl_add_u64 v[8:9], v[66:67], 0, v[38:39]
	global_load_dwordx2 v[118:119], v[8:9], off
	s_or_b64 s[16:17], s[16:17], exec
                                        ; implicit-def: $sgpr22_sgpr23
.LBB117_130:                            ;   in Loop: Header=BB117_91 Depth=1
	v_mov_b64_e32 v[120:121], s[22:23]
	s_and_saveexec_b64 s[22:23], s[16:17]
	s_cbranch_execz .LBB117_132
; %bb.131:                              ;   in Loop: Header=BB117_91 Depth=1
	v_lshl_add_u64 v[8:9], v[68:69], 0, v[38:39]
	global_load_dwordx2 v[120:121], v[8:9], off
.LBB117_132:                            ;   in Loop: Header=BB117_91 Depth=1
	s_or_b64 exec, exec, s[22:23]
	ds_read_b64 v[8:9], v136
	ds_read_b64 v[122:123], v143 offset:256
	s_and_b64 vcc, exec, s[0:1]
	v_lshl_add_u64 v[132:133], v[70:71], 0, v[38:39]
	s_waitcnt vmcnt(0) lgkmcnt(1)
	v_mul_f32_e32 v10, v9, v117
	v_mul_f32_e32 v11, v9, v116
	;; [unrolled: 1-line block ×4, first 2 shown]
	v_fma_f32 v10, v8, v116, -v10
	v_fmac_f32_e32 v11, v8, v117
	v_fma_f32 v20, v8, v114, -v20
	v_fmac_f32_e32 v21, v8, v115
	ds_write2_b64 v144, v[10:11], v[20:21] offset1:67
	v_mul_f32_e32 v10, v9, v119
	v_mul_f32_e32 v11, v9, v118
	;; [unrolled: 1-line block ×4, first 2 shown]
	v_fma_f32 v10, v8, v118, -v10
	v_fmac_f32_e32 v11, v8, v119
	v_fma_f32 v20, v8, v120, -v20
	v_fmac_f32_e32 v21, v9, v120
	ds_write2_b64 v144, v[10:11], v[20:21] offset0:134 offset1:201
	ds_read2_b64 v[8:11], v143 offset0:33 offset1:34
	ds_read_b64 v[126:127], v143 offset:280
	s_waitcnt lgkmcnt(0)
	s_barrier
	ds_read2_b64 v[24:27], v139 offset1:1
	ds_read2_b64 v[20:23], v139 offset0:2 offset1:3
	s_waitcnt lgkmcnt(0)
	s_barrier
	s_cbranch_vccnz .LBB117_140
; %bb.133:                              ;   in Loop: Header=BB117_91 Depth=1
	v_mov_b64_e32 v[124:125], 0
	v_cmp_gt_i32_e32 vcc, s26, v153
	v_mov_b64_e32 v[128:129], v[124:125]
	s_and_saveexec_b64 s[0:1], vcc
	s_cbranch_execz .LBB117_135
; %bb.134:                              ;   in Loop: Header=BB117_91 Depth=1
	global_load_dwordx2 v[128:129], v[132:133], off
.LBB117_135:                            ;   in Loop: Header=BB117_91 Depth=1
	s_or_b64 exec, exec, s[0:1]
	v_cmp_gt_i32_e32 vcc, s26, v154
	s_and_saveexec_b64 s[0:1], vcc
	s_cbranch_execz .LBB117_137
; %bb.136:                              ;   in Loop: Header=BB117_91 Depth=1
	v_lshl_add_u64 v[124:125], v[72:73], 0, v[38:39]
	global_load_dwordx2 v[124:125], v[124:125], off
.LBB117_137:                            ;   in Loop: Header=BB117_91 Depth=1
	s_or_b64 exec, exec, s[0:1]
	v_cmp_gt_i32_e32 vcc, s26, v155
	v_mov_b64_e32 v[130:131], 0
	s_and_saveexec_b64 s[0:1], vcc
	s_cbranch_execz .LBB117_139
; %bb.138:                              ;   in Loop: Header=BB117_91 Depth=1
	v_lshl_add_u64 v[130:131], v[74:75], 0, v[38:39]
	global_load_dwordx2 v[130:131], v[130:131], off
.LBB117_139:                            ;   in Loop: Header=BB117_91 Depth=1
	s_or_b64 exec, exec, s[0:1]
	v_cmp_gt_i32_e64 s[0:1], s26, v156
	s_mov_b64 s[16:17], 0
	s_branch .LBB117_142
.LBB117_140:                            ;   in Loop: Header=BB117_91 Depth=1
	s_mov_b64 s[0:1], 0
                                        ; implicit-def: $sgpr16_sgpr17
                                        ; implicit-def: $vgpr130_vgpr131
                                        ; implicit-def: $vgpr124_vgpr125
                                        ; implicit-def: $vgpr128_vgpr129
	s_cbranch_execz .LBB117_142
; %bb.141:                              ;   in Loop: Header=BB117_91 Depth=1
	s_waitcnt vmcnt(0)
	v_lshl_add_u64 v[124:125], v[72:73], 0, v[38:39]
	v_lshl_add_u64 v[130:131], v[76:77], 0, v[38:39]
	global_load_dwordx2 v[128:129], v[132:133], off
	s_or_b64 s[0:1], s[0:1], exec
	global_load_dwordx2 v[124:125], v[124:125], off
                                        ; implicit-def: $sgpr16_sgpr17
	s_nop 0
	global_load_dwordx2 v[130:131], v[130:131], off
.LBB117_142:                            ;   in Loop: Header=BB117_91 Depth=1
	v_mov_b64_e32 v[132:133], s[16:17]
	s_and_saveexec_b64 s[16:17], s[0:1]
	s_cbranch_execz .LBB117_144
; %bb.143:                              ;   in Loop: Header=BB117_91 Depth=1
	v_lshl_add_u64 v[132:133], v[78:79], 0, v[38:39]
	global_load_dwordx2 v[132:133], v[132:133], off
.LBB117_144:                            ;   in Loop: Header=BB117_91 Depth=1
	s_or_b64 exec, exec, s[16:17]
	v_pk_add_f32 v[24:25], v[24:25], 0 op_sel_hi:[1,0]
	v_pk_add_f32 v[16:17], v[16:17], 0 op_sel_hi:[1,0]
	v_pk_add_f32 v[24:25], v[24:25], v[26:27]
	v_pk_add_f32 v[16:17], v[16:17], v[18:19]
	;; [unrolled: 1-line block ×5, first 2 shown]
	ds_read_b64 v[20:21], v136
	v_pk_add_f32 v[26:27], v[12:13], v[14:15]
	v_pk_add_f32 v[4:5], v[4:5], 0 op_sel_hi:[1,0]
	v_cmp_gt_i32_e32 vcc, s26, v30
	v_pk_add_f32 v[158:159], v[4:5], v[6:7]
	s_waitcnt vmcnt(0) lgkmcnt(0)
	v_mul_f32_e32 v12, v21, v129
	v_mul_f32_e32 v13, v21, v128
	v_mul_f32_e32 v14, v21, v125
	v_mul_f32_e32 v15, v21, v124
	v_fma_f32 v12, v20, v128, -v12
	v_fmac_f32_e32 v13, v20, v129
	v_fma_f32 v14, v20, v124, -v14
	v_fmac_f32_e32 v15, v20, v125
	ds_write2_b64 v144, v[12:13], v[14:15] offset1:67
	v_mul_f32_e32 v12, v21, v131
	v_mul_f32_e32 v13, v21, v130
	;; [unrolled: 1-line block ×4, first 2 shown]
	v_fma_f32 v12, v20, v130, -v12
	v_fmac_f32_e32 v13, v20, v131
	v_fma_f32 v14, v20, v132, -v14
	v_fmac_f32_e32 v15, v21, v132
	ds_write2_b64 v144, v[12:13], v[14:15] offset0:134 offset1:201
	ds_read_b128 v[16:19], v143 offset:384
	ds_read_b128 v[12:15], v143 offset:400
	s_waitcnt lgkmcnt(0)
	s_barrier
	ds_read2_b64 v[20:23], v139 offset1:1
	ds_read2_b64 v[4:7], v139 offset0:2 offset1:3
	v_pk_add_f32 v[0:1], v[158:159], v[0:1]
	s_or_b64 s[0:1], s[14:15], vcc
	v_pk_add_f32 v[0:1], v[0:1], v[2:3]
	s_waitcnt lgkmcnt(1)
	v_pk_add_f32 v[2:3], v[20:21], 0 op_sel_hi:[1,0]
	s_and_b64 s[14:15], s[6:7], s[0:1]
	v_pk_add_f32 v[2:3], v[2:3], v[22:23]
	s_waitcnt lgkmcnt(0)
	v_pk_add_f32 v[2:3], v[2:3], v[4:5]
	s_barrier
	v_pk_add_f32 v[2:3], v[2:3], v[6:7]
	ds_write2_b64 v157, v[0:1], v[26:27] offset1:16
	ds_write2_b64 v157, v[24:25], v[2:3] offset0:32 offset1:48
	s_waitcnt lgkmcnt(0)
	s_barrier
	s_and_saveexec_b64 s[0:1], s[14:15]
	s_cbranch_execz .LBB117_90
; %bb.145:                              ;   in Loop: Header=BB117_91 Depth=1
	ds_read_b64 v[20:21], v137
	ds_read2_b64 v[0:3], v137 offset0:1 offset1:2
	ds_read2_b64 v[4:7], v137 offset0:3 offset1:4
	v_ashrrev_i32_e32 v37, 31, v36
	v_lshl_add_u64 v[24:25], v[36:37], 3, s[8:9]
	s_waitcnt lgkmcnt(1)
	v_add_f32_e32 v0, v0, v20
	v_add_f32_e32 v1, v1, v21
	;; [unrolled: 1-line block ×4, first 2 shown]
	ds_read2_b64 v[0:3], v137 offset0:5 offset1:6
	s_waitcnt lgkmcnt(1)
	v_add_f32_e32 v4, v20, v4
	v_add_f32_e32 v5, v21, v5
	;; [unrolled: 1-line block ×4, first 2 shown]
	ds_read2_b64 v[4:7], v137 offset0:7 offset1:8
	s_waitcnt lgkmcnt(1)
	v_pk_add_f32 v[0:1], v[20:21], v[0:1]
	ds_read2_b64 v[20:23], v137 offset0:9 offset1:10
	v_pk_add_f32 v[0:1], v[0:1], v[2:3]
	s_waitcnt lgkmcnt(1)
	v_pk_add_f32 v[0:1], v[0:1], v[4:5]
	s_nop 0
	v_pk_add_f32 v[4:5], v[0:1], v[6:7]
	ds_read2_b64 v[0:3], v137 offset0:11 offset1:12
	s_waitcnt lgkmcnt(1)
	v_pk_add_f32 v[20:21], v[4:5], v[20:21]
	ds_read2_b64 v[4:7], v137 offset0:13 offset1:14
	v_pk_add_f32 v[20:21], v[20:21], v[22:23]
	ds_read_b64 v[22:23], v138
	s_waitcnt lgkmcnt(2)
	v_pk_add_f32 v[0:1], v[20:21], v[0:1]
	s_nop 0
	v_pk_add_f32 v[0:1], v[0:1], v[2:3]
	s_waitcnt lgkmcnt(1)
	v_pk_add_f32 v[0:1], v[0:1], v[4:5]
	s_nop 0
	v_pk_add_f32 v[0:1], v[0:1], v[6:7]
	s_waitcnt lgkmcnt(0)
	v_pk_add_f32 v[0:1], v[0:1], v[22:23]
	global_store_dwordx2 v[24:25], v[0:1], off
	s_branch .LBB117_90
.LBB117_146:
	s_movk_i32 s0, 0x218
	v_cmp_gt_i32_e32 vcc, s18, v30
	v_mad_u32_u24 v0, v29, s0, v31
	s_or_b64 s[0:1], s[20:21], vcc
	s_and_b64 s[0:1], s[4:5], s[0:1]
	ds_write_b64 v0, v[32:33]
	s_waitcnt lgkmcnt(0)
	s_barrier
	s_and_saveexec_b64 s[2:3], s[0:1]
	s_cbranch_execz .LBB117_148
; %bb.147:
	ds_read2_b64 v[0:3], v31 offset1:67
	ds_read2_b64 v[4:7], v31 offset0:134 offset1:201
	v_ashrrev_i32_e32 v29, 31, v28
	v_lshl_add_u64 v[8:9], v[28:29], 3, s[8:9]
	s_waitcnt lgkmcnt(1)
	v_pk_add_f32 v[0:1], v[2:3], v[0:1]
	s_waitcnt lgkmcnt(0)
	v_pk_add_f32 v[0:1], v[0:1], v[4:5]
	s_nop 0
	v_pk_add_f32 v[0:1], v[0:1], v[6:7]
	global_store_dwordx2 v[8:9], v[0:1], off
.LBB117_148:
	s_endpgm
	.section	.rodata,"a",@progbits
	.p2align	6, 0x0
	.amdhsa_kernel _ZL26rocblas_hemvn_kernel_upperILb0ELi64ELi4ELi33ELi32ELi16Ei19rocblas_complex_numIfEPKS1_PS1_EviT6_lT7_lT5_lS6_lS7_lS5_lT8_i
		.amdhsa_group_segment_fixed_size 9600
		.amdhsa_private_segment_fixed_size 0
		.amdhsa_kernarg_size 376
		.amdhsa_user_sgpr_count 2
		.amdhsa_user_sgpr_dispatch_ptr 0
		.amdhsa_user_sgpr_queue_ptr 0
		.amdhsa_user_sgpr_kernarg_segment_ptr 1
		.amdhsa_user_sgpr_dispatch_id 0
		.amdhsa_user_sgpr_kernarg_preload_length 0
		.amdhsa_user_sgpr_kernarg_preload_offset 0
		.amdhsa_user_sgpr_private_segment_size 0
		.amdhsa_uses_dynamic_stack 0
		.amdhsa_enable_private_segment 0
		.amdhsa_system_sgpr_workgroup_id_x 1
		.amdhsa_system_sgpr_workgroup_id_y 0
		.amdhsa_system_sgpr_workgroup_id_z 1
		.amdhsa_system_sgpr_workgroup_info 0
		.amdhsa_system_vgpr_workitem_id 1
		.amdhsa_next_free_vgpr 160
		.amdhsa_next_free_sgpr 44
		.amdhsa_accum_offset 160
		.amdhsa_reserve_vcc 1
		.amdhsa_float_round_mode_32 0
		.amdhsa_float_round_mode_16_64 0
		.amdhsa_float_denorm_mode_32 3
		.amdhsa_float_denorm_mode_16_64 3
		.amdhsa_dx10_clamp 1
		.amdhsa_ieee_mode 1
		.amdhsa_fp16_overflow 0
		.amdhsa_tg_split 0
		.amdhsa_exception_fp_ieee_invalid_op 0
		.amdhsa_exception_fp_denorm_src 0
		.amdhsa_exception_fp_ieee_div_zero 0
		.amdhsa_exception_fp_ieee_overflow 0
		.amdhsa_exception_fp_ieee_underflow 0
		.amdhsa_exception_fp_ieee_inexact 0
		.amdhsa_exception_int_div_zero 0
	.end_amdhsa_kernel
	.section	.text._ZL26rocblas_hemvn_kernel_upperILb0ELi64ELi4ELi33ELi32ELi16Ei19rocblas_complex_numIfEPKS1_PS1_EviT6_lT7_lT5_lS6_lS7_lS5_lT8_i,"axG",@progbits,_ZL26rocblas_hemvn_kernel_upperILb0ELi64ELi4ELi33ELi32ELi16Ei19rocblas_complex_numIfEPKS1_PS1_EviT6_lT7_lT5_lS6_lS7_lS5_lT8_i,comdat
.Lfunc_end117:
	.size	_ZL26rocblas_hemvn_kernel_upperILb0ELi64ELi4ELi33ELi32ELi16Ei19rocblas_complex_numIfEPKS1_PS1_EviT6_lT7_lT5_lS6_lS7_lS5_lT8_i, .Lfunc_end117-_ZL26rocblas_hemvn_kernel_upperILb0ELi64ELi4ELi33ELi32ELi16Ei19rocblas_complex_numIfEPKS1_PS1_EviT6_lT7_lT5_lS6_lS7_lS5_lT8_i
                                        ; -- End function
	.section	.AMDGPU.csdata,"",@progbits
; Kernel info:
; codeLenInByte = 8332
; NumSgprs: 50
; NumVgprs: 160
; NumAgprs: 0
; TotalNumVgprs: 160
; ScratchSize: 0
; MemoryBound: 1
; FloatMode: 240
; IeeeMode: 1
; LDSByteSize: 9600 bytes/workgroup (compile time only)
; SGPRBlocks: 6
; VGPRBlocks: 19
; NumSGPRsForWavesPerEU: 50
; NumVGPRsForWavesPerEU: 160
; AccumOffset: 160
; Occupancy: 3
; WaveLimiterHint : 1
; COMPUTE_PGM_RSRC2:SCRATCH_EN: 0
; COMPUTE_PGM_RSRC2:USER_SGPR: 2
; COMPUTE_PGM_RSRC2:TRAP_HANDLER: 0
; COMPUTE_PGM_RSRC2:TGID_X_EN: 1
; COMPUTE_PGM_RSRC2:TGID_Y_EN: 0
; COMPUTE_PGM_RSRC2:TGID_Z_EN: 1
; COMPUTE_PGM_RSRC2:TIDIG_COMP_CNT: 1
; COMPUTE_PGM_RSRC3_GFX90A:ACCUM_OFFSET: 39
; COMPUTE_PGM_RSRC3_GFX90A:TG_SPLIT: 0
	.section	.text._ZL26rocblas_hemvn_kernel_lowerILb0ELi64ELi4ELi33ELi32ELi16ElPK19rocblas_complex_numIfES3_PS1_EviT6_lT7_lT5_lS6_lS7_lS5_lT8_i,"axG",@progbits,_ZL26rocblas_hemvn_kernel_lowerILb0ELi64ELi4ELi33ELi32ELi16ElPK19rocblas_complex_numIfES3_PS1_EviT6_lT7_lT5_lS6_lS7_lS5_lT8_i,comdat
	.globl	_ZL26rocblas_hemvn_kernel_lowerILb0ELi64ELi4ELi33ELi32ELi16ElPK19rocblas_complex_numIfES3_PS1_EviT6_lT7_lT5_lS6_lS7_lS5_lT8_i ; -- Begin function _ZL26rocblas_hemvn_kernel_lowerILb0ELi64ELi4ELi33ELi32ELi16ElPK19rocblas_complex_numIfES3_PS1_EviT6_lT7_lT5_lS6_lS7_lS5_lT8_i
	.p2align	8
	.type	_ZL26rocblas_hemvn_kernel_lowerILb0ELi64ELi4ELi33ELi32ELi16ElPK19rocblas_complex_numIfES3_PS1_EviT6_lT7_lT5_lS6_lS7_lS5_lT8_i,@function
_ZL26rocblas_hemvn_kernel_lowerILb0ELi64ELi4ELi33ELi32ELi16ElPK19rocblas_complex_numIfES3_PS1_EviT6_lT7_lT5_lS6_lS7_lS5_lT8_i: ; @_ZL26rocblas_hemvn_kernel_lowerILb0ELi64ELi4ELi33ELi32ELi16ElPK19rocblas_complex_numIfES3_PS1_EviT6_lT7_lT5_lS6_lS7_lS5_lT8_i
; %bb.0:
	s_load_dwordx2 s[6:7], s[0:1], 0x84
	s_add_u32 s4, s0, 0x78
	s_addc_u32 s5, s1, 0
	s_waitcnt lgkmcnt(0)
	s_lshr_b32 s8, s6, 16
	s_and_b32 s6, s6, 0xffff
	s_and_b32 s7, s7, 0xffff
	s_mul_i32 s6, s8, s6
	s_mul_i32 s6, s6, s7
	s_cmpk_lg_i32 s6, 0x100
	s_cbranch_scc1 .LBB118_97
; %bb.1:
	s_load_dwordx16 s[16:31], s[0:1], 0x8
	s_waitcnt lgkmcnt(0)
	s_mul_i32 s7, s3, s19
	s_mul_hi_u32 s8, s3, s18
	s_mul_i32 s6, s3, s18
	s_add_i32 s7, s8, s7
	s_lshl_b64 s[6:7], s[6:7], 3
	s_add_u32 s6, s16, s6
	s_addc_u32 s7, s17, s7
	s_load_dwordx2 s[8:9], s[6:7], 0x0
	s_load_dwordx2 s[34:35], s[0:1], 0x68
	s_load_dwordx8 s[36:43], s[0:1], 0x48
	s_waitcnt lgkmcnt(0)
	s_or_b32 s6, s8, s9
	s_bitset0_b32 s6, 31
	s_cmp_lg_u32 s6, 0
	s_cselect_b64 s[6:7], -1, 0
	s_mov_b64 s[8:9], -1
	s_and_b64 vcc, exec, s[6:7]
	s_cbranch_vccnz .LBB118_3
; %bb.2:
	s_mul_i32 s8, s3, s43
	s_mul_hi_u32 s9, s3, s42
	s_add_i32 s9, s9, s8
	s_mul_i32 s8, s3, s42
	s_lshl_b64 s[8:9], s[8:9], 3
	s_add_u32 s8, s40, s8
	s_addc_u32 s9, s41, s9
	s_load_dwordx2 s[8:9], s[8:9], 0x0
	s_waitcnt lgkmcnt(0)
	v_cmp_neq_f32_e64 s[10:11], s8, 1.0
	v_cmp_neq_f32_e64 s[8:9], s9, 0
	s_or_b64 s[8:9], s[10:11], s[8:9]
.LBB118_3:
	s_andn2_b64 vcc, exec, s[8:9]
	s_cbranch_vccnz .LBB118_97
; %bb.4:
	s_andn2_b64 vcc, exec, s[6:7]
	s_cbranch_vccnz .LBB118_97
; %bb.5:
	s_load_dword s40, s[4:5], 0x0
	s_load_dword s33, s[0:1], 0x0
	s_mul_i32 s0, s3, s39
	s_mul_hi_u32 s1, s3, s38
	s_add_i32 s1, s1, s0
	s_mul_i32 s0, s3, s38
	s_lshl_b64 s[0:1], s[0:1], 3
	s_add_u32 s4, s28, s0
	s_addc_u32 s5, s29, s1
	s_lshl_b64 s[0:1], s[30:31], 3
	s_add_u32 s0, s4, s0
	s_addc_u32 s1, s5, s1
	s_waitcnt lgkmcnt(0)
	s_ashr_i32 s41, s33, 31
	s_lshr_b32 s5, s41, 26
	s_add_i32 s5, s33, s5
	v_and_b32_e32 v26, 0x3ff, v0
	s_lshl_b32 s30, s2, 6
	s_andn2_b32 s5, s5, 63
	s_add_i32 s4, s40, -1
	s_sub_i32 s5, s33, s5
	v_add_u32_e32 v16, s30, v26
	s_cmp_eq_u32 s2, s4
	v_ashrrev_i32_e32 v17, 31, v16
	v_bfe_u32 v76, v0, 10, 10
	s_cselect_b32 s28, s5, 0
	v_mul_lo_u32 v2, v17, s36
	v_mul_lo_u32 v3, v16, s37
	v_mad_u64_u32 v[0:1], s[4:5], v16, s36, 0
	v_add3_u32 v1, v1, v3, v2
	v_lshl_add_u64 v[20:21], v[0:1], 3, s[0:1]
	v_cmp_ne_u32_e64 s[0:1], 0, v76
	v_cmp_eq_u32_e64 s[16:17], 0, v76
	s_and_saveexec_b64 s[4:5], s[16:17]
	s_cbranch_execz .LBB118_10
; %bb.6:
	s_cmp_lg_u32 s28, 0
	s_cselect_b64 s[6:7], -1, 0
	v_cmp_le_i32_e32 vcc, s28, v26
	v_mov_b32_e32 v0, 0x2380
	s_and_b64 s[6:7], s[6:7], vcc
	v_lshl_add_u32 v0, v26, 3, v0
	s_and_saveexec_b64 s[8:9], s[6:7]
	s_xor_b64 s[6:7], exec, s[8:9]
	s_cbranch_execz .LBB118_8
; %bb.7:
	v_mov_b32_e32 v2, 0
	v_mov_b32_e32 v3, v2
	ds_write_b64 v0, v[2:3]
                                        ; implicit-def: $vgpr0
.LBB118_8:
	s_andn2_saveexec_b64 s[6:7], s[6:7]
	s_cbranch_execz .LBB118_10
; %bb.9:
	global_load_dwordx2 v[2:3], v[20:21], off
	s_waitcnt vmcnt(0)
	ds_write_b64 v0, v[2:3]
.LBB118_10:
	s_or_b64 exec, exec, s[4:5]
	s_mul_i32 s4, s3, s27
	s_mul_hi_u32 s5, s3, s26
	s_add_i32 s5, s5, s4
	s_mul_i32 s4, s3, s26
	s_lshl_b64 s[4:5], s[4:5], 3
	s_add_u32 s6, s20, s4
	s_addc_u32 s7, s21, s5
	s_lshl_b64 s[4:5], s[22:23], 3
	s_add_u32 s6, s6, s4
	s_addc_u32 s7, s7, s5
	s_ashr_i32 s31, s30, 31
	v_lshl_add_u32 v27, v76, 6, v26
	s_lshl_b64 s[4:5], s[30:31], 3
	v_and_b32_e32 v0, 31, v26
	v_lshrrev_b32_e32 v10, 5, v27
	s_add_u32 s6, s6, s4
	v_mov_b32_e32 v1, 0
	s_addc_u32 s7, s7, s5
	v_mad_u64_u32 v[22:23], s[4:5], v10, s24, v[0:1]
	v_mov_b32_e32 v2, v23
	v_mad_u64_u32 v[2:3], s[4:5], v10, s25, v[2:3]
	s_mul_i32 s4, s30, s25
	s_mul_hi_u32 s5, s30, s24
	s_add_i32 s4, s5, s4
	s_mul_i32 s5, s31, s24
	s_add_i32 s5, s4, s5
	s_mul_i32 s4, s30, s24
	s_lshl_b64 s[22:23], s[4:5], 3
	s_add_u32 s4, s22, s6
	s_addc_u32 s5, s23, s7
	s_cmp_lg_u32 s28, 0
	v_mov_b32_e32 v23, v2
	s_cselect_b64 s[26:27], -1, 0
	s_cmp_eq_u32 s28, 0
	v_lshl_add_u64 v[2:3], v[22:23], 3, s[4:5]
	s_cselect_b64 s[18:19], -1, 0
	s_and_b64 vcc, exec, s[26:27]
	s_cbranch_vccnz .LBB118_12
; %bb.11:
	s_lshl_b64 s[4:5], s[24:25], 6
	v_lshl_add_u64 v[4:5], v[2:3], 0, s[4:5]
	v_mov_b32_e32 v1, 0xc0
	global_load_dwordx2 v[6:7], v[4:5], off
	global_load_dwordx2 v[12:13], v[2:3], off
	v_lshl_add_u64 v[4:5], v[4:5], 0, s[4:5]
	v_mad_u64_u32 v[8:9], s[4:5], s24, v1, v[2:3]
	s_mul_i32 s4, s25, 0xc0
	global_load_dwordx2 v[4:5], v[4:5], off
	v_add_u32_e32 v9, s4, v9
	global_load_dwordx2 v[8:9], v[8:9], off
	v_mul_u32_u24_e32 v1, 33, v10
	v_add_lshl_u32 v1, v1, v0, 3
	s_waitcnt vmcnt(2)
	ds_write_b64 v1, v[12:13]
	ds_write_b64 v1, v[6:7] offset:2112
	s_waitcnt vmcnt(1)
	ds_write_b64 v1, v[4:5] offset:4224
	s_waitcnt vmcnt(0)
	ds_write_b64 v1, v[8:9] offset:6336
	s_cbranch_execz .LBB118_13
	s_branch .LBB118_28
.LBB118_12:
.LBB118_13:
	v_lshlrev_b32_e32 v4, 3, v0
	v_sub_co_u32_e32 v6, vcc, v2, v4
	s_ashr_i32 s29, s28, 31
	s_nop 0
	v_subbrev_co_u32_e32 v7, vcc, 0, v3, vcc
	v_lshl_add_u64 v[6:7], s[28:29], 3, v[6:7]
	v_lshl_add_u64 v[6:7], v[6:7], 0, -8
	v_cmp_gt_i32_e32 vcc, s28, v0
	v_mov_b32_e32 v8, 0
	v_cmp_gt_i32_e64 s[4:5], s28, v10
	v_cndmask_b32_e32 v7, v7, v3, vcc
	v_cndmask_b32_e32 v6, v6, v2, vcc
	v_mov_b32_e32 v9, v8
	s_and_saveexec_b64 s[6:7], s[4:5]
	s_cbranch_execz .LBB118_15
; %bb.14:
	global_load_dwordx2 v[8:9], v[6:7], off
.LBB118_15:
	s_or_b64 exec, exec, s[6:7]
	v_mul_u32_u24_e32 v1, 33, v10
	v_add_u32_e32 v5, 8, v10
	v_add_lshl_u32 v1, v1, v0, 3
	v_cmp_le_i32_e64 s[4:5], s28, v5
	s_waitcnt vmcnt(0)
	ds_write_b64 v1, v[8:9]
	s_and_saveexec_b64 s[6:7], s[4:5]
	s_xor_b64 s[4:5], exec, s[6:7]
	s_cbranch_execz .LBB118_17
; %bb.16:
	v_mul_u32_u24_e32 v5, 33, v5
	v_mov_b32_e32 v8, 0
	v_add_lshl_u32 v5, v5, v0, 3
	v_mov_b32_e32 v9, v8
	ds_write_b64 v5, v[8:9]
.LBB118_17:
	s_andn2_saveexec_b64 s[4:5], s[4:5]
	s_cbranch_execz .LBB118_19
; %bb.18:
	s_lshl_b64 s[6:7], s[24:25], 6
	v_lshl_add_u64 v[8:9], v[6:7], 0, s[6:7]
	global_load_dwordx2 v[8:9], v[8:9], off
	s_waitcnt vmcnt(0)
	ds_write_b64 v1, v[8:9] offset:2112
.LBB118_19:
	s_or_b64 exec, exec, s[4:5]
	v_add_u32_e32 v5, 16, v10
	v_cmp_le_i32_e64 s[4:5], s28, v5
	s_and_saveexec_b64 s[6:7], s[4:5]
	s_xor_b64 s[4:5], exec, s[6:7]
	s_cbranch_execz .LBB118_21
; %bb.20:
	v_mov_b32_e32 v8, 0
	v_mov_b32_e32 v9, v8
	ds_write_b64 v1, v[8:9] offset:4224
.LBB118_21:
	s_andn2_saveexec_b64 s[4:5], s[4:5]
	s_cbranch_execz .LBB118_23
; %bb.22:
	s_lshl_b64 s[6:7], s[24:25], 7
	v_lshl_add_u64 v[8:9], v[6:7], 0, s[6:7]
	global_load_dwordx2 v[8:9], v[8:9], off
	s_waitcnt vmcnt(0)
	ds_write_b64 v1, v[8:9] offset:4224
.LBB118_23:
	s_or_b64 exec, exec, s[4:5]
	v_add_u32_e32 v5, 24, v10
	v_cmp_le_i32_e64 s[4:5], s28, v5
	s_and_saveexec_b64 s[6:7], s[4:5]
	s_xor_b64 s[4:5], exec, s[6:7]
	s_cbranch_execz .LBB118_25
; %bb.24:
	v_mov_b32_e32 v8, 0
	v_mov_b32_e32 v9, v8
	ds_write_b64 v1, v[8:9] offset:6336
                                        ; implicit-def: $vgpr1
.LBB118_25:
	s_andn2_saveexec_b64 s[4:5], s[4:5]
	s_cbranch_execz .LBB118_27
; %bb.26:
	v_mov_b32_e32 v5, 0xc0
	v_mad_u64_u32 v[8:9], s[6:7], s24, v5, v[6:7]
	s_mul_i32 s6, s25, 0xc0
	s_nop 0
	v_add_u32_e32 v9, s6, v9
	global_load_dwordx2 v[8:9], v[8:9], off
	s_waitcnt vmcnt(0)
	ds_write_b64 v1, v[8:9] offset:6336
.LBB118_27:
	s_or_b64 exec, exec, s[4:5]
	v_mov_b32_e32 v5, 0
	v_lshl_add_u64 v[4:5], v[6:7], 0, v[4:5]
	s_lshl_b64 s[4:5], s[28:29], 3
	v_mov_b32_e32 v1, s5
	v_subrev_co_u32_e64 v4, s[4:5], s4, v4
	s_nop 1
	v_subb_co_u32_e64 v5, s[4:5], v5, v1, s[4:5]
	v_lshl_add_u64 v[4:5], v[4:5], 0, 8
	v_cndmask_b32_e32 v3, v5, v3, vcc
	v_cndmask_b32_e32 v2, v4, v2, vcc
.LBB118_28:
	v_lshlrev_b32_e32 v4, 2, v10
	v_mul_u32_u24_e32 v28, 33, v0
	v_cmp_lt_u32_e64 s[6:7], v4, v0
	v_add_lshl_u32 v1, v4, v28, 3
	s_waitcnt lgkmcnt(0)
	s_barrier
	s_and_saveexec_b64 s[4:5], s[6:7]
	s_cbranch_execz .LBB118_30
; %bb.29:
	v_mul_u32_u24_e32 v5, 0x84, v10
	v_add_lshl_u32 v5, v5, v0, 3
	ds_read_b64 v[6:7], v5
	s_waitcnt lgkmcnt(0)
	ds_write_b64 v1, v[6:7]
.LBB118_30:
	s_or_b64 exec, exec, s[4:5]
	v_or_b32_e32 v5, 1, v4
	v_cmp_lt_u32_e64 s[8:9], v5, v0
	s_and_saveexec_b64 s[4:5], s[8:9]
	s_cbranch_execz .LBB118_32
; %bb.31:
	v_mul_u32_u24_e32 v5, 33, v5
	v_add_lshl_u32 v5, v5, v0, 3
	ds_read_b64 v[6:7], v5
	s_waitcnt lgkmcnt(0)
	ds_write_b64 v1, v[6:7] offset:8
.LBB118_32:
	s_or_b64 exec, exec, s[4:5]
	v_or_b32_e32 v5, 2, v4
	v_cmp_lt_u32_e64 s[10:11], v5, v0
	s_and_saveexec_b64 s[4:5], s[10:11]
	s_cbranch_execz .LBB118_34
; %bb.33:
	v_mul_u32_u24_e32 v5, 33, v5
	v_add_lshl_u32 v5, v5, v0, 3
	ds_read_b64 v[6:7], v5
	s_waitcnt lgkmcnt(0)
	ds_write_b64 v1, v[6:7] offset:16
.LBB118_34:
	s_or_b64 exec, exec, s[4:5]
	v_or_b32_e32 v5, 3, v4
	v_cmp_lt_u32_e64 s[12:13], v5, v0
	v_mad_u32_u24 v5, v5, 33, v0
	v_lshlrev_b32_e32 v11, 3, v5
	s_and_saveexec_b64 s[4:5], s[12:13]
	s_cbranch_execz .LBB118_36
; %bb.35:
	ds_read_b64 v[6:7], v11
	s_waitcnt lgkmcnt(0)
	ds_write_b64 v1, v[6:7] offset:24
.LBB118_36:
	s_or_b64 exec, exec, s[4:5]
	v_mul_u32_u24_e32 v5, 0x84, v10
	v_add_lshl_u32 v13, v5, v0, 3
	s_waitcnt lgkmcnt(0)
	s_barrier
	v_lshlrev_b32_e32 v14, 3, v4
	v_add_u32_e32 v12, 0xfffffdf0, v11
	ds_read_b64 v[8:9], v13
	ds_read_b128 v[4:7], v14 offset:9088
	ds_read2_b64 v[30:33], v12 offset1:33
	ds_read_b64 v[18:19], v11
	ds_read_b128 v[34:37], v14 offset:9104
	s_mov_b32 s14, 0
	s_mov_b32 s15, s14
	s_waitcnt lgkmcnt(3)
	v_pk_mul_f32 v[24:25], v[4:5], v[8:9] op_sel:[0,1]
	v_add_lshl_u32 v29, v10, v28, 3
	v_pk_fma_f32 v[38:39], v[4:5], v[8:9], v[24:25] op_sel:[0,0,1] op_sel_hi:[1,1,0] neg_lo:[0,0,1] neg_hi:[0,0,1]
	v_pk_fma_f32 v[4:5], v[4:5], v[8:9], v[24:25] op_sel:[0,0,1] op_sel_hi:[1,0,0]
	s_waitcnt lgkmcnt(2)
	v_pk_mul_f32 v[8:9], v[6:7], v[30:31] op_sel:[0,1]
	v_mov_b32_e32 v39, v5
	v_pk_fma_f32 v[24:25], v[6:7], v[30:31], v[8:9] op_sel:[0,0,1] op_sel_hi:[1,1,0] neg_lo:[0,0,1] neg_hi:[0,0,1]
	v_pk_fma_f32 v[6:7], v[6:7], v[30:31], v[8:9] op_sel:[0,0,1] op_sel_hi:[1,0,0]
	v_pk_add_f32 v[4:5], v[38:39], 0 op_sel_hi:[1,0]
	v_mov_b32_e32 v25, v7
	s_waitcnt lgkmcnt(0)
	v_pk_mul_f32 v[6:7], v[34:35], v[32:33] op_sel:[0,1]
	v_pk_add_f32 v[4:5], v[4:5], v[24:25]
	v_pk_fma_f32 v[8:9], v[34:35], v[32:33], v[6:7] op_sel:[0,0,1] op_sel_hi:[1,1,0] neg_lo:[0,0,1] neg_hi:[0,0,1]
	v_pk_fma_f32 v[6:7], v[34:35], v[32:33], v[6:7] op_sel:[0,0,1] op_sel_hi:[1,0,0]
	v_cmp_gt_u32_e64 s[4:5], 32, v27
	v_mov_b32_e32 v9, v7
	v_pk_mul_f32 v[6:7], v[36:37], v[18:19] op_sel:[0,1]
	v_pk_add_f32 v[4:5], v[4:5], v[8:9]
	v_pk_fma_f32 v[8:9], v[36:37], v[18:19], v[6:7] op_sel:[0,0,1] op_sel_hi:[1,1,0] neg_lo:[0,0,1] neg_hi:[0,0,1]
	v_pk_fma_f32 v[6:7], v[36:37], v[18:19], v[6:7] op_sel:[0,0,1] op_sel_hi:[1,0,0]
	v_mov_b64_e32 v[18:19], s[14:15]
	v_mov_b32_e32 v9, v7
	v_pk_add_f32 v[4:5], v[4:5], v[8:9]
	s_barrier
	ds_write_b64 v29, v[4:5]
	s_waitcnt lgkmcnt(0)
	s_barrier
	s_and_saveexec_b64 s[14:15], s[4:5]
	s_cbranch_execz .LBB118_38
; %bb.37:
	v_lshlrev_b32_e32 v8, 3, v28
	ds_read2_b64 v[4:7], v8 offset1:7
	ds_read2_b64 v[30:33], v8 offset0:1 offset1:2
	ds_read2_b64 v[34:37], v8 offset0:3 offset1:4
	s_waitcnt lgkmcnt(1)
	v_add_f32_e32 v4, v30, v4
	v_add_f32_e32 v5, v31, v5
	;; [unrolled: 1-line block ×4, first 2 shown]
	ds_read2_b64 v[30:33], v8 offset0:5 offset1:6
	s_waitcnt lgkmcnt(1)
	v_add_f32_e32 v4, v4, v34
	v_add_f32_e32 v5, v5, v35
	;; [unrolled: 1-line block ×4, first 2 shown]
	s_waitcnt lgkmcnt(0)
	v_add_f32_e32 v4, v4, v30
	v_add_f32_e32 v5, v5, v31
	;; [unrolled: 1-line block ×4, first 2 shown]
	v_pk_add_f32 v[18:19], v[4:5], v[6:7]
.LBB118_38:
	s_or_b64 exec, exec, s[14:15]
	s_lshl_b64 s[20:21], s[24:25], 8
	v_lshl_add_u64 v[4:5], v[2:3], 0, s[20:21]
	s_mov_b64 s[38:39], 0x100
	v_cndmask_b32_e64 v2, 0, 1, s[18:19]
	v_cmp_ne_u32_e64 s[14:15], 1, v2
	s_andn2_b64 vcc, exec, s[18:19]
	v_lshl_add_u64 v[2:3], v[4:5], 0, s[38:39]
	s_barrier
	s_cbranch_vccnz .LBB118_40
; %bb.39:
	s_lshl_b64 s[18:19], s[24:25], 6
	v_lshl_add_u64 v[6:7], v[4:5], 0, s[18:19]
	v_mov_b32_e32 v15, 0xc0
	v_lshl_add_u64 v[8:9], v[6:7], 0, s[18:19]
	v_mad_u64_u32 v[24:25], s[18:19], s24, v15, v[4:5]
	s_mul_i32 s18, s25, 0xc0
	s_nop 0
	v_add_u32_e32 v25, s18, v25
	global_load_dwordx2 v[30:31], v[4:5], off offset:256
	global_load_dwordx2 v[32:33], v[6:7], off offset:256
	;; [unrolled: 1-line block ×4, first 2 shown]
	v_mul_u32_u24_e32 v4, 33, v10
	v_add_lshl_u32 v4, v4, v0, 3
	s_waitcnt vmcnt(3)
	ds_write_b64 v4, v[30:31]
	s_waitcnt vmcnt(2)
	ds_write_b64 v4, v[32:33] offset:2112
	s_waitcnt vmcnt(1)
	ds_write_b64 v4, v[34:35] offset:4224
	;; [unrolled: 2-line block ×3, first 2 shown]
	s_cbranch_execz .LBB118_41
	s_branch .LBB118_56
.LBB118_40:
.LBB118_41:
	v_lshlrev_b32_e32 v4, 3, v0
	v_sub_co_u32_e32 v6, vcc, v2, v4
	s_ashr_i32 s29, s28, 31
	s_nop 0
	v_subbrev_co_u32_e32 v7, vcc, 0, v3, vcc
	s_movk_i32 s18, 0xfef8
	v_or_b32_e32 v5, 32, v0
	v_lshl_add_u64 v[6:7], s[28:29], 3, v[6:7]
	s_mov_b32 s19, -1
	v_lshl_add_u64 v[6:7], v[6:7], 0, s[18:19]
	v_cmp_gt_i32_e32 vcc, s28, v5
	s_sub_i32 s42, s28, 32
	v_mov_b32_e32 v8, 0
	v_cndmask_b32_e32 v7, v7, v3, vcc
	v_cndmask_b32_e32 v6, v6, v2, vcc
	v_cmp_gt_i32_e64 s[18:19], s42, v10
	v_mov_b32_e32 v9, v8
	s_and_saveexec_b64 s[38:39], s[18:19]
	s_cbranch_execz .LBB118_43
; %bb.42:
	global_load_dwordx2 v[8:9], v[6:7], off
.LBB118_43:
	s_or_b64 exec, exec, s[38:39]
	v_mul_u32_u24_e32 v5, 33, v10
	v_add_lshl_u32 v5, v5, v0, 3
	s_waitcnt vmcnt(0)
	ds_write_b64 v5, v[8:9]
	v_add_u32_e32 v8, 8, v10
	v_cmp_le_i32_e64 s[18:19], s42, v8
	s_and_saveexec_b64 s[38:39], s[18:19]
	s_xor_b64 s[18:19], exec, s[38:39]
	s_cbranch_execz .LBB118_45
; %bb.44:
	v_mul_u32_u24_e32 v8, 33, v8
	v_add_lshl_u32 v15, v8, v0, 3
	v_mov_b32_e32 v8, 0
	v_mov_b32_e32 v9, v8
	ds_write_b64 v15, v[8:9]
.LBB118_45:
	s_andn2_saveexec_b64 s[18:19], s[18:19]
	s_cbranch_execz .LBB118_47
; %bb.46:
	s_lshl_b64 s[38:39], s[24:25], 6
	v_lshl_add_u64 v[8:9], v[6:7], 0, s[38:39]
	global_load_dwordx2 v[8:9], v[8:9], off
	s_waitcnt vmcnt(0)
	ds_write_b64 v5, v[8:9] offset:2112
.LBB118_47:
	s_or_b64 exec, exec, s[18:19]
	v_add_u32_e32 v8, 16, v10
	v_cmp_le_i32_e64 s[18:19], s42, v8
	s_and_saveexec_b64 s[38:39], s[18:19]
	s_xor_b64 s[18:19], exec, s[38:39]
	s_cbranch_execz .LBB118_49
; %bb.48:
	v_mov_b32_e32 v8, 0
	v_mov_b32_e32 v9, v8
	ds_write_b64 v5, v[8:9] offset:4224
.LBB118_49:
	s_andn2_saveexec_b64 s[18:19], s[18:19]
	s_cbranch_execz .LBB118_51
; %bb.50:
	s_lshl_b64 s[38:39], s[24:25], 7
	v_lshl_add_u64 v[8:9], v[6:7], 0, s[38:39]
	global_load_dwordx2 v[8:9], v[8:9], off
	s_waitcnt vmcnt(0)
	ds_write_b64 v5, v[8:9] offset:4224
.LBB118_51:
	s_or_b64 exec, exec, s[18:19]
	v_add_u32_e32 v8, 24, v10
	v_cmp_le_i32_e64 s[18:19], s42, v8
	s_and_saveexec_b64 s[38:39], s[18:19]
	s_xor_b64 s[18:19], exec, s[38:39]
	s_cbranch_execz .LBB118_53
; %bb.52:
	v_mov_b32_e32 v8, 0
	v_mov_b32_e32 v9, v8
	ds_write_b64 v5, v[8:9] offset:6336
                                        ; implicit-def: $vgpr5
.LBB118_53:
	s_andn2_saveexec_b64 s[18:19], s[18:19]
	s_cbranch_execz .LBB118_55
; %bb.54:
	v_mov_b32_e32 v8, 0xc0
	v_mad_u64_u32 v[8:9], s[38:39], s24, v8, v[6:7]
	s_mul_i32 s38, s25, 0xc0
	s_nop 0
	v_add_u32_e32 v9, s38, v9
	global_load_dwordx2 v[8:9], v[8:9], off
	s_waitcnt vmcnt(0)
	ds_write_b64 v5, v[8:9] offset:6336
.LBB118_55:
	s_or_b64 exec, exec, s[18:19]
	v_mov_b32_e32 v5, 0
	v_lshl_add_u64 v[4:5], v[6:7], 0, v[4:5]
	s_lshl_b64 s[18:19], s[28:29], 3
	v_mov_b32_e32 v6, s19
	v_subrev_co_u32_e64 v4, s[18:19], s18, v4
	s_nop 1
	v_subb_co_u32_e64 v5, s[18:19], v5, v6, s[18:19]
	s_mov_b64 s[18:19], 0x108
	s_nop 0
	v_lshl_add_u64 v[4:5], v[4:5], 0, s[18:19]
	v_cndmask_b32_e32 v3, v5, v3, vcc
	v_cndmask_b32_e32 v2, v4, v2, vcc
.LBB118_56:
	v_add_u32_e32 v30, 0x2380, v14
	s_lshl_b64 s[18:19], s[24:25], 5
	s_waitcnt lgkmcnt(0)
	s_barrier
	s_and_saveexec_b64 s[38:39], s[6:7]
	s_cbranch_execnz .LBB118_65
; %bb.57:
	s_or_b64 exec, exec, s[38:39]
	s_and_saveexec_b64 s[6:7], s[8:9]
	s_cbranch_execnz .LBB118_66
.LBB118_58:
	s_or_b64 exec, exec, s[6:7]
	s_and_saveexec_b64 s[6:7], s[10:11]
	s_cbranch_execnz .LBB118_67
.LBB118_59:
	s_or_b64 exec, exec, s[6:7]
	s_and_saveexec_b64 s[6:7], s[12:13]
	s_cbranch_execz .LBB118_61
.LBB118_60:
	ds_read_b64 v[4:5], v11
	s_waitcnt lgkmcnt(0)
	ds_write_b64 v1, v[4:5] offset:24
.LBB118_61:
	s_or_b64 exec, exec, s[6:7]
	s_waitcnt lgkmcnt(0)
	s_barrier
	ds_read_b64 v[8:9], v13
	ds_read_b128 v[4:7], v30 offset:256
	ds_read2_b64 v[12:15], v12 offset1:33
	ds_read_b64 v[24:25], v11
	ds_read_b128 v[32:35], v30 offset:272
	v_cmp_eq_u32_e64 s[6:7], 1, v10
	s_waitcnt lgkmcnt(3)
	v_pk_mul_f32 v[36:37], v[4:5], v[8:9] op_sel:[0,1]
	s_waitcnt lgkmcnt(0)
	v_pk_fma_f32 v[38:39], v[4:5], v[8:9], v[36:37] op_sel:[0,0,1] op_sel_hi:[1,1,0] neg_lo:[0,0,1] neg_hi:[0,0,1]
	v_pk_fma_f32 v[4:5], v[4:5], v[8:9], v[36:37] op_sel:[0,0,1] op_sel_hi:[1,0,0]
	v_pk_mul_f32 v[8:9], v[6:7], v[12:13] op_sel:[0,1]
	v_mov_b32_e32 v39, v5
	v_pk_fma_f32 v[36:37], v[6:7], v[12:13], v[8:9] op_sel:[0,0,1] op_sel_hi:[1,1,0] neg_lo:[0,0,1] neg_hi:[0,0,1]
	v_pk_fma_f32 v[6:7], v[6:7], v[12:13], v[8:9] op_sel:[0,0,1] op_sel_hi:[1,0,0]
	v_pk_add_f32 v[4:5], v[38:39], 0 op_sel_hi:[1,0]
	v_mov_b32_e32 v37, v7
	v_pk_mul_f32 v[6:7], v[32:33], v[14:15] op_sel:[0,1]
	v_pk_add_f32 v[4:5], v[4:5], v[36:37]
	v_pk_fma_f32 v[8:9], v[32:33], v[14:15], v[6:7] op_sel:[0,0,1] op_sel_hi:[1,1,0] neg_lo:[0,0,1] neg_hi:[0,0,1]
	v_pk_fma_f32 v[6:7], v[32:33], v[14:15], v[6:7] op_sel:[0,0,1] op_sel_hi:[1,0,0]
	s_barrier
	v_mov_b32_e32 v9, v7
	v_pk_mul_f32 v[6:7], v[34:35], v[24:25] op_sel:[0,1]
	v_pk_add_f32 v[4:5], v[4:5], v[8:9]
	v_pk_fma_f32 v[8:9], v[34:35], v[24:25], v[6:7] op_sel:[0,0,1] op_sel_hi:[1,1,0] neg_lo:[0,0,1] neg_hi:[0,0,1]
	v_pk_fma_f32 v[6:7], v[34:35], v[24:25], v[6:7] op_sel:[0,0,1] op_sel_hi:[1,0,0]
	s_nop 0
	v_mov_b32_e32 v9, v7
	v_pk_add_f32 v[4:5], v[4:5], v[8:9]
	ds_write_b64 v29, v[4:5]
	s_waitcnt lgkmcnt(0)
	s_barrier
	s_and_saveexec_b64 s[8:9], s[6:7]
	s_cbranch_execz .LBB118_63
; %bb.62:
	v_lshlrev_b32_e32 v8, 3, v28
	ds_read2_b64 v[4:7], v8 offset1:7
	ds_read2_b64 v[12:15], v8 offset0:1 offset1:2
	ds_read2_b64 v[32:35], v8 offset0:3 offset1:4
	s_waitcnt lgkmcnt(1)
	v_add_f32_e32 v4, v12, v4
	v_add_f32_e32 v5, v13, v5
	;; [unrolled: 1-line block ×4, first 2 shown]
	ds_read2_b64 v[12:15], v8 offset0:5 offset1:6
	s_waitcnt lgkmcnt(1)
	v_add_f32_e32 v4, v4, v32
	v_add_f32_e32 v5, v5, v33
	;; [unrolled: 1-line block ×4, first 2 shown]
	s_waitcnt lgkmcnt(0)
	v_add_f32_e32 v4, v4, v12
	v_add_f32_e32 v5, v5, v13
	v_pk_add_f32 v[4:5], v[4:5], v[14:15]
	s_nop 0
	v_pk_add_f32 v[18:19], v[4:5], v[6:7]
.LBB118_63:
	s_or_b64 exec, exec, s[8:9]
	s_lshl_b64 s[8:9], s[18:19], 3
	v_mov_b32_e32 v4, s9
	v_subrev_co_u32_e64 v24, s[8:9], s8, v2
	s_and_b64 vcc, exec, s[14:15]
	s_nop 0
	v_subb_co_u32_e64 v25, s[8:9], v3, v4, s[8:9]
	s_barrier
	s_cbranch_vccnz .LBB118_68
; %bb.64:
	s_lshl_b64 s[8:9], s[24:25], 6
	v_lshl_add_u64 v[2:3], v[24:25], 0, s[8:9]
	v_mov_b32_e32 v6, 0xc0
	v_lshl_add_u64 v[4:5], v[2:3], 0, s[8:9]
	v_mad_u64_u32 v[6:7], s[8:9], s24, v6, v[24:25]
	s_mul_i32 s8, s25, 0xc0
	s_nop 0
	v_add_u32_e32 v7, s8, v7
	global_load_dwordx2 v[12:13], v[24:25], off
	global_load_dwordx2 v[14:15], v[2:3], off
	global_load_dwordx2 v[32:33], v[4:5], off
	global_load_dwordx2 v[34:35], v[6:7], off
	v_mad_u32_u24 v8, v10, 33, v0
	v_add_u32_e32 v6, 8, v10
	v_add_u32_e32 v7, 16, v10
	;; [unrolled: 1-line block ×3, first 2 shown]
	v_lshlrev_b32_e32 v4, 3, v8
	v_add_u32_e32 v2, 0x108, v8
	v_add_u32_e32 v3, 0x210, v8
	;; [unrolled: 1-line block ×3, first 2 shown]
	s_waitcnt vmcnt(3)
	ds_write_b64 v4, v[12:13]
	s_waitcnt vmcnt(2)
	ds_write_b64 v4, v[14:15] offset:2112
	s_waitcnt vmcnt(1)
	ds_write_b64 v4, v[32:33] offset:4224
	;; [unrolled: 2-line block ×3, first 2 shown]
	s_cbranch_execz .LBB118_69
	s_branch .LBB118_84
.LBB118_65:
	ds_read_b64 v[4:5], v13
	s_waitcnt lgkmcnt(0)
	ds_write_b64 v1, v[4:5]
	s_or_b64 exec, exec, s[38:39]
	s_and_saveexec_b64 s[6:7], s[8:9]
	s_cbranch_execz .LBB118_58
.LBB118_66:
	ds_read_b64 v[4:5], v12
	s_waitcnt lgkmcnt(0)
	ds_write_b64 v1, v[4:5] offset:8
	s_or_b64 exec, exec, s[6:7]
	s_and_saveexec_b64 s[6:7], s[10:11]
	s_cbranch_execz .LBB118_59
.LBB118_67:
	ds_read_b64 v[4:5], v12 offset:264
	s_waitcnt lgkmcnt(0)
	ds_write_b64 v1, v[4:5] offset:16
	s_or_b64 exec, exec, s[6:7]
	s_and_saveexec_b64 s[6:7], s[12:13]
	s_cbranch_execnz .LBB118_60
	s_branch .LBB118_61
.LBB118_68:
                                        ; implicit-def: $vgpr8
                                        ; implicit-def: $vgpr6
                                        ; implicit-def: $vgpr2
                                        ; implicit-def: $vgpr7
                                        ; implicit-def: $vgpr3
                                        ; implicit-def: $vgpr9
                                        ; implicit-def: $vgpr11
.LBB118_69:
	v_lshlrev_b32_e32 v2, 3, v0
	v_sub_co_u32_e32 v4, vcc, v24, v2
	s_ashr_i32 s29, s28, 31
	s_nop 0
	v_subbrev_co_u32_e32 v5, vcc, 0, v25, vcc
	s_movk_i32 s8, 0xfef8
	v_or_b32_e32 v3, 32, v0
	v_lshl_add_u64 v[4:5], s[28:29], 3, v[4:5]
	s_mov_b32 s9, -1
	v_lshl_add_u64 v[4:5], v[4:5], 0, s[8:9]
	v_cmp_gt_i32_e32 vcc, s28, v3
	v_mov_b32_e32 v6, 0
	v_cmp_gt_i32_e64 s[8:9], s28, v10
	v_cndmask_b32_e32 v5, v5, v25, vcc
	v_cndmask_b32_e32 v4, v4, v24, vcc
	v_mov_b32_e32 v7, v6
	s_and_saveexec_b64 s[10:11], s[8:9]
	s_cbranch_execz .LBB118_71
; %bb.70:
	global_load_dwordx2 v[6:7], v[4:5], off
.LBB118_71:
	s_or_b64 exec, exec, s[10:11]
	v_mad_u32_u24 v8, v10, 33, v0
	v_lshlrev_b32_e32 v3, 3, v8
	s_waitcnt vmcnt(0)
	ds_write_b64 v3, v[6:7]
	v_add_u32_e32 v6, 8, v10
	v_cmp_le_i32_e64 s[8:9], s28, v6
	s_and_saveexec_b64 s[10:11], s[8:9]
	s_xor_b64 s[8:9], exec, s[10:11]
	s_cbranch_execz .LBB118_73
; %bb.72:
	v_mul_u32_u24_e32 v7, 33, v6
	v_mov_b32_e32 v12, 0
	v_add_lshl_u32 v7, v7, v0, 3
	v_mov_b32_e32 v13, v12
	ds_write_b64 v7, v[12:13]
.LBB118_73:
	s_andn2_saveexec_b64 s[8:9], s[8:9]
	s_cbranch_execz .LBB118_75
; %bb.74:
	s_lshl_b64 s[10:11], s[24:25], 6
	v_lshl_add_u64 v[12:13], v[4:5], 0, s[10:11]
	global_load_dwordx2 v[12:13], v[12:13], off
	s_waitcnt vmcnt(0)
	ds_write_b64 v3, v[12:13] offset:2112
.LBB118_75:
	s_or_b64 exec, exec, s[8:9]
	v_add_u32_e32 v7, 16, v10
	v_cmp_le_i32_e64 s[8:9], s28, v7
	s_and_saveexec_b64 s[10:11], s[8:9]
	s_xor_b64 s[8:9], exec, s[10:11]
	s_cbranch_execz .LBB118_77
; %bb.76:
	v_mul_u32_u24_e32 v9, 33, v7
	v_mov_b32_e32 v12, 0
	v_add_lshl_u32 v0, v9, v0, 3
	v_mov_b32_e32 v13, v12
	ds_write_b64 v0, v[12:13]
.LBB118_77:
	s_andn2_saveexec_b64 s[8:9], s[8:9]
	s_cbranch_execz .LBB118_79
; %bb.78:
	s_lshl_b64 s[10:11], s[24:25], 7
	v_lshl_add_u64 v[12:13], v[4:5], 0, s[10:11]
	global_load_dwordx2 v[12:13], v[12:13], off
	s_waitcnt vmcnt(0)
	ds_write_b64 v3, v[12:13] offset:4224
.LBB118_79:
	s_or_b64 exec, exec, s[8:9]
	v_add_u32_e32 v9, 24, v10
	v_cmp_le_i32_e64 s[8:9], s28, v9
                                        ; implicit-def: $vgpr11
	s_and_saveexec_b64 s[10:11], s[8:9]
	s_xor_b64 s[8:9], exec, s[10:11]
	s_cbranch_execz .LBB118_81
; %bb.80:
	v_mov_b32_e32 v12, 0
	v_add_u32_e32 v11, 0x318, v8
	v_mov_b32_e32 v13, v12
	ds_write_b64 v3, v[12:13] offset:6336
                                        ; implicit-def: $vgpr3
.LBB118_81:
	s_andn2_saveexec_b64 s[8:9], s[8:9]
	s_cbranch_execz .LBB118_83
; %bb.82:
	v_mov_b32_e32 v0, 0xc0
	v_mad_u64_u32 v[12:13], s[10:11], s24, v0, v[4:5]
	s_mul_i32 s10, s25, 0xc0
	s_nop 0
	v_add_u32_e32 v13, s10, v13
	global_load_dwordx2 v[12:13], v[12:13], off
	v_add_u32_e32 v11, 0x318, v8
	s_waitcnt vmcnt(0)
	ds_write_b64 v3, v[12:13] offset:6336
.LBB118_83:
	s_or_b64 exec, exec, s[8:9]
	v_mov_b32_e32 v3, 0
	v_lshl_add_u64 v[2:3], v[4:5], 0, v[2:3]
	s_lshl_b64 s[8:9], s[28:29], 3
	v_mov_b32_e32 v0, s9
	v_subrev_co_u32_e64 v2, s[8:9], s8, v2
	s_nop 1
	v_subb_co_u32_e64 v3, s[8:9], v3, v0, s[8:9]
	s_mov_b64 s[8:9], 0x108
	s_nop 0
	v_lshl_add_u64 v[2:3], v[2:3], 0, s[8:9]
	v_cndmask_b32_e32 v25, v3, v25, vcc
	v_cndmask_b32_e32 v24, v2, v24, vcc
	v_add_u32_e32 v2, 0x108, v8
	v_add_u32_e32 v3, 0x210, v8
.LBB118_84:
	v_lshlrev_b32_e32 v0, 3, v8
	s_waitcnt lgkmcnt(0)
	s_barrier
	ds_read_b64 v[32:33], v0
	v_lshlrev_b32_e32 v4, 3, v10
	v_lshlrev_b32_e32 v5, 3, v2
	;; [unrolled: 1-line block ×7, first 2 shown]
	ds_read_b64 v[34:35], v0
	ds_read2_b64 v[8:11], v1 offset1:1
	ds_read2_b64 v[0:3], v1 offset0:2 offset1:3
	ds_read_b64 v[36:37], v6 offset:9088
	ds_read_b64 v[38:39], v5
	ds_read_b64 v[40:41], v4 offset:9088
	ds_read_b128 v[12:15], v30 offset:256
	ds_read_b128 v[4:7], v30 offset:272
	ds_read_b64 v[30:31], v31 offset:9088
	ds_read_b64 v[42:43], v42
	ds_read_b64 v[44:45], v44 offset:9088
	s_waitcnt lgkmcnt(5)
	v_pk_mul_f32 v[46:47], v[40:41], v[32:33] op_sel:[0,1]
	s_waitcnt lgkmcnt(0)
	v_pk_fma_f32 v[48:49], v[40:41], v[32:33], v[46:47] op_sel:[0,0,1] op_sel_hi:[1,1,0] neg_lo:[0,0,1] neg_hi:[0,0,1]
	v_pk_fma_f32 v[32:33], v[40:41], v[32:33], v[46:47] op_sel:[0,0,1] op_sel_hi:[1,0,0]
	v_pk_mul_f32 v[40:41], v[36:37], v[38:39] op_sel:[0,1]
	v_mov_b32_e32 v49, v33
	v_pk_fma_f32 v[46:47], v[36:37], v[38:39], v[40:41] op_sel:[0,0,1] op_sel_hi:[1,1,0] neg_lo:[0,0,1] neg_hi:[0,0,1]
	v_pk_fma_f32 v[36:37], v[36:37], v[38:39], v[40:41] op_sel:[0,0,1] op_sel_hi:[1,0,0]
	v_pk_add_f32 v[32:33], v[48:49], 0 op_sel_hi:[1,0]
	v_mov_b32_e32 v47, v37
	v_pk_mul_f32 v[36:37], v[44:45], v[34:35] op_sel:[0,1]
	v_pk_add_f32 v[32:33], v[32:33], v[46:47]
	v_pk_fma_f32 v[38:39], v[44:45], v[34:35], v[36:37] op_sel:[0,0,1] op_sel_hi:[1,1,0] neg_lo:[0,0,1] neg_hi:[0,0,1]
	v_pk_fma_f32 v[34:35], v[44:45], v[34:35], v[36:37] op_sel:[0,0,1] op_sel_hi:[1,0,0]
	s_barrier
	v_mov_b32_e32 v39, v35
	v_pk_mul_f32 v[34:35], v[30:31], v[42:43] op_sel:[0,1]
	v_pk_add_f32 v[32:33], v[32:33], v[38:39]
	v_pk_fma_f32 v[36:37], v[30:31], v[42:43], v[34:35] op_sel:[0,0,1] op_sel_hi:[1,1,0] neg_lo:[0,0,1] neg_hi:[0,0,1]
	v_pk_fma_f32 v[30:31], v[30:31], v[42:43], v[34:35] op_sel:[0,0,1] op_sel_hi:[1,0,0]
	s_nop 0
	v_mov_b32_e32 v37, v31
	v_pk_add_f32 v[30:31], v[32:33], v[36:37]
	ds_write_b64 v29, v[30:31]
	s_waitcnt lgkmcnt(0)
	s_barrier
	s_and_saveexec_b64 s[8:9], s[6:7]
	s_cbranch_execz .LBB118_86
; %bb.85:
	v_lshlrev_b32_e32 v42, 3, v28
	ds_read2_b64 v[30:33], v42 offset1:1
	ds_read2_b64 v[34:37], v42 offset0:2 offset1:3
	ds_read2_b64 v[38:41], v42 offset0:4 offset1:5
	s_waitcnt lgkmcnt(2)
	v_pk_add_f32 v[18:19], v[18:19], v[30:31]
	s_nop 0
	v_pk_add_f32 v[18:19], v[18:19], v[32:33]
	ds_read2_b64 v[30:33], v42 offset0:6 offset1:7
	s_waitcnt lgkmcnt(2)
	v_pk_add_f32 v[18:19], v[18:19], v[34:35]
	s_nop 0
	v_pk_add_f32 v[18:19], v[18:19], v[36:37]
	s_waitcnt lgkmcnt(1)
	v_pk_add_f32 v[18:19], v[18:19], v[38:39]
	s_nop 0
	v_pk_add_f32 v[18:19], v[18:19], v[40:41]
	;; [unrolled: 4-line block ×3, first 2 shown]
.LBB118_86:
	s_or_b64 exec, exec, s[8:9]
	v_pk_mul_f32 v[30:31], v[12:13], v[8:9] op_sel:[0,1]
	s_nop 0
	v_pk_fma_f32 v[32:33], v[12:13], v[8:9], v[30:31] op_sel:[0,0,1] op_sel_hi:[1,1,0] neg_lo:[0,0,1] neg_hi:[0,0,1]
	v_pk_fma_f32 v[8:9], v[12:13], v[8:9], v[30:31] op_sel:[0,0,1] op_sel_hi:[1,0,0]
	v_mov_b32_e32 v12, v11
	v_pk_mul_f32 v[12:13], v[14:15], v[12:13] op_sel_hi:[1,0]
	v_mov_b32_e32 v33, v9
	v_pk_fma_f32 v[30:31], v[14:15], v[10:11], v[12:13] op_sel:[0,0,1] op_sel_hi:[1,1,0] neg_lo:[0,0,1] neg_hi:[0,0,1]
	v_pk_fma_f32 v[10:11], v[14:15], v[10:11], v[12:13] op_sel:[0,0,1] op_sel_hi:[1,0,0]
	v_pk_add_f32 v[8:9], v[32:33], 0 op_sel_hi:[1,0]
	v_mov_b32_e32 v31, v11
	v_pk_mul_f32 v[10:11], v[4:5], v[0:1] op_sel:[0,1]
	v_pk_add_f32 v[8:9], v[8:9], v[30:31]
	v_pk_fma_f32 v[12:13], v[4:5], v[0:1], v[10:11] op_sel:[0,0,1] op_sel_hi:[1,1,0] neg_lo:[0,0,1] neg_hi:[0,0,1]
	v_pk_fma_f32 v[0:1], v[4:5], v[0:1], v[10:11] op_sel:[0,0,1] op_sel_hi:[1,0,0]
	v_mov_b32_e32 v4, v3
	v_mov_b32_e32 v13, v1
	v_pk_mul_f32 v[4:5], v[6:7], v[4:5] op_sel_hi:[1,0]
	v_pk_add_f32 v[0:1], v[8:9], v[12:13]
	v_pk_fma_f32 v[8:9], v[6:7], v[2:3], v[4:5] op_sel:[0,0,1] op_sel_hi:[1,1,0] neg_lo:[0,0,1] neg_hi:[0,0,1]
	v_pk_fma_f32 v[2:3], v[6:7], v[2:3], v[4:5] op_sel:[0,0,1] op_sel_hi:[1,0,0]
	s_barrier
	v_mov_b32_e32 v9, v3
	v_pk_add_f32 v[0:1], v[0:1], v[8:9]
	ds_write_b64 v29, v[0:1]
	s_waitcnt lgkmcnt(0)
	s_barrier
	s_and_saveexec_b64 s[6:7], s[4:5]
	s_cbranch_execz .LBB118_88
; %bb.87:
	v_lshlrev_b32_e32 v14, 3, v28
	ds_read2_b64 v[0:3], v14 offset1:1
	ds_read2_b64 v[4:7], v14 offset0:2 offset1:3
	ds_read2_b64 v[8:11], v14 offset0:4 offset1:5
	s_waitcnt lgkmcnt(2)
	v_pk_add_f32 v[0:1], v[18:19], v[0:1]
	s_nop 0
	v_pk_add_f32 v[12:13], v[0:1], v[2:3]
	ds_read2_b64 v[0:3], v14 offset0:6 offset1:7
	s_waitcnt lgkmcnt(2)
	v_pk_add_f32 v[4:5], v[12:13], v[4:5]
	s_nop 0
	v_pk_add_f32 v[4:5], v[4:5], v[6:7]
	s_waitcnt lgkmcnt(1)
	v_pk_add_f32 v[4:5], v[4:5], v[8:9]
	s_nop 0
	v_pk_add_f32 v[4:5], v[4:5], v[10:11]
	;; [unrolled: 4-line block ×3, first 2 shown]
.LBB118_88:
	s_or_b64 exec, exec, s[6:7]
	s_mul_hi_u32 s4, s33, s3
	s_mul_i32 s41, s41, s3
	s_add_i32 s4, s4, s41
	s_mul_i32 s3, s33, s3
	s_mul_i32 s4, s4, s40
	s_mul_hi_u32 s5, s3, s40
	s_add_i32 s5, s5, s4
	s_mul_i32 s4, s3, s40
	s_lshl_b64 s[4:5], s[4:5], 3
	s_add_u32 s3, s34, s4
	s_mul_i32 s4, s2, s33
	s_addc_u32 s7, s35, s5
	s_ashr_i32 s5, s4, 31
	s_lshl_b64 s[4:5], s[4:5], 3
	s_add_u32 s6, s3, s4
	v_cmp_le_i32_e32 vcc, s28, v26
	s_addc_u32 s7, s7, s5
	s_and_b64 vcc, s[26:27], vcc
	s_cmp_lt_i32 s2, 1
	v_lshlrev_b32_e32 v4, 3, v26
	s_barrier
	s_cbranch_scc1 .LBB118_95
; %bb.89:
	s_mul_i32 s3, s30, s37
	s_mul_hi_u32 s4, s30, s36
	s_add_i32 s3, s4, s3
	s_mul_i32 s4, s31, s36
	s_add_i32 s5, s3, s4
	s_mul_i32 s4, s30, s36
	s_lshl_b64 s[4:5], s[4:5], 3
	v_mov_b32_e32 v0, s5
	v_subrev_co_u32_e64 v6, s[4:5], s4, v20
	v_lshlrev_b32_e32 v5, 2, v76
	s_nop 0
	v_subb_co_u32_e64 v7, s[4:5], v21, v0, s[4:5]
	v_mov_b32_e32 v0, s23
	v_subrev_co_u32_e64 v2, s[4:5], s22, v24
	s_ashr_i32 s29, s28, 31
	s_nop 0
	v_subb_co_u32_e64 v3, s[4:5], v25, v0, s[4:5]
	v_lshlrev_b64 v[0:1], 3, v[22:23]
	v_sub_co_u32_e64 v0, s[4:5], v2, v0
	v_and_b32_e32 v12, 15, v26
	s_nop 0
	v_subb_co_u32_e64 v1, s[4:5], v3, v1, s[4:5]
	v_mad_u64_u32 v[2:3], s[4:5], v5, s24, 0
	v_mov_b32_e32 v8, v3
	v_mad_u64_u32 v[8:9], s[4:5], v5, s25, v[8:9]
	v_mov_b32_e32 v3, v8
	v_lshl_add_u64 v[0:1], v[2:3], 3, v[0:1]
	s_movk_i32 s4, 0xfef8
	v_lshl_add_u64 v[2:3], s[28:29], 3, v[0:1]
	s_mov_b32 s5, -1
	v_mov_b32_e32 v9, 0
	v_lshl_add_u64 v[2:3], v[2:3], 0, s[4:5]
	v_mov_b32_e32 v5, v9
	s_movk_i32 s4, 0xff00
	v_lshl_add_u64 v[0:1], v[0:1], 0, v[4:5]
	s_mov_b32 s5, -1
	v_lshl_add_u64 v[0:1], v[0:1], 0, s[4:5]
	v_cndmask_b32_e32 v10, v0, v2, vcc
	v_and_b32_e32 v0, 48, v26
	v_cndmask_b32_e32 v11, v1, v3, vcc
	v_lshlrev_b32_e32 v1, 3, v0
	s_movk_i32 s3, 0x218
	v_lshrrev_b32_e32 v13, 4, v27
	v_mad_u32_u24 v78, v12, s3, v1
	v_or_b32_e32 v1, 0x78, v4
	v_mad_u32_u24 v79, v12, s3, v1
	v_lshlrev_b32_e32 v1, 5, v13
	v_mad_u32_u24 v80, v12, s3, v1
	v_mov_b32_e32 v1, 0x2180
	v_lshl_add_u32 v81, v76, 5, v1
	v_lshlrev_b32_e32 v1, 3, v13
	v_mad_u32_u24 v83, v12, s3, v1
	s_mul_i32 s3, s25, 24
	s_mul_hi_u32 s14, s24, 24
	s_add_i32 s15, s14, s3
	s_mul_i32 s3, s25, 0x90
	s_mul_hi_u32 s18, s24, 0x90
	s_add_i32 s19, s18, s3
	;; [unrolled: 3-line block ×9, first 2 shown]
	s_mul_i32 s3, s25, 0x108
	s_mul_hi_u32 s33, s24, 0x108
	s_movk_i32 s8, 0x860
	s_add_i32 s43, s33, s3
	s_mul_i32 s3, s25, 0x88
	s_mul_hi_u32 s33, s24, 0x88
	v_add_u32_e32 v5, 0x2180, v4
	v_add_u32_e32 v77, 0x2380, v4
	v_cmp_gt_u32_e64 s[4:5], 64, v27
	v_mad_u32_u24 v82, v76, s8, v4
	s_lshl_b64 s[8:9], s[24:25], 3
	s_lshl_b64 s[10:11], s[24:25], 9
	;; [unrolled: 1-line block ×3, first 2 shown]
	s_mul_i32 s14, s24, 24
	s_mul_i32 s18, s24, 0x90
	;; [unrolled: 1-line block ×10, first 2 shown]
	s_add_i32 s45, s33, s3
	s_mul_i32 s44, s24, 0x88
	s_lshl_b64 s[24:25], s[24:25], 7
	v_or_b32_e32 v84, v0, v12
	s_mov_b32 s3, 0
	s_branch .LBB118_91
.LBB118_90:                             ;   in Loop: Header=BB118_91 Depth=1
	s_or_b64 exec, exec, s[46:47]
	v_mul_f32_e32 v8, v25, v23
	v_fma_f32 v8, v24, v22, -v8
	v_add_f32_e32 v8, v18, v8
	v_mul_f32_e32 v18, v31, v21
	v_fma_f32 v18, v30, v20, -v18
	v_add_f32_e32 v8, v8, v18
	v_mul_f32_e32 v18, v29, v15
	v_fma_f32 v18, v28, v14, -v18
	v_mul_f32_e32 v22, v25, v22
	v_add_f32_e32 v8, v8, v18
	v_mul_f32_e32 v18, v27, v13
	v_mul_f32_e32 v20, v31, v20
	v_fma_f32 v18, v26, v12, -v18
	v_fmac_f32_e32 v22, v24, v23
	v_mul_f32_e32 v14, v29, v14
	v_add_f32_e32 v8, v8, v18
	v_add_f32_e32 v18, v19, v22
	v_fmac_f32_e32 v20, v30, v21
	v_mul_f32_e32 v12, v27, v12
	v_add_f32_e32 v18, v18, v20
	v_fmac_f32_e32 v14, v28, v15
	v_add_f32_e32 v14, v18, v14
	v_fmac_f32_e32 v12, v26, v13
	v_add_f32_e32 v13, v14, v12
	v_mul_f32_e32 v12, v41, v39
	v_fma_f32 v12, v40, v38, -v12
	v_add_f32_e32 v8, v8, v12
	v_mul_f32_e32 v12, v55, v37
	v_fma_f32 v12, v54, v36, -v12
	v_mul_f32_e32 v20, v41, v38
	v_add_f32_e32 v12, v8, v12
	v_mul_f32_e32 v8, v49, v33
	v_mul_f32_e32 v21, v55, v36
	v_fma_f32 v14, v48, v32, -v8
	v_mul_f32_e32 v8, v51, v35
	v_fmac_f32_e32 v20, v40, v39
	v_mul_f32_e32 v15, v49, v32
	v_fma_f32 v18, v50, v34, -v8
	v_add_f32_e32 v8, v13, v20
	v_fmac_f32_e32 v21, v54, v37
	v_mul_f32_e32 v19, v51, v34
	v_add_f32_e32 v13, v8, v21
	v_fmac_f32_e32 v15, v48, v33
	v_mov_b32_e32 v8, v53
	v_fmac_f32_e32 v19, v50, v35
	v_pk_add_f32 v[12:13], v[12:13], v[14:15]
	v_pk_mul_f32 v[14:15], v[56:57], v[8:9] op_sel_hi:[1,0]
	v_pk_add_f32 v[12:13], v[12:13], v[18:19]
	v_pk_fma_f32 v[18:19], v[56:57], v[52:53], v[14:15] op_sel:[0,0,1] op_sel_hi:[1,1,0] neg_lo:[0,0,1] neg_hi:[0,0,1]
	v_pk_fma_f32 v[14:15], v[56:57], v[52:53], v[14:15] op_sel:[0,0,1] op_sel_hi:[1,0,0]
	v_mov_b32_e32 v8, v47
	v_mov_b32_e32 v19, v15
	v_pk_mul_f32 v[14:15], v[0:1], v[8:9] op_sel_hi:[1,0]
	v_pk_add_f32 v[12:13], v[12:13], v[18:19]
	v_pk_fma_f32 v[18:19], v[0:1], v[46:47], v[14:15] op_sel:[0,0,1] op_sel_hi:[1,1,0] neg_lo:[0,0,1] neg_hi:[0,0,1]
	v_pk_fma_f32 v[0:1], v[0:1], v[46:47], v[14:15] op_sel:[0,0,1] op_sel_hi:[1,0,0]
	v_mov_b32_e32 v8, v45
	v_mov_b32_e32 v19, v1
	v_pk_add_f32 v[0:1], v[12:13], v[18:19]
	v_pk_mul_f32 v[12:13], v[2:3], v[8:9] op_sel_hi:[1,0]
	s_add_i32 s3, s3, 64
	v_pk_fma_f32 v[14:15], v[2:3], v[44:45], v[12:13] op_sel:[0,0,1] op_sel_hi:[1,1,0] neg_lo:[0,0,1] neg_hi:[0,0,1]
	v_pk_fma_f32 v[2:3], v[2:3], v[44:45], v[12:13] op_sel:[0,0,1] op_sel_hi:[1,0,0]
	s_add_i32 s2, s2, -1
	v_mov_b32_e32 v2, v43
	v_mov_b32_e32 v15, v3
	v_pk_mul_f32 v[2:3], v[60:61], v[2:3] op_sel_hi:[1,0]
	v_pk_add_f32 v[0:1], v[0:1], v[14:15]
	v_pk_fma_f32 v[12:13], v[60:61], v[42:43], v[2:3] op_sel:[0,0,1] op_sel_hi:[1,1,0] neg_lo:[0,0,1] neg_hi:[0,0,1]
	v_pk_fma_f32 v[2:3], v[60:61], v[42:43], v[2:3] op_sel:[0,0,1] op_sel_hi:[1,0,0]
	s_cmp_eq_u32 s2, 0
	v_mov_b32_e32 v2, v67
	v_mov_b32_e32 v13, v3
	v_pk_mul_f32 v[2:3], v[68:69], v[2:3] op_sel_hi:[1,0]
	v_pk_add_f32 v[0:1], v[0:1], v[12:13]
	v_pk_fma_f32 v[12:13], v[68:69], v[66:67], v[2:3] op_sel:[0,0,1] op_sel_hi:[1,1,0] neg_lo:[0,0,1] neg_hi:[0,0,1]
	v_pk_fma_f32 v[2:3], v[68:69], v[66:67], v[2:3] op_sel:[0,0,1] op_sel_hi:[1,0,0]
	v_lshl_add_u64 v[10:11], v[10:11], 0, s[10:11]
	v_mov_b32_e32 v2, v65
	v_mov_b32_e32 v13, v3
	v_pk_mul_f32 v[2:3], v[74:75], v[2:3] op_sel_hi:[1,0]
	v_pk_add_f32 v[0:1], v[0:1], v[12:13]
	v_pk_fma_f32 v[14:15], v[74:75], v[64:65], v[2:3] op_sel:[0,0,1] op_sel_hi:[1,1,0] neg_lo:[0,0,1] neg_hi:[0,0,1]
	v_pk_fma_f32 v[2:3], v[74:75], v[64:65], v[2:3] op_sel:[0,0,1] op_sel_hi:[1,0,0]
	s_nop 0
	v_mov_b32_e32 v2, v63
	v_mov_b32_e32 v15, v3
	v_pk_mul_f32 v[2:3], v[72:73], v[2:3] op_sel_hi:[1,0]
	v_pk_add_f32 v[0:1], v[0:1], v[14:15]
	v_pk_fma_f32 v[18:19], v[72:73], v[62:63], v[2:3] op_sel:[0,0,1] op_sel_hi:[1,1,0] neg_lo:[0,0,1] neg_hi:[0,0,1]
	v_pk_fma_f32 v[2:3], v[72:73], v[62:63], v[2:3] op_sel:[0,0,1] op_sel_hi:[1,0,0]
	s_barrier
	v_mov_b32_e32 v2, v59
	v_mov_b32_e32 v19, v3
	v_pk_mul_f32 v[2:3], v[70:71], v[2:3] op_sel_hi:[1,0]
	v_pk_add_f32 v[0:1], v[0:1], v[18:19]
	v_pk_fma_f32 v[20:21], v[70:71], v[58:59], v[2:3] op_sel:[0,0,1] op_sel_hi:[1,1,0] neg_lo:[0,0,1] neg_hi:[0,0,1]
	v_pk_fma_f32 v[2:3], v[70:71], v[58:59], v[2:3] op_sel:[0,0,1] op_sel_hi:[1,0,0]
	s_nop 0
	v_mov_b32_e32 v21, v3
	v_pk_add_f32 v[18:19], v[0:1], v[20:21]
	s_cbranch_scc1 .LBB118_95
.LBB118_91:                             ; =>This Inner Loop Header: Depth=1
	s_and_saveexec_b64 s[46:47], s[16:17]
	s_cbranch_execz .LBB118_93
; %bb.92:                               ;   in Loop: Header=BB118_91 Depth=1
	s_mul_i32 s33, s3, s37
	s_mul_hi_u32 s48, s3, s36
	s_add_i32 s49, s48, s33
	s_mul_i32 s48, s3, s36
	v_lshl_add_u64 v[0:1], s[48:49], 3, v[6:7]
	global_load_dwordx2 v[0:1], v[0:1], off
	s_waitcnt vmcnt(0)
	ds_write_b64 v5, v[0:1]
.LBB118_93:                             ;   in Loop: Header=BB118_91 Depth=1
	s_or_b64 exec, exec, s[46:47]
	v_lshl_add_u64 v[0:1], v[10:11], 0, s[8:9]
	s_waitcnt lgkmcnt(0)
	s_barrier
	global_load_dwordx2 v[22:23], v[10:11], off
	global_load_dwordx2 v[20:21], v[0:1], off
	v_lshl_add_u64 v[0:1], v[10:11], 0, s[12:13]
	global_load_dwordx2 v[14:15], v[0:1], off
	v_lshl_add_u64 v[0:1], v[10:11], 0, s[14:15]
	global_load_dwordx2 v[12:13], v[0:1], off
	ds_read_b64 v[0:1], v77
	ds_read_b64 v[24:25], v81
	v_lshl_add_u64 v[2:3], v[10:11], 0, s[24:25]
	v_lshl_add_u64 v[58:59], v[10:11], 0, s[40:41]
	s_waitcnt vmcnt(3) lgkmcnt(1)
	v_mul_f32_e32 v8, v1, v23
	v_mul_f32_e32 v27, v1, v22
	v_fma_f32 v26, v0, v22, -v8
	v_fmac_f32_e32 v27, v0, v23
	s_waitcnt vmcnt(2)
	v_mul_f32_e32 v8, v1, v21
	v_mul_f32_e32 v29, v1, v20
	s_waitcnt vmcnt(1)
	v_mul_f32_e32 v30, v1, v15
	v_mul_f32_e32 v33, v1, v14
	s_waitcnt vmcnt(0)
	v_mul_f32_e32 v31, v1, v13
	ds_write_b64 v82, v[26:27]
	v_fma_f32 v28, v0, v20, -v8
	v_fmac_f32_e32 v29, v0, v21
	v_mul_f32_e32 v35, v0, v13
	v_fma_f32 v32, v0, v14, -v30
	v_fmac_f32_e32 v33, v0, v15
	v_fma_f32 v34, v0, v12, -v31
	ds_read_b64 v[30:31], v81 offset:8
	ds_write_b64 v82, v[28:29] offset:536
	v_fmac_f32_e32 v35, v1, v12
	ds_read_b64 v[28:29], v81 offset:16
	ds_write_b64 v82, v[32:33] offset:1072
	ds_read_b64 v[26:27], v81 offset:24
	ds_write_b64 v82, v[34:35] offset:1608
	s_waitcnt lgkmcnt(0)
	s_barrier
	ds_read2_b64 v[68:71], v80 offset1:1
	ds_read2_b64 v[72:75], v80 offset0:2 offset1:3
	s_waitcnt lgkmcnt(0)
	s_barrier
	global_load_dwordx2 v[38:39], v[2:3], off
	v_lshl_add_u64 v[0:1], v[10:11], 0, s[44:45]
	global_load_dwordx2 v[36:37], v[0:1], off
	v_lshl_add_u64 v[0:1], v[10:11], 0, s[18:19]
	;; [unrolled: 2-line block ×3, first 2 shown]
	global_load_dwordx2 v[34:35], v[0:1], off
	ds_read_b64 v[0:1], v77
	ds_read_b64 v[40:41], v81 offset:128
	v_lshl_add_u64 v[2:3], v[10:11], 0, s[20:21]
	v_pk_add_f32 v[68:69], v[68:69], 0 op_sel_hi:[1,0]
	s_waitcnt vmcnt(3) lgkmcnt(1)
	v_mul_f32_e32 v8, v1, v39
	v_mul_f32_e32 v43, v1, v38
	s_waitcnt vmcnt(2)
	v_mul_f32_e32 v44, v1, v37
	v_mul_f32_e32 v45, v1, v36
	v_fma_f32 v42, v0, v38, -v8
	v_fmac_f32_e32 v43, v0, v39
	s_waitcnt vmcnt(1)
	v_mul_f32_e32 v46, v1, v33
	v_mul_f32_e32 v47, v1, v32
	v_fma_f32 v44, v0, v36, -v44
	v_fmac_f32_e32 v45, v0, v37
	ds_write_b64 v82, v[42:43]
	s_waitcnt vmcnt(0)
	v_mul_f32_e32 v48, v1, v35
	v_mul_f32_e32 v53, v0, v35
	v_fma_f32 v46, v0, v32, -v46
	v_fmac_f32_e32 v47, v0, v33
	ds_read_b64 v[54:55], v81 offset:136
	ds_write_b64 v82, v[44:45] offset:536
	v_fma_f32 v52, v0, v34, -v48
	v_fmac_f32_e32 v53, v1, v34
	ds_read_b64 v[48:49], v81 offset:144
	ds_write_b64 v82, v[46:47] offset:1072
	v_lshl_add_u64 v[0:1], v[10:11], 0, s[42:43]
	ds_read_b64 v[50:51], v81 offset:152
	ds_write_b64 v82, v[52:53] offset:1608
	s_waitcnt lgkmcnt(0)
	s_barrier
	ds_read2_b64 v[86:89], v80 offset1:1
	ds_read2_b64 v[90:93], v80 offset0:2 offset1:3
	s_waitcnt lgkmcnt(0)
	s_barrier
	global_load_dwordx2 v[52:53], v[2:3], off
	global_load_dwordx2 v[46:47], v[0:1], off
	v_lshl_add_u64 v[0:1], v[10:11], 0, s[26:27]
	global_load_dwordx2 v[44:45], v[0:1], off
	v_lshl_add_u64 v[0:1], v[10:11], 0, s[28:29]
	global_load_dwordx2 v[42:43], v[0:1], off
	ds_read_b64 v[0:1], v77
	ds_read_b64 v[56:57], v81 offset:256
	v_pk_add_f32 v[68:69], v[68:69], v[70:71]
	s_waitcnt vmcnt(3) lgkmcnt(1)
	v_mul_f32_e32 v2, v1, v53
	v_mul_f32_e32 v3, v1, v52
	s_waitcnt vmcnt(2)
	v_mul_f32_e32 v8, v1, v47
	v_mul_f32_e32 v61, v1, v46
	s_waitcnt vmcnt(1)
	;; [unrolled: 3-line block ×3, first 2 shown]
	v_mul_f32_e32 v64, v1, v43
	v_mul_f32_e32 v65, v0, v43
	v_fma_f32 v2, v0, v52, -v2
	v_fmac_f32_e32 v3, v0, v53
	v_fma_f32 v60, v0, v46, -v8
	v_fmac_f32_e32 v61, v0, v47
	;; [unrolled: 2-line block ×4, first 2 shown]
	ds_write2_b64 v82, v[2:3], v[60:61] offset1:67
	ds_write2_b64 v82, v[62:63], v[64:65] offset0:134 offset1:201
	ds_read2_b64 v[0:3], v81 offset0:33 offset1:34
	ds_read_b64 v[60:61], v81 offset:280
	s_waitcnt lgkmcnt(0)
	s_barrier
	ds_read2_b64 v[94:97], v80 offset1:1
	ds_read2_b64 v[98:101], v80 offset0:2 offset1:3
	s_waitcnt lgkmcnt(0)
	s_barrier
	global_load_dwordx2 v[66:67], v[58:59], off
	v_lshl_add_u64 v[58:59], v[10:11], 0, s[38:39]
	global_load_dwordx2 v[64:65], v[58:59], off
	v_lshl_add_u64 v[58:59], v[10:11], 0, s[30:31]
	;; [unrolled: 2-line block ×3, first 2 shown]
	global_load_dwordx2 v[58:59], v[58:59], off
	v_pk_add_f32 v[68:69], v[68:69], v[72:73]
	v_pk_add_f32 v[72:73], v[94:95], 0 op_sel_hi:[1,0]
	v_pk_add_f32 v[102:103], v[68:69], v[74:75]
	v_pk_add_f32 v[68:69], v[86:87], 0 op_sel_hi:[1,0]
	v_pk_add_f32 v[72:73], v[72:73], v[96:97]
	v_pk_add_f32 v[68:69], v[68:69], v[88:89]
	;; [unrolled: 1-line block ×6, first 2 shown]
	ds_read_b64 v[70:71], v77
	ds_read_b64 v[68:69], v81 offset:384
	s_waitcnt vmcnt(3) lgkmcnt(1)
	v_mul_f32_e32 v8, v71, v67
	v_mul_f32_e32 v73, v71, v66
	s_waitcnt vmcnt(2)
	v_mul_f32_e32 v74, v71, v65
	v_mul_f32_e32 v87, v71, v64
	v_fma_f32 v72, v70, v66, -v8
	v_fmac_f32_e32 v73, v70, v67
	s_waitcnt vmcnt(1)
	v_mul_f32_e32 v75, v71, v63
	v_mul_f32_e32 v89, v71, v62
	v_fma_f32 v86, v70, v64, -v74
	v_fmac_f32_e32 v87, v70, v65
	ds_write_b64 v82, v[72:73]
	s_waitcnt vmcnt(0)
	v_mul_f32_e32 v85, v71, v59
	v_mul_f32_e32 v91, v70, v59
	v_fma_f32 v88, v70, v62, -v75
	v_fmac_f32_e32 v89, v70, v63
	ds_read_b64 v[74:75], v81 offset:392
	ds_write_b64 v82, v[86:87] offset:536
	v_fma_f32 v90, v70, v58, -v85
	v_fmac_f32_e32 v91, v71, v58
	ds_read_b64 v[72:73], v81 offset:400
	ds_write_b64 v82, v[88:89] offset:1072
	ds_read_b64 v[70:71], v81 offset:408
	ds_write_b64 v82, v[90:91] offset:1608
	s_waitcnt lgkmcnt(0)
	s_barrier
	ds_read2_b64 v[86:89], v80 offset1:1
	ds_read2_b64 v[90:93], v80 offset0:2 offset1:3
	s_waitcnt lgkmcnt(0)
	s_barrier
	v_pk_add_f32 v[86:87], v[86:87], 0 op_sel_hi:[1,0]
	ds_write2_b64 v83, v[102:103], v[104:105] offset1:16
	v_pk_add_f32 v[86:87], v[86:87], v[88:89]
	s_nop 0
	v_pk_add_f32 v[86:87], v[86:87], v[90:91]
	s_nop 0
	v_pk_add_f32 v[86:87], v[86:87], v[92:93]
	ds_write2_b64 v83, v[94:95], v[86:87] offset0:32 offset1:48
	s_waitcnt lgkmcnt(0)
	s_barrier
	s_and_saveexec_b64 s[46:47], s[4:5]
	s_cbranch_execz .LBB118_90
; %bb.94:                               ;   in Loop: Header=BB118_91 Depth=1
	ds_read_b64 v[94:95], v78
	ds_read2_b64 v[86:89], v78 offset0:1 offset1:2
	ds_read2_b64 v[90:93], v78 offset0:3 offset1:4
	s_waitcnt lgkmcnt(1)
	v_add_f32_e32 v8, v86, v94
	v_add_f32_e32 v85, v87, v95
	v_add_f32_e32 v8, v8, v88
	v_add_f32_e32 v85, v85, v89
	ds_read2_b64 v[86:89], v78 offset0:5 offset1:6
	s_waitcnt lgkmcnt(1)
	v_add_f32_e32 v8, v8, v90
	v_add_f32_e32 v85, v85, v91
	;; [unrolled: 1-line block ×4, first 2 shown]
	ds_read2_b64 v[90:93], v78 offset0:7 offset1:8
	s_waitcnt lgkmcnt(1)
	v_pk_add_f32 v[86:87], v[94:95], v[86:87]
	ds_read2_b64 v[94:97], v78 offset0:9 offset1:10
	v_pk_add_f32 v[86:87], v[86:87], v[88:89]
	v_add_u32_e32 v8, s3, v84
	s_waitcnt lgkmcnt(1)
	v_pk_add_f32 v[86:87], v[86:87], v[90:91]
	v_lshl_add_u64 v[98:99], v[8:9], 3, s[6:7]
	v_pk_add_f32 v[90:91], v[86:87], v[92:93]
	ds_read2_b64 v[86:89], v78 offset0:11 offset1:12
	s_waitcnt lgkmcnt(1)
	v_pk_add_f32 v[94:95], v[90:91], v[94:95]
	ds_read2_b64 v[90:93], v78 offset0:13 offset1:14
	v_pk_add_f32 v[94:95], v[94:95], v[96:97]
	ds_read_b64 v[96:97], v79
	s_waitcnt lgkmcnt(2)
	v_pk_add_f32 v[86:87], v[94:95], v[86:87]
	s_nop 0
	v_pk_add_f32 v[86:87], v[86:87], v[88:89]
	s_waitcnt lgkmcnt(1)
	v_pk_add_f32 v[86:87], v[86:87], v[90:91]
	s_nop 0
	v_pk_add_f32 v[86:87], v[86:87], v[92:93]
	s_waitcnt lgkmcnt(0)
	v_pk_add_f32 v[86:87], v[86:87], v[96:97]
	global_store_dwordx2 v[98:99], v[86:87], off
	s_branch .LBB118_90
.LBB118_95:
	s_movk_i32 s2, 0x218
	s_or_b64 s[0:1], s[0:1], vcc
	v_mad_u32_u24 v0, v76, s2, v4
	s_xor_b64 s[0:1], s[0:1], -1
	ds_write_b64 v0, v[18:19]
	s_waitcnt lgkmcnt(0)
	s_barrier
	s_and_saveexec_b64 s[2:3], s[0:1]
	s_cbranch_execz .LBB118_97
; %bb.96:
	ds_read2_b64 v[0:3], v4 offset1:67
	ds_read2_b64 v[4:7], v4 offset0:134 offset1:201
	v_lshl_add_u64 v[8:9], v[16:17], 3, s[6:7]
	s_waitcnt lgkmcnt(1)
	v_pk_add_f32 v[0:1], v[2:3], v[0:1]
	s_waitcnt lgkmcnt(0)
	v_pk_add_f32 v[0:1], v[0:1], v[4:5]
	s_nop 0
	v_pk_add_f32 v[0:1], v[0:1], v[6:7]
	global_store_dwordx2 v[8:9], v[0:1], off
.LBB118_97:
	s_endpgm
	.section	.rodata,"a",@progbits
	.p2align	6, 0x0
	.amdhsa_kernel _ZL26rocblas_hemvn_kernel_lowerILb0ELi64ELi4ELi33ELi32ELi16ElPK19rocblas_complex_numIfES3_PS1_EviT6_lT7_lT5_lS6_lS7_lS5_lT8_i
		.amdhsa_group_segment_fixed_size 9600
		.amdhsa_private_segment_fixed_size 0
		.amdhsa_kernarg_size 376
		.amdhsa_user_sgpr_count 2
		.amdhsa_user_sgpr_dispatch_ptr 0
		.amdhsa_user_sgpr_queue_ptr 0
		.amdhsa_user_sgpr_kernarg_segment_ptr 1
		.amdhsa_user_sgpr_dispatch_id 0
		.amdhsa_user_sgpr_kernarg_preload_length 0
		.amdhsa_user_sgpr_kernarg_preload_offset 0
		.amdhsa_user_sgpr_private_segment_size 0
		.amdhsa_uses_dynamic_stack 0
		.amdhsa_enable_private_segment 0
		.amdhsa_system_sgpr_workgroup_id_x 1
		.amdhsa_system_sgpr_workgroup_id_y 0
		.amdhsa_system_sgpr_workgroup_id_z 1
		.amdhsa_system_sgpr_workgroup_info 0
		.amdhsa_system_vgpr_workitem_id 1
		.amdhsa_next_free_vgpr 106
		.amdhsa_next_free_sgpr 50
		.amdhsa_accum_offset 108
		.amdhsa_reserve_vcc 1
		.amdhsa_float_round_mode_32 0
		.amdhsa_float_round_mode_16_64 0
		.amdhsa_float_denorm_mode_32 3
		.amdhsa_float_denorm_mode_16_64 3
		.amdhsa_dx10_clamp 1
		.amdhsa_ieee_mode 1
		.amdhsa_fp16_overflow 0
		.amdhsa_tg_split 0
		.amdhsa_exception_fp_ieee_invalid_op 0
		.amdhsa_exception_fp_denorm_src 0
		.amdhsa_exception_fp_ieee_div_zero 0
		.amdhsa_exception_fp_ieee_overflow 0
		.amdhsa_exception_fp_ieee_underflow 0
		.amdhsa_exception_fp_ieee_inexact 0
		.amdhsa_exception_int_div_zero 0
	.end_amdhsa_kernel
	.section	.text._ZL26rocblas_hemvn_kernel_lowerILb0ELi64ELi4ELi33ELi32ELi16ElPK19rocblas_complex_numIfES3_PS1_EviT6_lT7_lT5_lS6_lS7_lS5_lT8_i,"axG",@progbits,_ZL26rocblas_hemvn_kernel_lowerILb0ELi64ELi4ELi33ELi32ELi16ElPK19rocblas_complex_numIfES3_PS1_EviT6_lT7_lT5_lS6_lS7_lS5_lT8_i,comdat
.Lfunc_end118:
	.size	_ZL26rocblas_hemvn_kernel_lowerILb0ELi64ELi4ELi33ELi32ELi16ElPK19rocblas_complex_numIfES3_PS1_EviT6_lT7_lT5_lS6_lS7_lS5_lT8_i, .Lfunc_end118-_ZL26rocblas_hemvn_kernel_lowerILb0ELi64ELi4ELi33ELi32ELi16ElPK19rocblas_complex_numIfES3_PS1_EviT6_lT7_lT5_lS6_lS7_lS5_lT8_i
                                        ; -- End function
	.section	.AMDGPU.csdata,"",@progbits
; Kernel info:
; codeLenInByte = 7608
; NumSgprs: 56
; NumVgprs: 106
; NumAgprs: 0
; TotalNumVgprs: 106
; ScratchSize: 0
; MemoryBound: 1
; FloatMode: 240
; IeeeMode: 1
; LDSByteSize: 9600 bytes/workgroup (compile time only)
; SGPRBlocks: 6
; VGPRBlocks: 13
; NumSGPRsForWavesPerEU: 56
; NumVGPRsForWavesPerEU: 106
; AccumOffset: 108
; Occupancy: 4
; WaveLimiterHint : 0
; COMPUTE_PGM_RSRC2:SCRATCH_EN: 0
; COMPUTE_PGM_RSRC2:USER_SGPR: 2
; COMPUTE_PGM_RSRC2:TRAP_HANDLER: 0
; COMPUTE_PGM_RSRC2:TGID_X_EN: 1
; COMPUTE_PGM_RSRC2:TGID_Y_EN: 0
; COMPUTE_PGM_RSRC2:TGID_Z_EN: 1
; COMPUTE_PGM_RSRC2:TIDIG_COMP_CNT: 1
; COMPUTE_PGM_RSRC3_GFX90A:ACCUM_OFFSET: 26
; COMPUTE_PGM_RSRC3_GFX90A:TG_SPLIT: 0
	.section	.text._ZL26rocblas_hemvn_kernel_lowerILb0ELi64ELi4ELi33ELi32ELi16EiPK19rocblas_complex_numIfES3_PS1_EviT6_lT7_lT5_lS6_lS7_lS5_lT8_i,"axG",@progbits,_ZL26rocblas_hemvn_kernel_lowerILb0ELi64ELi4ELi33ELi32ELi16EiPK19rocblas_complex_numIfES3_PS1_EviT6_lT7_lT5_lS6_lS7_lS5_lT8_i,comdat
	.globl	_ZL26rocblas_hemvn_kernel_lowerILb0ELi64ELi4ELi33ELi32ELi16EiPK19rocblas_complex_numIfES3_PS1_EviT6_lT7_lT5_lS6_lS7_lS5_lT8_i ; -- Begin function _ZL26rocblas_hemvn_kernel_lowerILb0ELi64ELi4ELi33ELi32ELi16EiPK19rocblas_complex_numIfES3_PS1_EviT6_lT7_lT5_lS6_lS7_lS5_lT8_i
	.p2align	8
	.type	_ZL26rocblas_hemvn_kernel_lowerILb0ELi64ELi4ELi33ELi32ELi16EiPK19rocblas_complex_numIfES3_PS1_EviT6_lT7_lT5_lS6_lS7_lS5_lT8_i,@function
_ZL26rocblas_hemvn_kernel_lowerILb0ELi64ELi4ELi33ELi32ELi16EiPK19rocblas_complex_numIfES3_PS1_EviT6_lT7_lT5_lS6_lS7_lS5_lT8_i: ; @_ZL26rocblas_hemvn_kernel_lowerILb0ELi64ELi4ELi33ELi32ELi16EiPK19rocblas_complex_numIfES3_PS1_EviT6_lT7_lT5_lS6_lS7_lS5_lT8_i
; %bb.0:
	s_load_dwordx2 s[4:5], s[0:1], 0x84
	s_add_u32 s12, s0, 0x78
	s_addc_u32 s13, s1, 0
	s_waitcnt lgkmcnt(0)
	s_lshr_b32 s6, s4, 16
	s_and_b32 s4, s4, 0xffff
	s_and_b32 s5, s5, 0xffff
	s_mul_i32 s4, s6, s4
	s_mul_i32 s4, s4, s5
	s_cmpk_lg_i32 s4, 0x100
	s_cbranch_scc1 .LBB119_97
; %bb.1:
	s_load_dwordx8 s[4:11], s[0:1], 0x8
	s_waitcnt lgkmcnt(0)
	s_mul_i32 s7, s3, s7
	s_mul_hi_u32 s14, s3, s6
	s_mul_i32 s6, s3, s6
	s_add_i32 s7, s14, s7
	s_lshl_b64 s[6:7], s[6:7], 3
	s_add_u32 s4, s4, s6
	s_addc_u32 s5, s5, s7
	s_load_dwordx2 s[6:7], s[4:5], 0x0
	s_load_dwordx8 s[16:23], s[0:1], 0x50
	s_waitcnt lgkmcnt(0)
	s_or_b32 s4, s6, s7
	s_bitset0_b32 s4, 31
	s_cmp_lg_u32 s4, 0
	s_cselect_b64 s[4:5], -1, 0
	s_mov_b64 s[6:7], -1
	s_and_b64 vcc, exec, s[4:5]
	s_cbranch_vccnz .LBB119_3
; %bb.2:
	s_mul_i32 s6, s3, s21
	s_mul_hi_u32 s7, s3, s20
	s_add_i32 s7, s7, s6
	s_mul_i32 s6, s3, s20
	s_lshl_b64 s[6:7], s[6:7], 3
	s_add_u32 s6, s18, s6
	s_addc_u32 s7, s19, s7
	s_load_dwordx2 s[6:7], s[6:7], 0x0
	s_waitcnt lgkmcnt(0)
	v_cmp_neq_f32_e64 s[14:15], s6, 1.0
	v_cmp_neq_f32_e64 s[6:7], s7, 0
	s_or_b64 s[6:7], s[14:15], s[6:7]
.LBB119_3:
	s_andn2_b64 vcc, exec, s[6:7]
	s_cbranch_vccnz .LBB119_97
; %bb.4:
	s_andn2_b64 vcc, exec, s[4:5]
	s_cbranch_vccnz .LBB119_97
; %bb.5:
	s_load_dword s39, s[12:13], 0x0
	s_load_dword s38, s[0:1], 0x0
	s_load_dwordx4 s[4:7], s[0:1], 0x30
	s_load_dwordx2 s[14:15], s[0:1], 0x40
	s_load_dword s33, s[0:1], 0x48
	s_mul_i32 s12, s3, s17
	s_mul_hi_u32 s13, s3, s16
	s_add_i32 s13, s13, s12
	s_mul_i32 s12, s3, s16
	s_lshl_b64 s[12:13], s[12:13], 3
	s_waitcnt lgkmcnt(0)
	s_add_u32 s12, s6, s12
	s_addc_u32 s13, s7, s13
	s_lshl_b64 s[6:7], s[14:15], 3
	s_add_u32 s6, s12, s6
	s_addc_u32 s7, s13, s7
	s_ashr_i32 s40, s38, 31
	s_lshr_b32 s13, s40, 26
	v_and_b32_e32 v26, 0x3ff, v0
	s_lshl_b32 s26, s2, 6
	s_add_i32 s13, s38, s13
	s_andn2_b32 s13, s13, 63
	v_add_u32_e32 v16, s26, v26
	v_bfe_u32 v17, v0, 10, 10
	s_add_i32 s12, s39, -1
	s_sub_i32 s13, s38, s13
	v_mul_lo_u32 v0, v16, s33
	s_cmp_eq_u32 s2, s12
	v_ashrrev_i32_e32 v1, 31, v0
	s_cselect_b32 s24, s13, 0
	v_lshl_add_u64 v[20:21], v[0:1], 3, s[6:7]
	v_cmp_ne_u32_e64 s[16:17], 0, v17
	v_cmp_eq_u32_e64 s[18:19], 0, v17
	s_and_saveexec_b64 s[6:7], s[18:19]
	s_cbranch_execz .LBB119_10
; %bb.6:
	s_cmp_lg_u32 s24, 0
	s_cselect_b64 s[12:13], -1, 0
	v_cmp_le_i32_e32 vcc, s24, v26
	v_mov_b32_e32 v0, 0x2380
	s_and_b64 s[12:13], s[12:13], vcc
	v_lshl_add_u32 v0, v26, 3, v0
	s_and_saveexec_b64 s[14:15], s[12:13]
	s_xor_b64 s[12:13], exec, s[14:15]
	s_cbranch_execz .LBB119_8
; %bb.7:
	v_mov_b32_e32 v2, 0
	v_mov_b32_e32 v3, v2
	ds_write_b64 v0, v[2:3]
                                        ; implicit-def: $vgpr0
.LBB119_8:
	s_andn2_saveexec_b64 s[12:13], s[12:13]
	s_cbranch_execz .LBB119_10
; %bb.9:
	global_load_dwordx2 v[2:3], v[20:21], off
	s_waitcnt vmcnt(0)
	ds_write_b64 v0, v[2:3]
.LBB119_10:
	s_or_b64 exec, exec, s[6:7]
	s_mul_i32 s5, s3, s5
	s_mul_hi_u32 s6, s3, s4
	s_add_i32 s5, s6, s5
	s_mul_i32 s4, s3, s4
	s_lshl_b64 s[4:5], s[4:5], 3
	s_add_u32 s6, s8, s4
	s_addc_u32 s7, s9, s5
	s_lshl_b64 s[4:5], s[10:11], 3
	s_load_dword s20, s[0:1], 0x28
	s_add_u32 s4, s6, s4
	s_addc_u32 s5, s7, s5
	s_ashr_i32 s27, s26, 31
	v_lshl_add_u32 v27, v17, 6, v26
	s_lshl_b64 s[0:1], s[26:27], 3
	v_and_b32_e32 v0, 31, v26
	v_lshrrev_b32_e32 v1, 5, v27
	s_add_u32 s4, s4, s0
	s_addc_u32 s5, s5, s1
	s_waitcnt lgkmcnt(0)
	v_mad_u64_u32 v[22:23], s[0:1], v1, s20, v[0:1]
	s_mul_i32 s0, s26, s20
	s_ashr_i32 s1, s0, 31
	s_lshl_b64 s[28:29], s[0:1], 3
	s_add_u32 s0, s28, s4
	s_addc_u32 s1, s29, s5
	s_cmp_lg_u32 s24, 0
	v_ashrrev_i32_e32 v23, 31, v22
	s_cselect_b64 s[30:31], -1, 0
	s_cmp_eq_u32 s24, 0
	v_lshl_add_u64 v[2:3], v[22:23], 3, s[0:1]
	s_cselect_b64 s[34:35], -1, 0
	s_and_b64 vcc, exec, s[30:31]
	s_cbranch_vccnz .LBB119_12
; %bb.11:
	s_lshl_b32 s0, s20, 3
	s_ashr_i32 s1, s0, 31
	s_ashr_i32 s21, s20, 31
	global_load_dwordx2 v[4:5], v[2:3], off
	v_lshl_add_u64 v[6:7], s[0:1], 3, v[2:3]
	global_load_dwordx2 v[8:9], v[6:7], off
	s_lshl_b64 s[0:1], s[20:21], 6
	v_lshl_add_u64 v[6:7], v[6:7], 0, s[0:1]
	global_load_dwordx2 v[10:11], v[6:7], off
	v_lshl_add_u64 v[6:7], v[6:7], 0, s[0:1]
	global_load_dwordx2 v[6:7], v[6:7], off
	v_mul_u32_u24_e32 v12, 33, v1
	v_add_lshl_u32 v12, v12, v0, 3
	s_waitcnt vmcnt(3)
	ds_write_b64 v12, v[4:5]
	s_waitcnt vmcnt(2)
	ds_write_b64 v12, v[8:9] offset:2112
	s_waitcnt vmcnt(1)
	ds_write_b64 v12, v[10:11] offset:4224
	s_waitcnt vmcnt(0)
	ds_write_b64 v12, v[6:7] offset:6336
	s_cbranch_execz .LBB119_13
	s_branch .LBB119_28
.LBB119_12:
.LBB119_13:
	v_lshlrev_b32_e32 v4, 3, v0
	v_sub_co_u32_e32 v6, vcc, v2, v4
	s_ashr_i32 s25, s24, 31
	s_nop 0
	v_subbrev_co_u32_e32 v7, vcc, 0, v3, vcc
	v_lshl_add_u64 v[6:7], s[24:25], 3, v[6:7]
	v_lshl_add_u64 v[6:7], v[6:7], 0, -8
	v_cmp_gt_i32_e32 vcc, s24, v0
	v_mov_b32_e32 v8, 0
	v_cmp_gt_i32_e64 s[0:1], s24, v1
	v_cndmask_b32_e32 v7, v7, v3, vcc
	v_cndmask_b32_e32 v6, v6, v2, vcc
	v_mov_b32_e32 v9, v8
	s_and_saveexec_b64 s[4:5], s[0:1]
	s_cbranch_execz .LBB119_15
; %bb.14:
	global_load_dwordx2 v[8:9], v[6:7], off
.LBB119_15:
	s_or_b64 exec, exec, s[4:5]
	v_mul_u32_u24_e32 v5, 33, v1
	v_add_lshl_u32 v5, v5, v0, 3
	s_waitcnt vmcnt(0)
	ds_write_b64 v5, v[8:9]
	v_add_u32_e32 v8, 8, v1
	v_cmp_le_i32_e64 s[0:1], s24, v8
	s_and_saveexec_b64 s[4:5], s[0:1]
	s_xor_b64 s[0:1], exec, s[4:5]
	s_cbranch_execz .LBB119_17
; %bb.16:
	v_mul_u32_u24_e32 v8, 33, v8
	v_add_lshl_u32 v10, v8, v0, 3
	v_mov_b32_e32 v8, 0
	v_mov_b32_e32 v9, v8
	ds_write_b64 v10, v[8:9]
.LBB119_17:
	s_andn2_saveexec_b64 s[0:1], s[0:1]
	s_cbranch_execz .LBB119_19
; %bb.18:
	s_lshl_b32 s4, s20, 3
	s_ashr_i32 s5, s4, 31
	v_lshl_add_u64 v[8:9], s[4:5], 3, v[6:7]
	global_load_dwordx2 v[8:9], v[8:9], off
	s_waitcnt vmcnt(0)
	ds_write_b64 v5, v[8:9] offset:2112
.LBB119_19:
	s_or_b64 exec, exec, s[0:1]
	v_add_u32_e32 v8, 16, v1
	v_cmp_le_i32_e64 s[0:1], s24, v8
	s_and_saveexec_b64 s[4:5], s[0:1]
	s_xor_b64 s[0:1], exec, s[4:5]
	s_cbranch_execz .LBB119_21
; %bb.20:
	v_mov_b32_e32 v8, 0
	v_mov_b32_e32 v9, v8
	ds_write_b64 v5, v[8:9] offset:4224
.LBB119_21:
	s_andn2_saveexec_b64 s[0:1], s[0:1]
	s_cbranch_execz .LBB119_23
; %bb.22:
	s_lshl_b32 s4, s20, 4
	s_ashr_i32 s5, s4, 31
	v_lshl_add_u64 v[8:9], s[4:5], 3, v[6:7]
	global_load_dwordx2 v[8:9], v[8:9], off
	s_waitcnt vmcnt(0)
	ds_write_b64 v5, v[8:9] offset:4224
.LBB119_23:
	s_or_b64 exec, exec, s[0:1]
	v_add_u32_e32 v8, 24, v1
	v_cmp_le_i32_e64 s[0:1], s24, v8
	s_and_saveexec_b64 s[4:5], s[0:1]
	s_xor_b64 s[0:1], exec, s[4:5]
	s_cbranch_execz .LBB119_25
; %bb.24:
	v_mov_b32_e32 v8, 0
	v_mov_b32_e32 v9, v8
	ds_write_b64 v5, v[8:9] offset:6336
                                        ; implicit-def: $vgpr5
.LBB119_25:
	s_andn2_saveexec_b64 s[0:1], s[0:1]
	s_cbranch_execz .LBB119_27
; %bb.26:
	s_mul_i32 s4, s20, 24
	s_ashr_i32 s5, s4, 31
	v_lshl_add_u64 v[8:9], s[4:5], 3, v[6:7]
	global_load_dwordx2 v[8:9], v[8:9], off
	s_waitcnt vmcnt(0)
	ds_write_b64 v5, v[8:9] offset:6336
.LBB119_27:
	s_or_b64 exec, exec, s[0:1]
	v_mov_b32_e32 v5, 0
	v_lshl_add_u64 v[4:5], v[6:7], 0, v[4:5]
	s_lshl_b64 s[0:1], s[24:25], 3
	v_mov_b32_e32 v6, s1
	v_subrev_co_u32_e64 v4, s[0:1], s0, v4
	s_nop 1
	v_subb_co_u32_e64 v5, s[0:1], v5, v6, s[0:1]
	v_lshl_add_u64 v[4:5], v[4:5], 0, 8
	v_cndmask_b32_e32 v3, v5, v3, vcc
	v_cndmask_b32_e32 v2, v4, v2, vcc
.LBB119_28:
	v_lshlrev_b32_e32 v4, 2, v1
	v_mul_u32_u24_e32 v28, 33, v0
	v_cmp_lt_u32_e64 s[6:7], v4, v0
	v_add_lshl_u32 v12, v4, v28, 3
	s_waitcnt lgkmcnt(0)
	s_barrier
	s_and_saveexec_b64 s[0:1], s[6:7]
	s_cbranch_execz .LBB119_30
; %bb.29:
	v_mul_u32_u24_e32 v5, 0x84, v1
	v_add_lshl_u32 v5, v5, v0, 3
	ds_read_b64 v[6:7], v5
	s_waitcnt lgkmcnt(0)
	ds_write_b64 v12, v[6:7]
.LBB119_30:
	s_or_b64 exec, exec, s[0:1]
	v_or_b32_e32 v5, 1, v4
	v_cmp_lt_u32_e64 s[8:9], v5, v0
	s_and_saveexec_b64 s[0:1], s[8:9]
	s_cbranch_execz .LBB119_32
; %bb.31:
	v_mul_u32_u24_e32 v5, 33, v5
	v_add_lshl_u32 v5, v5, v0, 3
	ds_read_b64 v[6:7], v5
	s_waitcnt lgkmcnt(0)
	ds_write_b64 v12, v[6:7] offset:8
.LBB119_32:
	s_or_b64 exec, exec, s[0:1]
	v_or_b32_e32 v5, 2, v4
	v_cmp_lt_u32_e64 s[10:11], v5, v0
	s_and_saveexec_b64 s[0:1], s[10:11]
	s_cbranch_execz .LBB119_34
; %bb.33:
	v_mul_u32_u24_e32 v5, 33, v5
	v_add_lshl_u32 v5, v5, v0, 3
	ds_read_b64 v[6:7], v5
	s_waitcnt lgkmcnt(0)
	ds_write_b64 v12, v[6:7] offset:16
.LBB119_34:
	s_or_b64 exec, exec, s[0:1]
	v_or_b32_e32 v5, 3, v4
	v_cmp_lt_u32_e64 s[12:13], v5, v0
	v_mad_u32_u24 v5, v5, 33, v0
	v_lshlrev_b32_e32 v10, 3, v5
	s_and_saveexec_b64 s[0:1], s[12:13]
	s_cbranch_execz .LBB119_36
; %bb.35:
	ds_read_b64 v[6:7], v10
	s_waitcnt lgkmcnt(0)
	ds_write_b64 v12, v[6:7] offset:24
.LBB119_36:
	s_or_b64 exec, exec, s[0:1]
	v_mul_u32_u24_e32 v5, 0x84, v1
	v_add_lshl_u32 v13, v5, v0, 3
	s_waitcnt lgkmcnt(0)
	s_barrier
	v_lshlrev_b32_e32 v14, 3, v4
	v_add_u32_e32 v11, 0xfffffdf0, v10
	ds_read_b64 v[8:9], v13
	ds_read_b128 v[4:7], v14 offset:9088
	ds_read2_b64 v[30:33], v11 offset1:33
	ds_read_b64 v[18:19], v10
	ds_read_b128 v[34:37], v14 offset:9104
	s_mov_b32 s0, 0
	s_mov_b32 s1, s0
	s_waitcnt lgkmcnt(3)
	v_pk_mul_f32 v[24:25], v[4:5], v[8:9] op_sel:[0,1]
	v_add_lshl_u32 v29, v1, v28, 3
	v_pk_fma_f32 v[38:39], v[4:5], v[8:9], v[24:25] op_sel:[0,0,1] op_sel_hi:[1,1,0] neg_lo:[0,0,1] neg_hi:[0,0,1]
	v_pk_fma_f32 v[4:5], v[4:5], v[8:9], v[24:25] op_sel:[0,0,1] op_sel_hi:[1,0,0]
	s_waitcnt lgkmcnt(2)
	v_pk_mul_f32 v[8:9], v[6:7], v[30:31] op_sel:[0,1]
	v_mov_b32_e32 v39, v5
	v_pk_fma_f32 v[24:25], v[6:7], v[30:31], v[8:9] op_sel:[0,0,1] op_sel_hi:[1,1,0] neg_lo:[0,0,1] neg_hi:[0,0,1]
	v_pk_fma_f32 v[6:7], v[6:7], v[30:31], v[8:9] op_sel:[0,0,1] op_sel_hi:[1,0,0]
	v_pk_add_f32 v[4:5], v[38:39], 0 op_sel_hi:[1,0]
	v_mov_b32_e32 v25, v7
	s_waitcnt lgkmcnt(0)
	v_pk_mul_f32 v[6:7], v[34:35], v[32:33] op_sel:[0,1]
	v_pk_add_f32 v[4:5], v[4:5], v[24:25]
	v_pk_fma_f32 v[8:9], v[34:35], v[32:33], v[6:7] op_sel:[0,0,1] op_sel_hi:[1,1,0] neg_lo:[0,0,1] neg_hi:[0,0,1]
	v_pk_fma_f32 v[6:7], v[34:35], v[32:33], v[6:7] op_sel:[0,0,1] op_sel_hi:[1,0,0]
	v_cmp_gt_u32_e64 s[4:5], 32, v27
	v_mov_b32_e32 v9, v7
	v_pk_mul_f32 v[6:7], v[36:37], v[18:19] op_sel:[0,1]
	v_pk_add_f32 v[4:5], v[4:5], v[8:9]
	v_pk_fma_f32 v[8:9], v[36:37], v[18:19], v[6:7] op_sel:[0,0,1] op_sel_hi:[1,1,0] neg_lo:[0,0,1] neg_hi:[0,0,1]
	v_pk_fma_f32 v[6:7], v[36:37], v[18:19], v[6:7] op_sel:[0,0,1] op_sel_hi:[1,0,0]
	v_mov_b64_e32 v[18:19], s[0:1]
	v_mov_b32_e32 v9, v7
	v_pk_add_f32 v[4:5], v[4:5], v[8:9]
	s_barrier
	ds_write_b64 v29, v[4:5]
	s_waitcnt lgkmcnt(0)
	s_barrier
	s_and_saveexec_b64 s[0:1], s[4:5]
	s_cbranch_execz .LBB119_38
; %bb.37:
	v_lshlrev_b32_e32 v8, 3, v28
	ds_read2_b64 v[4:7], v8 offset1:7
	ds_read2_b64 v[30:33], v8 offset0:1 offset1:2
	ds_read2_b64 v[34:37], v8 offset0:3 offset1:4
	s_waitcnt lgkmcnt(1)
	v_add_f32_e32 v4, v30, v4
	v_add_f32_e32 v5, v31, v5
	;; [unrolled: 1-line block ×4, first 2 shown]
	ds_read2_b64 v[30:33], v8 offset0:5 offset1:6
	s_waitcnt lgkmcnt(1)
	v_add_f32_e32 v4, v4, v34
	v_add_f32_e32 v5, v5, v35
	;; [unrolled: 1-line block ×4, first 2 shown]
	s_waitcnt lgkmcnt(0)
	v_add_f32_e32 v4, v4, v30
	v_add_f32_e32 v5, v5, v31
	;; [unrolled: 1-line block ×4, first 2 shown]
	v_pk_add_f32 v[18:19], v[4:5], v[6:7]
.LBB119_38:
	s_or_b64 exec, exec, s[0:1]
	s_lshl_b32 s36, s20, 5
	s_ashr_i32 s37, s36, 31
	v_lshl_add_u64 v[4:5], s[36:37], 3, v[2:3]
	s_mov_b64 s[0:1], 0x100
	v_cndmask_b32_e64 v2, 0, 1, s[34:35]
	v_cmp_ne_u32_e64 s[14:15], 1, v2
	s_andn2_b64 vcc, exec, s[34:35]
	v_lshl_add_u64 v[2:3], v[4:5], 0, s[0:1]
	s_barrier
	s_cbranch_vccnz .LBB119_40
; %bb.39:
	s_lshl_b32 s0, s20, 3
	s_ashr_i32 s1, s0, 31
	s_ashr_i32 s21, s20, 31
	v_lshl_add_u64 v[6:7], s[0:1], 3, v[4:5]
	s_lshl_b64 s[0:1], s[20:21], 6
	v_lshl_add_u64 v[8:9], v[6:7], 0, s[0:1]
	v_lshl_add_u64 v[24:25], v[8:9], 0, s[0:1]
	global_load_dwordx2 v[30:31], v[4:5], off offset:256
	global_load_dwordx2 v[32:33], v[6:7], off offset:256
	;; [unrolled: 1-line block ×4, first 2 shown]
	v_mul_u32_u24_e32 v4, 33, v1
	v_add_lshl_u32 v4, v4, v0, 3
	s_waitcnt vmcnt(3)
	ds_write_b64 v4, v[30:31]
	s_waitcnt vmcnt(2)
	ds_write_b64 v4, v[32:33] offset:2112
	s_waitcnt vmcnt(1)
	ds_write_b64 v4, v[34:35] offset:4224
	;; [unrolled: 2-line block ×3, first 2 shown]
	s_cbranch_execz .LBB119_41
	s_branch .LBB119_56
.LBB119_40:
.LBB119_41:
	v_lshlrev_b32_e32 v4, 3, v0
	v_sub_co_u32_e32 v6, vcc, v2, v4
	s_ashr_i32 s25, s24, 31
	s_nop 0
	v_subbrev_co_u32_e32 v7, vcc, 0, v3, vcc
	s_movk_i32 s0, 0xfef8
	v_or_b32_e32 v5, 32, v0
	v_lshl_add_u64 v[6:7], s[24:25], 3, v[6:7]
	s_mov_b32 s1, -1
	v_lshl_add_u64 v[6:7], v[6:7], 0, s[0:1]
	v_cmp_gt_i32_e32 vcc, s24, v5
	s_sub_i32 s21, s24, 32
	v_mov_b32_e32 v8, 0
	v_cndmask_b32_e32 v7, v7, v3, vcc
	v_cndmask_b32_e32 v6, v6, v2, vcc
	v_cmp_gt_i32_e64 s[0:1], s21, v1
	v_mov_b32_e32 v9, v8
	s_and_saveexec_b64 s[34:35], s[0:1]
	s_cbranch_execz .LBB119_43
; %bb.42:
	global_load_dwordx2 v[8:9], v[6:7], off
.LBB119_43:
	s_or_b64 exec, exec, s[34:35]
	v_mul_u32_u24_e32 v5, 33, v1
	v_add_lshl_u32 v5, v5, v0, 3
	s_waitcnt vmcnt(0)
	ds_write_b64 v5, v[8:9]
	v_add_u32_e32 v8, 8, v1
	v_cmp_le_i32_e64 s[0:1], s21, v8
	s_and_saveexec_b64 s[34:35], s[0:1]
	s_xor_b64 s[0:1], exec, s[34:35]
	s_cbranch_execz .LBB119_45
; %bb.44:
	v_mul_u32_u24_e32 v8, 33, v8
	v_add_lshl_u32 v15, v8, v0, 3
	v_mov_b32_e32 v8, 0
	v_mov_b32_e32 v9, v8
	ds_write_b64 v15, v[8:9]
.LBB119_45:
	s_andn2_saveexec_b64 s[0:1], s[0:1]
	s_cbranch_execz .LBB119_47
; %bb.46:
	s_lshl_b32 s34, s20, 3
	s_ashr_i32 s35, s34, 31
	v_lshl_add_u64 v[8:9], s[34:35], 3, v[6:7]
	global_load_dwordx2 v[8:9], v[8:9], off
	s_waitcnt vmcnt(0)
	ds_write_b64 v5, v[8:9] offset:2112
.LBB119_47:
	s_or_b64 exec, exec, s[0:1]
	v_add_u32_e32 v8, 16, v1
	v_cmp_le_i32_e64 s[0:1], s21, v8
	s_and_saveexec_b64 s[34:35], s[0:1]
	s_xor_b64 s[0:1], exec, s[34:35]
	s_cbranch_execz .LBB119_49
; %bb.48:
	v_mul_u32_u24_e32 v8, 33, v8
	v_add_lshl_u32 v15, v8, v0, 3
	v_mov_b32_e32 v8, 0
	v_mov_b32_e32 v9, v8
	ds_write_b64 v15, v[8:9]
.LBB119_49:
	s_andn2_saveexec_b64 s[0:1], s[0:1]
	s_cbranch_execz .LBB119_51
; %bb.50:
	s_lshl_b32 s34, s20, 4
	s_ashr_i32 s35, s34, 31
	v_lshl_add_u64 v[8:9], s[34:35], 3, v[6:7]
	global_load_dwordx2 v[8:9], v[8:9], off
	s_waitcnt vmcnt(0)
	ds_write_b64 v5, v[8:9] offset:4224
.LBB119_51:
	s_or_b64 exec, exec, s[0:1]
	v_add_u32_e32 v8, 24, v1
	v_cmp_le_i32_e64 s[0:1], s21, v8
	s_and_saveexec_b64 s[34:35], s[0:1]
	s_xor_b64 s[0:1], exec, s[34:35]
	s_cbranch_execz .LBB119_53
; %bb.52:
	v_mov_b32_e32 v8, 0
	v_mov_b32_e32 v9, v8
	ds_write_b64 v5, v[8:9] offset:6336
                                        ; implicit-def: $vgpr5
.LBB119_53:
	s_andn2_saveexec_b64 s[0:1], s[0:1]
	s_cbranch_execz .LBB119_55
; %bb.54:
	s_mul_i32 s34, s20, 24
	s_ashr_i32 s35, s34, 31
	v_lshl_add_u64 v[8:9], s[34:35], 3, v[6:7]
	global_load_dwordx2 v[8:9], v[8:9], off
	s_waitcnt vmcnt(0)
	ds_write_b64 v5, v[8:9] offset:6336
.LBB119_55:
	s_or_b64 exec, exec, s[0:1]
	v_mov_b32_e32 v5, 0
	v_lshl_add_u64 v[4:5], v[6:7], 0, v[4:5]
	s_lshl_b64 s[0:1], s[24:25], 3
	v_mov_b32_e32 v6, s1
	v_subrev_co_u32_e64 v4, s[0:1], s0, v4
	s_nop 1
	v_subb_co_u32_e64 v5, s[0:1], v5, v6, s[0:1]
	s_mov_b64 s[0:1], 0x108
	s_nop 0
	v_lshl_add_u64 v[4:5], v[4:5], 0, s[0:1]
	v_cndmask_b32_e32 v3, v5, v3, vcc
	v_cndmask_b32_e32 v2, v4, v2, vcc
.LBB119_56:
	v_add_u32_e32 v30, 0x2380, v14
	s_waitcnt lgkmcnt(0)
	s_barrier
	s_and_saveexec_b64 s[0:1], s[6:7]
	s_cbranch_execnz .LBB119_65
; %bb.57:
	s_or_b64 exec, exec, s[0:1]
	s_and_saveexec_b64 s[0:1], s[8:9]
	s_cbranch_execnz .LBB119_66
.LBB119_58:
	s_or_b64 exec, exec, s[0:1]
	s_and_saveexec_b64 s[0:1], s[10:11]
	s_cbranch_execnz .LBB119_67
.LBB119_59:
	s_or_b64 exec, exec, s[0:1]
	s_and_saveexec_b64 s[0:1], s[12:13]
	s_cbranch_execz .LBB119_61
.LBB119_60:
	ds_read_b64 v[4:5], v10
	s_waitcnt lgkmcnt(0)
	ds_write_b64 v12, v[4:5] offset:24
.LBB119_61:
	s_or_b64 exec, exec, s[0:1]
	s_waitcnt lgkmcnt(0)
	s_barrier
	ds_read_b64 v[14:15], v13
	ds_read_b128 v[4:7], v30 offset:256
	ds_read2_b64 v[32:35], v11 offset1:33
	ds_read_b64 v[24:25], v10
	ds_read_b128 v[8:11], v30 offset:272
	v_cmp_eq_u32_e64 s[6:7], 1, v1
	s_waitcnt lgkmcnt(3)
	v_pk_mul_f32 v[36:37], v[4:5], v[14:15] op_sel:[0,1]
	s_waitcnt lgkmcnt(0)
	v_pk_fma_f32 v[38:39], v[4:5], v[14:15], v[36:37] op_sel:[0,0,1] op_sel_hi:[1,1,0] neg_lo:[0,0,1] neg_hi:[0,0,1]
	v_pk_fma_f32 v[4:5], v[4:5], v[14:15], v[36:37] op_sel:[0,0,1] op_sel_hi:[1,0,0]
	v_pk_mul_f32 v[14:15], v[6:7], v[32:33] op_sel:[0,1]
	v_mov_b32_e32 v39, v5
	v_pk_fma_f32 v[36:37], v[6:7], v[32:33], v[14:15] op_sel:[0,0,1] op_sel_hi:[1,1,0] neg_lo:[0,0,1] neg_hi:[0,0,1]
	v_pk_fma_f32 v[6:7], v[6:7], v[32:33], v[14:15] op_sel:[0,0,1] op_sel_hi:[1,0,0]
	v_pk_add_f32 v[4:5], v[38:39], 0 op_sel_hi:[1,0]
	v_mov_b32_e32 v37, v7
	v_pk_mul_f32 v[6:7], v[8:9], v[34:35] op_sel:[0,1]
	v_pk_add_f32 v[4:5], v[4:5], v[36:37]
	v_pk_fma_f32 v[14:15], v[8:9], v[34:35], v[6:7] op_sel:[0,0,1] op_sel_hi:[1,1,0] neg_lo:[0,0,1] neg_hi:[0,0,1]
	v_pk_fma_f32 v[6:7], v[8:9], v[34:35], v[6:7] op_sel:[0,0,1] op_sel_hi:[1,0,0]
	s_barrier
	v_mov_b32_e32 v15, v7
	v_pk_mul_f32 v[6:7], v[10:11], v[24:25] op_sel:[0,1]
	v_pk_add_f32 v[4:5], v[4:5], v[14:15]
	v_pk_fma_f32 v[8:9], v[10:11], v[24:25], v[6:7] op_sel:[0,0,1] op_sel_hi:[1,1,0] neg_lo:[0,0,1] neg_hi:[0,0,1]
	v_pk_fma_f32 v[6:7], v[10:11], v[24:25], v[6:7] op_sel:[0,0,1] op_sel_hi:[1,0,0]
	s_nop 0
	v_mov_b32_e32 v9, v7
	v_pk_add_f32 v[4:5], v[4:5], v[8:9]
	ds_write_b64 v29, v[4:5]
	s_waitcnt lgkmcnt(0)
	s_barrier
	s_and_saveexec_b64 s[0:1], s[6:7]
	s_cbranch_execz .LBB119_63
; %bb.62:
	v_lshlrev_b32_e32 v13, 3, v28
	ds_read2_b64 v[4:7], v13 offset1:7
	ds_read2_b64 v[8:11], v13 offset0:1 offset1:2
	ds_read2_b64 v[32:35], v13 offset0:3 offset1:4
	s_waitcnt lgkmcnt(1)
	v_add_f32_e32 v4, v8, v4
	v_add_f32_e32 v5, v9, v5
	;; [unrolled: 1-line block ×4, first 2 shown]
	ds_read2_b64 v[8:11], v13 offset0:5 offset1:6
	s_waitcnt lgkmcnt(1)
	v_add_f32_e32 v4, v4, v32
	v_add_f32_e32 v5, v5, v33
	;; [unrolled: 1-line block ×4, first 2 shown]
	s_waitcnt lgkmcnt(0)
	v_add_f32_e32 v4, v4, v8
	v_add_f32_e32 v5, v5, v9
	v_pk_add_f32 v[4:5], v[4:5], v[10:11]
	s_nop 0
	v_pk_add_f32 v[18:19], v[4:5], v[6:7]
.LBB119_63:
	s_or_b64 exec, exec, s[0:1]
	s_lshl_b64 s[0:1], s[36:37], 3
	v_mov_b32_e32 v4, s1
	v_subrev_co_u32_e64 v24, s[0:1], s0, v2
	s_and_b64 vcc, exec, s[14:15]
	s_nop 0
	v_subb_co_u32_e64 v25, s[0:1], v3, v4, s[0:1]
	s_barrier
	s_cbranch_vccnz .LBB119_68
; %bb.64:
	s_lshl_b32 s0, s20, 3
	s_ashr_i32 s1, s0, 31
	s_ashr_i32 s21, s20, 31
	v_lshl_add_u64 v[2:3], s[0:1], 3, v[24:25]
	s_lshl_b64 s[0:1], s[20:21], 6
	v_lshl_add_u64 v[4:5], v[2:3], 0, s[0:1]
	v_lshl_add_u64 v[6:7], v[4:5], 0, s[0:1]
	global_load_dwordx2 v[14:15], v[24:25], off
	global_load_dwordx2 v[32:33], v[2:3], off
	;; [unrolled: 1-line block ×4, first 2 shown]
	v_mad_u32_u24 v8, v1, 33, v0
	v_add_u32_e32 v6, 8, v1
	v_add_u32_e32 v7, 16, v1
	v_add_u32_e32 v9, 24, v1
	v_lshlrev_b32_e32 v4, 3, v8
	v_add_u32_e32 v2, 0x108, v8
	v_add_u32_e32 v3, 0x210, v8
	;; [unrolled: 1-line block ×3, first 2 shown]
	s_waitcnt vmcnt(3)
	ds_write_b64 v4, v[14:15]
	s_waitcnt vmcnt(2)
	ds_write_b64 v4, v[32:33] offset:2112
	s_waitcnt vmcnt(1)
	ds_write_b64 v4, v[34:35] offset:4224
	s_waitcnt vmcnt(0)
	ds_write_b64 v4, v[36:37] offset:6336
	s_cbranch_execz .LBB119_69
	s_branch .LBB119_84
.LBB119_65:
	ds_read_b64 v[4:5], v13
	s_waitcnt lgkmcnt(0)
	ds_write_b64 v12, v[4:5]
	s_or_b64 exec, exec, s[0:1]
	s_and_saveexec_b64 s[0:1], s[8:9]
	s_cbranch_execz .LBB119_58
.LBB119_66:
	ds_read_b64 v[4:5], v11
	s_waitcnt lgkmcnt(0)
	ds_write_b64 v12, v[4:5] offset:8
	s_or_b64 exec, exec, s[0:1]
	s_and_saveexec_b64 s[0:1], s[10:11]
	s_cbranch_execz .LBB119_59
.LBB119_67:
	ds_read_b64 v[4:5], v11 offset:264
	s_waitcnt lgkmcnt(0)
	ds_write_b64 v12, v[4:5] offset:16
	s_or_b64 exec, exec, s[0:1]
	s_and_saveexec_b64 s[0:1], s[12:13]
	s_cbranch_execnz .LBB119_60
	s_branch .LBB119_61
.LBB119_68:
                                        ; implicit-def: $vgpr8
                                        ; implicit-def: $vgpr6
                                        ; implicit-def: $vgpr2
                                        ; implicit-def: $vgpr7
                                        ; implicit-def: $vgpr3
                                        ; implicit-def: $vgpr9
                                        ; implicit-def: $vgpr10
.LBB119_69:
	v_lshlrev_b32_e32 v2, 3, v0
	v_sub_co_u32_e32 v4, vcc, v24, v2
	s_ashr_i32 s25, s24, 31
	s_nop 0
	v_subbrev_co_u32_e32 v5, vcc, 0, v25, vcc
	s_movk_i32 s0, 0xfef8
	v_or_b32_e32 v3, 32, v0
	v_lshl_add_u64 v[4:5], s[24:25], 3, v[4:5]
	s_mov_b32 s1, -1
	v_lshl_add_u64 v[4:5], v[4:5], 0, s[0:1]
	v_cmp_gt_i32_e32 vcc, s24, v3
	v_mov_b32_e32 v6, 0
	v_cmp_gt_i32_e64 s[0:1], s24, v1
	v_cndmask_b32_e32 v5, v5, v25, vcc
	v_cndmask_b32_e32 v4, v4, v24, vcc
	v_mov_b32_e32 v7, v6
	s_and_saveexec_b64 s[8:9], s[0:1]
	s_cbranch_execz .LBB119_71
; %bb.70:
	global_load_dwordx2 v[6:7], v[4:5], off
.LBB119_71:
	s_or_b64 exec, exec, s[8:9]
	v_mad_u32_u24 v8, v1, 33, v0
	v_lshlrev_b32_e32 v3, 3, v8
	s_waitcnt vmcnt(0)
	ds_write_b64 v3, v[6:7]
	v_add_u32_e32 v6, 8, v1
	v_cmp_le_i32_e64 s[0:1], s24, v6
	s_and_saveexec_b64 s[8:9], s[0:1]
	s_xor_b64 s[0:1], exec, s[8:9]
	s_cbranch_execz .LBB119_73
; %bb.72:
	v_mul_u32_u24_e32 v7, 33, v6
	v_mov_b32_e32 v10, 0
	v_add_lshl_u32 v7, v7, v0, 3
	v_mov_b32_e32 v11, v10
	ds_write_b64 v7, v[10:11]
.LBB119_73:
	s_andn2_saveexec_b64 s[0:1], s[0:1]
	s_cbranch_execz .LBB119_75
; %bb.74:
	s_lshl_b32 s8, s20, 3
	s_ashr_i32 s9, s8, 31
	v_lshl_add_u64 v[10:11], s[8:9], 3, v[4:5]
	global_load_dwordx2 v[10:11], v[10:11], off
	s_waitcnt vmcnt(0)
	ds_write_b64 v3, v[10:11] offset:2112
.LBB119_75:
	s_or_b64 exec, exec, s[0:1]
	v_add_u32_e32 v7, 16, v1
	v_cmp_le_i32_e64 s[0:1], s24, v7
	s_and_saveexec_b64 s[8:9], s[0:1]
	s_xor_b64 s[0:1], exec, s[8:9]
	s_cbranch_execz .LBB119_77
; %bb.76:
	v_mul_u32_u24_e32 v9, 33, v7
	v_mov_b32_e32 v10, 0
	v_add_lshl_u32 v9, v9, v0, 3
	v_mov_b32_e32 v11, v10
	ds_write_b64 v9, v[10:11]
.LBB119_77:
	s_andn2_saveexec_b64 s[0:1], s[0:1]
	s_cbranch_execz .LBB119_79
; %bb.78:
	s_lshl_b32 s8, s20, 4
	s_ashr_i32 s9, s8, 31
	v_lshl_add_u64 v[10:11], s[8:9], 3, v[4:5]
	global_load_dwordx2 v[10:11], v[10:11], off
	s_waitcnt vmcnt(0)
	ds_write_b64 v3, v[10:11] offset:4224
.LBB119_79:
	s_or_b64 exec, exec, s[0:1]
	v_add_u32_e32 v9, 24, v1
	v_cmp_le_i32_e64 s[0:1], s24, v9
                                        ; implicit-def: $vgpr10
	s_and_saveexec_b64 s[8:9], s[0:1]
	s_xor_b64 s[0:1], exec, s[8:9]
	s_cbranch_execz .LBB119_81
; %bb.80:
	v_mad_u32_u24 v10, v9, 33, v0
	v_mov_b32_e32 v14, 0
	v_lshlrev_b32_e32 v0, 3, v10
	v_mov_b32_e32 v15, v14
	ds_write_b64 v0, v[14:15]
                                        ; implicit-def: $vgpr3
.LBB119_81:
	s_andn2_saveexec_b64 s[0:1], s[0:1]
	s_cbranch_execz .LBB119_83
; %bb.82:
	s_mul_i32 s8, s20, 24
	s_ashr_i32 s9, s8, 31
	v_lshl_add_u64 v[10:11], s[8:9], 3, v[4:5]
	global_load_dwordx2 v[14:15], v[10:11], off
	v_add_u32_e32 v10, 0x318, v8
	s_waitcnt vmcnt(0)
	ds_write_b64 v3, v[14:15] offset:6336
.LBB119_83:
	s_or_b64 exec, exec, s[0:1]
	v_mov_b32_e32 v3, 0
	v_lshl_add_u64 v[2:3], v[4:5], 0, v[2:3]
	s_lshl_b64 s[0:1], s[24:25], 3
	v_mov_b32_e32 v0, s1
	v_subrev_co_u32_e64 v2, s[0:1], s0, v2
	s_nop 1
	v_subb_co_u32_e64 v3, s[0:1], v3, v0, s[0:1]
	s_mov_b64 s[0:1], 0x108
	s_nop 0
	v_lshl_add_u64 v[2:3], v[2:3], 0, s[0:1]
	v_cndmask_b32_e32 v25, v3, v25, vcc
	v_cndmask_b32_e32 v24, v2, v24, vcc
	v_add_u32_e32 v2, 0x108, v8
	v_add_u32_e32 v3, 0x210, v8
.LBB119_84:
	v_lshlrev_b32_e32 v0, 3, v8
	s_waitcnt lgkmcnt(0)
	s_barrier
	ds_read_b64 v[32:33], v0
	v_lshlrev_b32_e32 v4, 3, v1
	v_lshlrev_b32_e32 v5, 3, v2
	;; [unrolled: 1-line block ×7, first 2 shown]
	ds_read_b64 v[34:35], v0
	ds_read2_b64 v[8:11], v12 offset1:1
	ds_read2_b64 v[0:3], v12 offset0:2 offset1:3
	ds_read_b64 v[36:37], v6 offset:9088
	ds_read_b64 v[38:39], v5
	ds_read_b64 v[40:41], v4 offset:9088
	ds_read_b128 v[12:15], v30 offset:256
	ds_read_b128 v[4:7], v30 offset:272
	ds_read_b64 v[30:31], v31 offset:9088
	ds_read_b64 v[42:43], v42
	ds_read_b64 v[44:45], v44 offset:9088
	s_waitcnt lgkmcnt(5)
	v_pk_mul_f32 v[46:47], v[40:41], v[32:33] op_sel:[0,1]
	s_waitcnt lgkmcnt(0)
	v_pk_fma_f32 v[48:49], v[40:41], v[32:33], v[46:47] op_sel:[0,0,1] op_sel_hi:[1,1,0] neg_lo:[0,0,1] neg_hi:[0,0,1]
	v_pk_fma_f32 v[32:33], v[40:41], v[32:33], v[46:47] op_sel:[0,0,1] op_sel_hi:[1,0,0]
	v_pk_mul_f32 v[40:41], v[36:37], v[38:39] op_sel:[0,1]
	v_mov_b32_e32 v49, v33
	v_pk_fma_f32 v[46:47], v[36:37], v[38:39], v[40:41] op_sel:[0,0,1] op_sel_hi:[1,1,0] neg_lo:[0,0,1] neg_hi:[0,0,1]
	v_pk_fma_f32 v[36:37], v[36:37], v[38:39], v[40:41] op_sel:[0,0,1] op_sel_hi:[1,0,0]
	v_pk_add_f32 v[32:33], v[48:49], 0 op_sel_hi:[1,0]
	v_mov_b32_e32 v47, v37
	v_pk_mul_f32 v[36:37], v[44:45], v[34:35] op_sel:[0,1]
	v_pk_add_f32 v[32:33], v[32:33], v[46:47]
	v_pk_fma_f32 v[38:39], v[44:45], v[34:35], v[36:37] op_sel:[0,0,1] op_sel_hi:[1,1,0] neg_lo:[0,0,1] neg_hi:[0,0,1]
	v_pk_fma_f32 v[34:35], v[44:45], v[34:35], v[36:37] op_sel:[0,0,1] op_sel_hi:[1,0,0]
	s_barrier
	v_mov_b32_e32 v39, v35
	v_pk_mul_f32 v[34:35], v[30:31], v[42:43] op_sel:[0,1]
	v_pk_add_f32 v[32:33], v[32:33], v[38:39]
	v_pk_fma_f32 v[36:37], v[30:31], v[42:43], v[34:35] op_sel:[0,0,1] op_sel_hi:[1,1,0] neg_lo:[0,0,1] neg_hi:[0,0,1]
	v_pk_fma_f32 v[30:31], v[30:31], v[42:43], v[34:35] op_sel:[0,0,1] op_sel_hi:[1,0,0]
	s_nop 0
	v_mov_b32_e32 v37, v31
	v_pk_add_f32 v[30:31], v[32:33], v[36:37]
	ds_write_b64 v29, v[30:31]
	s_waitcnt lgkmcnt(0)
	s_barrier
	s_and_saveexec_b64 s[0:1], s[6:7]
	s_cbranch_execz .LBB119_86
; %bb.85:
	v_lshlrev_b32_e32 v42, 3, v28
	ds_read2_b64 v[30:33], v42 offset1:1
	ds_read2_b64 v[34:37], v42 offset0:2 offset1:3
	ds_read2_b64 v[38:41], v42 offset0:4 offset1:5
	s_waitcnt lgkmcnt(2)
	v_pk_add_f32 v[18:19], v[18:19], v[30:31]
	s_nop 0
	v_pk_add_f32 v[18:19], v[18:19], v[32:33]
	ds_read2_b64 v[30:33], v42 offset0:6 offset1:7
	s_waitcnt lgkmcnt(2)
	v_pk_add_f32 v[18:19], v[18:19], v[34:35]
	s_nop 0
	v_pk_add_f32 v[18:19], v[18:19], v[36:37]
	s_waitcnt lgkmcnt(1)
	v_pk_add_f32 v[18:19], v[18:19], v[38:39]
	s_nop 0
	v_pk_add_f32 v[18:19], v[18:19], v[40:41]
	;; [unrolled: 4-line block ×3, first 2 shown]
.LBB119_86:
	s_or_b64 exec, exec, s[0:1]
	v_pk_mul_f32 v[30:31], v[12:13], v[8:9] op_sel:[0,1]
	s_nop 0
	v_pk_fma_f32 v[32:33], v[12:13], v[8:9], v[30:31] op_sel:[0,0,1] op_sel_hi:[1,1,0] neg_lo:[0,0,1] neg_hi:[0,0,1]
	v_pk_fma_f32 v[8:9], v[12:13], v[8:9], v[30:31] op_sel:[0,0,1] op_sel_hi:[1,0,0]
	v_mov_b32_e32 v12, v11
	v_pk_mul_f32 v[12:13], v[14:15], v[12:13] op_sel_hi:[1,0]
	v_mov_b32_e32 v33, v9
	v_pk_fma_f32 v[30:31], v[14:15], v[10:11], v[12:13] op_sel:[0,0,1] op_sel_hi:[1,1,0] neg_lo:[0,0,1] neg_hi:[0,0,1]
	v_pk_fma_f32 v[10:11], v[14:15], v[10:11], v[12:13] op_sel:[0,0,1] op_sel_hi:[1,0,0]
	v_pk_add_f32 v[8:9], v[32:33], 0 op_sel_hi:[1,0]
	v_mov_b32_e32 v31, v11
	v_pk_mul_f32 v[10:11], v[4:5], v[0:1] op_sel:[0,1]
	v_pk_add_f32 v[8:9], v[8:9], v[30:31]
	v_pk_fma_f32 v[12:13], v[4:5], v[0:1], v[10:11] op_sel:[0,0,1] op_sel_hi:[1,1,0] neg_lo:[0,0,1] neg_hi:[0,0,1]
	v_pk_fma_f32 v[0:1], v[4:5], v[0:1], v[10:11] op_sel:[0,0,1] op_sel_hi:[1,0,0]
	v_mov_b32_e32 v4, v3
	v_mov_b32_e32 v13, v1
	v_pk_mul_f32 v[4:5], v[6:7], v[4:5] op_sel_hi:[1,0]
	v_pk_add_f32 v[0:1], v[8:9], v[12:13]
	v_pk_fma_f32 v[8:9], v[6:7], v[2:3], v[4:5] op_sel:[0,0,1] op_sel_hi:[1,1,0] neg_lo:[0,0,1] neg_hi:[0,0,1]
	v_pk_fma_f32 v[2:3], v[6:7], v[2:3], v[4:5] op_sel:[0,0,1] op_sel_hi:[1,0,0]
	s_barrier
	v_mov_b32_e32 v9, v3
	v_pk_add_f32 v[0:1], v[0:1], v[8:9]
	ds_write_b64 v29, v[0:1]
	s_waitcnt lgkmcnt(0)
	s_barrier
	s_and_saveexec_b64 s[0:1], s[4:5]
	s_cbranch_execz .LBB119_88
; %bb.87:
	v_lshlrev_b32_e32 v14, 3, v28
	ds_read2_b64 v[0:3], v14 offset1:1
	ds_read2_b64 v[4:7], v14 offset0:2 offset1:3
	ds_read2_b64 v[8:11], v14 offset0:4 offset1:5
	s_waitcnt lgkmcnt(2)
	v_pk_add_f32 v[0:1], v[18:19], v[0:1]
	s_nop 0
	v_pk_add_f32 v[12:13], v[0:1], v[2:3]
	ds_read2_b64 v[0:3], v14 offset0:6 offset1:7
	s_waitcnt lgkmcnt(2)
	v_pk_add_f32 v[4:5], v[12:13], v[4:5]
	s_nop 0
	v_pk_add_f32 v[4:5], v[4:5], v[6:7]
	s_waitcnt lgkmcnt(1)
	v_pk_add_f32 v[4:5], v[4:5], v[8:9]
	s_nop 0
	v_pk_add_f32 v[4:5], v[4:5], v[10:11]
	;; [unrolled: 4-line block ×3, first 2 shown]
.LBB119_88:
	s_or_b64 exec, exec, s[0:1]
	s_mul_hi_u32 s0, s38, s3
	s_mul_i32 s40, s40, s3
	s_add_i32 s0, s0, s40
	s_mul_i32 s3, s38, s3
	s_mul_i32 s0, s0, s39
	s_mul_hi_u32 s1, s3, s39
	s_add_i32 s1, s1, s0
	s_mul_i32 s0, s3, s39
	s_lshl_b64 s[0:1], s[0:1], 3
	s_add_u32 s3, s22, s0
	s_mul_i32 s0, s2, s38
	s_addc_u32 s4, s23, s1
	s_ashr_i32 s1, s0, 31
	s_lshl_b64 s[0:1], s[0:1], 3
	s_add_u32 s6, s3, s0
	v_cmp_le_i32_e32 vcc, s24, v26
	s_addc_u32 s7, s4, s1
	s_and_b64 vcc, s[30:31], vcc
	s_cmp_lt_i32 s2, 1
	v_lshlrev_b32_e32 v74, 3, v26
	s_barrier
	s_cbranch_scc1 .LBB119_95
; %bb.89:
	s_mul_i32 s0, s26, s33
	s_ashr_i32 s1, s0, 31
	s_lshl_b64 s[0:1], s[0:1], 3
	v_mov_b32_e32 v0, s1
	v_subrev_co_u32_e64 v4, s[0:1], s0, v20
	s_ashr_i32 s25, s24, 31
	s_nop 0
	v_subb_co_u32_e64 v5, s[0:1], v21, v0, s[0:1]
	v_mov_b32_e32 v0, s29
	v_subrev_co_u32_e64 v2, s[0:1], s28, v24
	v_and_b32_e32 v6, 15, v26
	s_nop 0
	v_subb_co_u32_e64 v3, s[0:1], v25, v0, s[0:1]
	v_lshlrev_b64 v[0:1], 3, v[22:23]
	v_sub_co_u32_e64 v0, s[0:1], v2, v0
	v_mul_lo_u32 v2, v17, s20
	s_nop 0
	v_subb_co_u32_e64 v1, s[0:1], v3, v1, s[0:1]
	v_lshl_add_u32 v2, v2, 2, v26
	v_ashrrev_i32_e32 v3, 31, v2
	s_movk_i32 s0, 0xff00
	v_lshl_add_u64 v[0:1], v[2:3], 3, v[0:1]
	s_mov_b32 s1, -1
	v_lshl_add_u64 v[2:3], v[0:1], 0, s[0:1]
	v_sub_co_u32_e64 v0, s[0:1], v0, v74
	v_lshrrev_b32_e32 v10, 4, v27
	s_nop 0
	v_subbrev_co_u32_e64 v1, s[0:1], 0, v1, s[0:1]
	s_movk_i32 s0, 0xfef8
	v_lshl_add_u64 v[0:1], s[24:25], 3, v[0:1]
	s_mov_b32 s1, -1
	v_lshl_add_u64 v[0:1], v[0:1], 0, s[0:1]
	v_cndmask_b32_e32 v8, v2, v0, vcc
	v_and_b32_e32 v0, 48, v26
	v_cndmask_b32_e32 v9, v3, v1, vcc
	v_lshlrev_b32_e32 v1, 3, v0
	s_movk_i32 s0, 0x218
	v_mad_u32_u24 v77, v6, s0, v1
	v_or_b32_e32 v1, 0x78, v74
	v_mad_u32_u24 v78, v6, s0, v1
	v_lshlrev_b32_e32 v1, 5, v10
	v_mad_u32_u24 v79, v6, s0, v1
	v_mov_b32_e32 v1, 0x2180
	s_ashr_i32 s21, s20, 31
	v_lshl_add_u32 v80, v17, 5, v1
	s_movk_i32 s1, 0x860
	v_lshlrev_b32_e32 v1, 3, v10
	v_mov_b32_e32 v7, 0
	s_lshl_b32 s3, s33, 6
	v_add_u32_e32 v75, 0x2180, v74
	v_add_u32_e32 v76, 0x2380, v74
	v_cmp_gt_u32_e64 s[4:5], 64, v27
	v_mad_u32_u24 v81, v17, s1, v74
	v_mad_u32_u24 v82, v6, s0, v1
	s_lshl_b64 s[0:1], s[20:21], 3
	s_lshl_b64 s[8:9], s[20:21], 9
	;; [unrolled: 1-line block ×3, first 2 shown]
	s_mul_hi_i32 s13, s20, 24
	s_mul_i32 s12, s20, 24
	s_mul_hi_i32 s15, s20, 0x90
	s_mul_i32 s14, s20, 0x90
	s_mul_hi_i32 s23, s20, 0x98
	s_mul_i32 s22, s20, 0x98
	s_mul_hi_i32 s25, s20, 0x110
	s_mul_i32 s24, s20, 0x110
	s_mul_hi_i32 s27, s20, 0x118
	s_mul_i32 s26, s20, 0x118
	s_mul_hi_i32 s29, s20, 0x190
	s_mul_i32 s28, s20, 0x190
	s_mul_hi_i32 s31, s20, 0x198
	s_mul_i32 s30, s20, 0x198
	s_mul_hi_i32 s35, s20, 0x188
	s_mul_i32 s34, s20, 0x188
	s_mul_hi_i32 s37, s20, 0x180
	s_mul_i32 s36, s20, 0x180
	s_mul_hi_i32 s39, s20, 0x108
	s_mul_i32 s38, s20, 0x108
	s_lshl_b64 s[40:41], s[20:21], 8
	s_mul_hi_i32 s43, s20, 0x88
	s_mul_i32 s42, s20, 0x88
	s_lshl_b64 s[20:21], s[20:21], 7
	v_or_b32_e32 v6, v0, v6
	s_mov_b32 s44, 0
	s_branch .LBB119_91
.LBB119_90:                             ;   in Loop: Header=BB119_91 Depth=1
	s_or_b64 exec, exec, s[46:47]
	v_mul_f32_e32 v83, v23, v21
	v_fma_f32 v83, v22, v20, -v83
	v_mul_f32_e32 v20, v23, v20
	v_mul_f32_e32 v23, v29, v15
	v_add_f32_e32 v18, v18, v83
	v_fma_f32 v23, v28, v14, -v23
	v_add_f32_e32 v18, v18, v23
	v_mul_f32_e32 v23, v27, v13
	v_mul_f32_e32 v14, v29, v14
	v_fma_f32 v23, v26, v12, -v23
	v_fmac_f32_e32 v20, v22, v21
	v_mul_f32_e32 v12, v27, v12
	v_add_f32_e32 v18, v18, v23
	v_mul_f32_e32 v23, v25, v11
	v_add_f32_e32 v19, v19, v20
	v_fmac_f32_e32 v14, v28, v15
	v_fma_f32 v23, v24, v10, -v23
	v_mul_f32_e32 v10, v25, v10
	v_add_f32_e32 v14, v19, v14
	v_fmac_f32_e32 v12, v26, v13
	v_add_f32_e32 v12, v14, v12
	v_fmac_f32_e32 v10, v24, v11
	v_add_f32_e32 v11, v12, v10
	v_mul_f32_e32 v10, v39, v37
	v_add_f32_e32 v18, v18, v23
	v_fma_f32 v10, v38, v36, -v10
	v_mul_f32_e32 v19, v39, v36
	v_mul_f32_e32 v12, v53, v35
	v_add_f32_e32 v10, v18, v10
	v_fma_f32 v12, v52, v34, -v12
	v_mul_f32_e32 v18, v53, v34
	v_fmac_f32_e32 v19, v38, v37
	v_add_f32_e32 v10, v10, v12
	v_mul_f32_e32 v12, v47, v31
	v_mul_f32_e32 v13, v47, v30
	v_add_f32_e32 v11, v11, v19
	v_fmac_f32_e32 v18, v52, v35
	v_fma_f32 v12, v46, v30, -v12
	v_add_f32_e32 v11, v11, v18
	v_fmac_f32_e32 v13, v46, v31
	v_mul_f32_e32 v14, v49, v33
	v_mul_f32_e32 v15, v49, v32
	v_pk_add_f32 v[10:11], v[10:11], v[12:13]
	v_mov_b32_e32 v12, v51
	v_fma_f32 v14, v48, v32, -v14
	v_fmac_f32_e32 v15, v48, v33
	v_pk_mul_f32 v[12:13], v[54:55], v[12:13] op_sel_hi:[1,0]
	v_pk_add_f32 v[10:11], v[10:11], v[14:15]
	v_pk_fma_f32 v[14:15], v[54:55], v[50:51], v[12:13] op_sel:[0,0,1] op_sel_hi:[1,1,0] neg_lo:[0,0,1] neg_hi:[0,0,1]
	v_pk_fma_f32 v[12:13], v[54:55], v[50:51], v[12:13] op_sel:[0,0,1] op_sel_hi:[1,0,0]
	s_add_i32 s2, s2, -1
	v_mov_b32_e32 v12, v45
	v_mov_b32_e32 v15, v13
	v_pk_mul_f32 v[12:13], v[0:1], v[12:13] op_sel_hi:[1,0]
	v_pk_add_f32 v[10:11], v[10:11], v[14:15]
	v_pk_fma_f32 v[14:15], v[0:1], v[44:45], v[12:13] op_sel:[0,0,1] op_sel_hi:[1,1,0] neg_lo:[0,0,1] neg_hi:[0,0,1]
	v_pk_fma_f32 v[0:1], v[0:1], v[44:45], v[12:13] op_sel:[0,0,1] op_sel_hi:[1,0,0]
	s_add_i32 s44, s44, s3
	v_mov_b32_e32 v15, v1
	v_pk_add_f32 v[0:1], v[10:11], v[14:15]
	v_mov_b32_e32 v10, v43
	v_pk_mul_f32 v[10:11], v[2:3], v[10:11] op_sel_hi:[1,0]
	v_lshl_add_u64 v[8:9], v[8:9], 0, s[8:9]
	v_pk_fma_f32 v[12:13], v[2:3], v[42:43], v[10:11] op_sel:[0,0,1] op_sel_hi:[1,1,0] neg_lo:[0,0,1] neg_hi:[0,0,1]
	v_pk_fma_f32 v[2:3], v[2:3], v[42:43], v[10:11] op_sel:[0,0,1] op_sel_hi:[1,0,0]
	s_cmp_eq_u32 s2, 0
	v_mov_b32_e32 v2, v41
	v_mov_b32_e32 v13, v3
	v_pk_mul_f32 v[2:3], v[58:59], v[2:3] op_sel_hi:[1,0]
	v_pk_add_f32 v[0:1], v[0:1], v[12:13]
	v_pk_fma_f32 v[10:11], v[58:59], v[40:41], v[2:3] op_sel:[0,0,1] op_sel_hi:[1,1,0] neg_lo:[0,0,1] neg_hi:[0,0,1]
	v_pk_fma_f32 v[2:3], v[58:59], v[40:41], v[2:3] op_sel:[0,0,1] op_sel_hi:[1,0,0]
	v_add_u32_e32 v6, 64, v6
	v_mov_b32_e32 v2, v65
	v_mov_b32_e32 v11, v3
	v_pk_mul_f32 v[2:3], v[66:67], v[2:3] op_sel_hi:[1,0]
	v_pk_add_f32 v[0:1], v[0:1], v[10:11]
	v_pk_fma_f32 v[10:11], v[66:67], v[64:65], v[2:3] op_sel:[0,0,1] op_sel_hi:[1,1,0] neg_lo:[0,0,1] neg_hi:[0,0,1]
	v_pk_fma_f32 v[2:3], v[66:67], v[64:65], v[2:3] op_sel:[0,0,1] op_sel_hi:[1,0,0]
	s_nop 0
	v_mov_b32_e32 v2, v63
	v_mov_b32_e32 v11, v3
	v_pk_mul_f32 v[2:3], v[72:73], v[2:3] op_sel_hi:[1,0]
	v_pk_add_f32 v[0:1], v[0:1], v[10:11]
	v_pk_fma_f32 v[12:13], v[72:73], v[62:63], v[2:3] op_sel:[0,0,1] op_sel_hi:[1,1,0] neg_lo:[0,0,1] neg_hi:[0,0,1]
	v_pk_fma_f32 v[2:3], v[72:73], v[62:63], v[2:3] op_sel:[0,0,1] op_sel_hi:[1,0,0]
	s_barrier
	v_mov_b32_e32 v2, v61
	v_mov_b32_e32 v13, v3
	v_pk_mul_f32 v[2:3], v[70:71], v[2:3] op_sel_hi:[1,0]
	v_pk_add_f32 v[0:1], v[0:1], v[12:13]
	v_pk_fma_f32 v[14:15], v[70:71], v[60:61], v[2:3] op_sel:[0,0,1] op_sel_hi:[1,1,0] neg_lo:[0,0,1] neg_hi:[0,0,1]
	v_pk_fma_f32 v[2:3], v[70:71], v[60:61], v[2:3] op_sel:[0,0,1] op_sel_hi:[1,0,0]
	s_nop 0
	v_mov_b32_e32 v2, v57
	v_mov_b32_e32 v15, v3
	v_pk_mul_f32 v[2:3], v[68:69], v[2:3] op_sel_hi:[1,0]
	v_pk_add_f32 v[0:1], v[0:1], v[14:15]
	v_pk_fma_f32 v[18:19], v[68:69], v[56:57], v[2:3] op_sel:[0,0,1] op_sel_hi:[1,1,0] neg_lo:[0,0,1] neg_hi:[0,0,1]
	v_pk_fma_f32 v[2:3], v[68:69], v[56:57], v[2:3] op_sel:[0,0,1] op_sel_hi:[1,0,0]
	s_nop 0
	v_mov_b32_e32 v19, v3
	v_pk_add_f32 v[18:19], v[0:1], v[18:19]
	s_cbranch_scc1 .LBB119_95
.LBB119_91:                             ; =>This Inner Loop Header: Depth=1
	s_and_saveexec_b64 s[46:47], s[18:19]
	s_cbranch_execz .LBB119_93
; %bb.92:                               ;   in Loop: Header=BB119_91 Depth=1
	s_ashr_i32 s45, s44, 31
	v_lshl_add_u64 v[0:1], s[44:45], 3, v[4:5]
	global_load_dwordx2 v[0:1], v[0:1], off
	s_waitcnt vmcnt(0)
	ds_write_b64 v75, v[0:1]
.LBB119_93:                             ;   in Loop: Header=BB119_91 Depth=1
	s_or_b64 exec, exec, s[46:47]
	v_lshl_add_u64 v[0:1], v[8:9], 0, s[0:1]
	s_waitcnt lgkmcnt(0)
	s_barrier
	global_load_dwordx2 v[20:21], v[8:9], off
	global_load_dwordx2 v[14:15], v[0:1], off
	v_lshl_add_u64 v[0:1], v[8:9], 0, s[10:11]
	global_load_dwordx2 v[12:13], v[0:1], off
	v_lshl_add_u64 v[0:1], v[8:9], 0, s[12:13]
	global_load_dwordx2 v[10:11], v[0:1], off
	ds_read_b64 v[0:1], v76
	ds_read_b64 v[22:23], v80
	v_lshl_add_u64 v[2:3], v[8:9], 0, s[20:21]
	v_lshl_add_u64 v[56:57], v[8:9], 0, s[36:37]
	s_waitcnt vmcnt(3) lgkmcnt(1)
	v_mul_f32_e32 v24, v1, v21
	v_mul_f32_e32 v25, v1, v20
	v_fma_f32 v24, v0, v20, -v24
	v_fmac_f32_e32 v25, v0, v21
	s_waitcnt vmcnt(2)
	v_mul_f32_e32 v26, v1, v15
	v_mul_f32_e32 v27, v1, v14
	s_waitcnt vmcnt(1)
	v_mul_f32_e32 v28, v1, v13
	v_mul_f32_e32 v31, v1, v12
	s_waitcnt vmcnt(0)
	v_mul_f32_e32 v29, v1, v11
	ds_write_b64 v81, v[24:25]
	v_fma_f32 v26, v0, v14, -v26
	v_fmac_f32_e32 v27, v0, v15
	v_mul_f32_e32 v33, v0, v11
	v_fma_f32 v30, v0, v12, -v28
	v_fmac_f32_e32 v31, v0, v13
	v_fma_f32 v32, v0, v10, -v29
	ds_read_b64 v[28:29], v80 offset:8
	ds_write_b64 v81, v[26:27] offset:536
	v_fmac_f32_e32 v33, v1, v10
	ds_read_b64 v[26:27], v80 offset:16
	ds_write_b64 v81, v[30:31] offset:1072
	ds_read_b64 v[24:25], v80 offset:24
	ds_write_b64 v81, v[32:33] offset:1608
	s_waitcnt lgkmcnt(0)
	s_barrier
	ds_read2_b64 v[66:69], v79 offset1:1
	ds_read2_b64 v[70:73], v79 offset0:2 offset1:3
	s_waitcnt lgkmcnt(0)
	s_barrier
	global_load_dwordx2 v[36:37], v[2:3], off
	v_lshl_add_u64 v[0:1], v[8:9], 0, s[42:43]
	global_load_dwordx2 v[34:35], v[0:1], off
	v_lshl_add_u64 v[0:1], v[8:9], 0, s[14:15]
	;; [unrolled: 2-line block ×3, first 2 shown]
	global_load_dwordx2 v[32:33], v[0:1], off
	ds_read_b64 v[0:1], v76
	ds_read_b64 v[38:39], v80 offset:128
	v_lshl_add_u64 v[2:3], v[8:9], 0, s[40:41]
	v_pk_add_f32 v[66:67], v[66:67], 0 op_sel_hi:[1,0]
	s_waitcnt vmcnt(3) lgkmcnt(1)
	v_mul_f32_e32 v40, v1, v37
	v_mul_f32_e32 v41, v1, v36
	s_waitcnt vmcnt(2)
	v_mul_f32_e32 v42, v1, v35
	v_mul_f32_e32 v43, v1, v34
	v_fma_f32 v40, v0, v36, -v40
	v_fmac_f32_e32 v41, v0, v37
	s_waitcnt vmcnt(1)
	v_mul_f32_e32 v44, v1, v31
	v_mul_f32_e32 v45, v1, v30
	v_fma_f32 v42, v0, v34, -v42
	v_fmac_f32_e32 v43, v0, v35
	ds_write_b64 v81, v[40:41]
	s_waitcnt vmcnt(0)
	v_mul_f32_e32 v46, v1, v33
	v_mul_f32_e32 v51, v0, v33
	v_fma_f32 v44, v0, v30, -v44
	v_fmac_f32_e32 v45, v0, v31
	ds_read_b64 v[52:53], v80 offset:136
	ds_write_b64 v81, v[42:43] offset:536
	v_fma_f32 v50, v0, v32, -v46
	v_fmac_f32_e32 v51, v1, v32
	ds_read_b64 v[46:47], v80 offset:144
	ds_write_b64 v81, v[44:45] offset:1072
	v_lshl_add_u64 v[0:1], v[8:9], 0, s[38:39]
	ds_read_b64 v[48:49], v80 offset:152
	ds_write_b64 v81, v[50:51] offset:1608
	s_waitcnt lgkmcnt(0)
	s_barrier
	ds_read2_b64 v[84:87], v79 offset1:1
	ds_read2_b64 v[88:91], v79 offset0:2 offset1:3
	s_waitcnt lgkmcnt(0)
	s_barrier
	global_load_dwordx2 v[50:51], v[2:3], off
	global_load_dwordx2 v[44:45], v[0:1], off
	v_lshl_add_u64 v[0:1], v[8:9], 0, s[24:25]
	global_load_dwordx2 v[42:43], v[0:1], off
	v_lshl_add_u64 v[0:1], v[8:9], 0, s[26:27]
	global_load_dwordx2 v[40:41], v[0:1], off
	ds_read_b64 v[0:1], v76
	ds_read_b64 v[54:55], v80 offset:256
	v_pk_add_f32 v[66:67], v[66:67], v[68:69]
	s_waitcnt vmcnt(3) lgkmcnt(1)
	v_mul_f32_e32 v2, v1, v51
	v_mul_f32_e32 v3, v1, v50
	s_waitcnt vmcnt(2)
	v_mul_f32_e32 v58, v1, v45
	v_mul_f32_e32 v59, v1, v44
	s_waitcnt vmcnt(1)
	v_mul_f32_e32 v60, v1, v43
	v_mul_f32_e32 v61, v1, v42
	s_waitcnt vmcnt(0)
	v_mul_f32_e32 v62, v1, v41
	v_mul_f32_e32 v63, v0, v41
	v_fma_f32 v2, v0, v50, -v2
	v_fmac_f32_e32 v3, v0, v51
	v_fma_f32 v58, v0, v44, -v58
	v_fmac_f32_e32 v59, v0, v45
	;; [unrolled: 2-line block ×4, first 2 shown]
	ds_write2_b64 v81, v[2:3], v[58:59] offset1:67
	ds_write2_b64 v81, v[60:61], v[62:63] offset0:134 offset1:201
	ds_read2_b64 v[0:3], v80 offset0:33 offset1:34
	ds_read_b64 v[58:59], v80 offset:280
	s_waitcnt lgkmcnt(0)
	s_barrier
	ds_read2_b64 v[92:95], v79 offset1:1
	ds_read2_b64 v[96:99], v79 offset0:2 offset1:3
	s_waitcnt lgkmcnt(0)
	s_barrier
	global_load_dwordx2 v[64:65], v[56:57], off
	v_lshl_add_u64 v[56:57], v[8:9], 0, s[34:35]
	global_load_dwordx2 v[62:63], v[56:57], off
	v_lshl_add_u64 v[56:57], v[8:9], 0, s[28:29]
	;; [unrolled: 2-line block ×3, first 2 shown]
	global_load_dwordx2 v[56:57], v[56:57], off
	v_pk_add_f32 v[66:67], v[66:67], v[70:71]
	v_pk_add_f32 v[70:71], v[92:93], 0 op_sel_hi:[1,0]
	v_pk_add_f32 v[100:101], v[66:67], v[72:73]
	v_pk_add_f32 v[66:67], v[84:85], 0 op_sel_hi:[1,0]
	v_pk_add_f32 v[70:71], v[70:71], v[94:95]
	v_pk_add_f32 v[66:67], v[66:67], v[86:87]
	;; [unrolled: 1-line block ×6, first 2 shown]
	ds_read_b64 v[68:69], v76
	ds_read_b64 v[66:67], v80 offset:384
	s_waitcnt vmcnt(3) lgkmcnt(1)
	v_mul_f32_e32 v70, v69, v65
	v_mul_f32_e32 v71, v69, v64
	s_waitcnt vmcnt(2)
	v_mul_f32_e32 v72, v69, v63
	v_mul_f32_e32 v85, v69, v62
	v_fma_f32 v70, v68, v64, -v70
	v_fmac_f32_e32 v71, v68, v65
	s_waitcnt vmcnt(1)
	v_mul_f32_e32 v73, v69, v61
	v_mul_f32_e32 v87, v69, v60
	v_fma_f32 v84, v68, v62, -v72
	v_fmac_f32_e32 v85, v68, v63
	ds_write_b64 v81, v[70:71]
	s_waitcnt vmcnt(0)
	v_mul_f32_e32 v83, v69, v57
	v_mul_f32_e32 v89, v68, v57
	v_fma_f32 v86, v68, v60, -v73
	v_fmac_f32_e32 v87, v68, v61
	ds_read_b64 v[72:73], v80 offset:392
	ds_write_b64 v81, v[84:85] offset:536
	v_fma_f32 v88, v68, v56, -v83
	v_fmac_f32_e32 v89, v69, v56
	ds_read_b64 v[70:71], v80 offset:400
	ds_write_b64 v81, v[86:87] offset:1072
	ds_read_b64 v[68:69], v80 offset:408
	ds_write_b64 v81, v[88:89] offset:1608
	s_waitcnt lgkmcnt(0)
	s_barrier
	ds_read2_b64 v[84:87], v79 offset1:1
	ds_read2_b64 v[88:91], v79 offset0:2 offset1:3
	s_waitcnt lgkmcnt(0)
	s_barrier
	v_pk_add_f32 v[84:85], v[84:85], 0 op_sel_hi:[1,0]
	ds_write2_b64 v82, v[100:101], v[102:103] offset1:16
	v_pk_add_f32 v[84:85], v[84:85], v[86:87]
	s_nop 0
	v_pk_add_f32 v[84:85], v[84:85], v[88:89]
	s_nop 0
	v_pk_add_f32 v[84:85], v[84:85], v[90:91]
	ds_write2_b64 v82, v[92:93], v[84:85] offset0:32 offset1:48
	s_waitcnt lgkmcnt(0)
	s_barrier
	s_and_saveexec_b64 s[46:47], s[4:5]
	s_cbranch_execz .LBB119_90
; %bb.94:                               ;   in Loop: Header=BB119_91 Depth=1
	ds_read_b64 v[92:93], v77
	ds_read2_b64 v[84:87], v77 offset0:1 offset1:2
	ds_read2_b64 v[88:91], v77 offset0:3 offset1:4
	v_lshl_add_u64 v[96:97], v[6:7], 3, s[6:7]
	s_waitcnt lgkmcnt(1)
	v_add_f32_e32 v83, v84, v92
	v_add_f32_e32 v84, v85, v93
	;; [unrolled: 1-line block ×4, first 2 shown]
	ds_read2_b64 v[84:87], v77 offset0:5 offset1:6
	s_waitcnt lgkmcnt(1)
	v_add_f32_e32 v83, v83, v88
	v_add_f32_e32 v88, v92, v89
	;; [unrolled: 1-line block ×4, first 2 shown]
	ds_read2_b64 v[88:91], v77 offset0:7 offset1:8
	s_waitcnt lgkmcnt(1)
	v_pk_add_f32 v[84:85], v[92:93], v[84:85]
	ds_read2_b64 v[92:95], v77 offset0:9 offset1:10
	v_pk_add_f32 v[84:85], v[84:85], v[86:87]
	s_waitcnt lgkmcnt(1)
	v_pk_add_f32 v[84:85], v[84:85], v[88:89]
	s_nop 0
	v_pk_add_f32 v[88:89], v[84:85], v[90:91]
	ds_read2_b64 v[84:87], v77 offset0:11 offset1:12
	s_waitcnt lgkmcnt(1)
	v_pk_add_f32 v[92:93], v[88:89], v[92:93]
	ds_read2_b64 v[88:91], v77 offset0:13 offset1:14
	v_pk_add_f32 v[92:93], v[92:93], v[94:95]
	ds_read_b64 v[94:95], v78
	s_waitcnt lgkmcnt(2)
	v_pk_add_f32 v[84:85], v[92:93], v[84:85]
	s_nop 0
	v_pk_add_f32 v[84:85], v[84:85], v[86:87]
	s_waitcnt lgkmcnt(1)
	v_pk_add_f32 v[84:85], v[84:85], v[88:89]
	s_nop 0
	v_pk_add_f32 v[84:85], v[84:85], v[90:91]
	s_waitcnt lgkmcnt(0)
	v_pk_add_f32 v[84:85], v[84:85], v[94:95]
	global_store_dwordx2 v[96:97], v[84:85], off
	s_branch .LBB119_90
.LBB119_95:
	s_movk_i32 s0, 0x218
	v_mad_u32_u24 v0, v17, s0, v74
	s_or_b64 s[0:1], s[16:17], vcc
	s_xor_b64 s[0:1], s[0:1], -1
	ds_write_b64 v0, v[18:19]
	s_waitcnt lgkmcnt(0)
	s_barrier
	s_and_saveexec_b64 s[2:3], s[0:1]
	s_cbranch_execz .LBB119_97
; %bb.96:
	ds_read2_b64 v[0:3], v74 offset1:67
	ds_read2_b64 v[4:7], v74 offset0:134 offset1:201
	v_ashrrev_i32_e32 v17, 31, v16
	v_lshl_add_u64 v[8:9], v[16:17], 3, s[6:7]
	s_waitcnt lgkmcnt(1)
	v_pk_add_f32 v[0:1], v[2:3], v[0:1]
	s_waitcnt lgkmcnt(0)
	v_pk_add_f32 v[0:1], v[0:1], v[4:5]
	s_nop 0
	v_pk_add_f32 v[0:1], v[0:1], v[6:7]
	global_store_dwordx2 v[8:9], v[0:1], off
.LBB119_97:
	s_endpgm
	.section	.rodata,"a",@progbits
	.p2align	6, 0x0
	.amdhsa_kernel _ZL26rocblas_hemvn_kernel_lowerILb0ELi64ELi4ELi33ELi32ELi16EiPK19rocblas_complex_numIfES3_PS1_EviT6_lT7_lT5_lS6_lS7_lS5_lT8_i
		.amdhsa_group_segment_fixed_size 9600
		.amdhsa_private_segment_fixed_size 0
		.amdhsa_kernarg_size 376
		.amdhsa_user_sgpr_count 2
		.amdhsa_user_sgpr_dispatch_ptr 0
		.amdhsa_user_sgpr_queue_ptr 0
		.amdhsa_user_sgpr_kernarg_segment_ptr 1
		.amdhsa_user_sgpr_dispatch_id 0
		.amdhsa_user_sgpr_kernarg_preload_length 0
		.amdhsa_user_sgpr_kernarg_preload_offset 0
		.amdhsa_user_sgpr_private_segment_size 0
		.amdhsa_uses_dynamic_stack 0
		.amdhsa_enable_private_segment 0
		.amdhsa_system_sgpr_workgroup_id_x 1
		.amdhsa_system_sgpr_workgroup_id_y 0
		.amdhsa_system_sgpr_workgroup_id_z 1
		.amdhsa_system_sgpr_workgroup_info 0
		.amdhsa_system_vgpr_workitem_id 1
		.amdhsa_next_free_vgpr 104
		.amdhsa_next_free_sgpr 48
		.amdhsa_accum_offset 104
		.amdhsa_reserve_vcc 1
		.amdhsa_float_round_mode_32 0
		.amdhsa_float_round_mode_16_64 0
		.amdhsa_float_denorm_mode_32 3
		.amdhsa_float_denorm_mode_16_64 3
		.amdhsa_dx10_clamp 1
		.amdhsa_ieee_mode 1
		.amdhsa_fp16_overflow 0
		.amdhsa_tg_split 0
		.amdhsa_exception_fp_ieee_invalid_op 0
		.amdhsa_exception_fp_denorm_src 0
		.amdhsa_exception_fp_ieee_div_zero 0
		.amdhsa_exception_fp_ieee_overflow 0
		.amdhsa_exception_fp_ieee_underflow 0
		.amdhsa_exception_fp_ieee_inexact 0
		.amdhsa_exception_int_div_zero 0
	.end_amdhsa_kernel
	.section	.text._ZL26rocblas_hemvn_kernel_lowerILb0ELi64ELi4ELi33ELi32ELi16EiPK19rocblas_complex_numIfES3_PS1_EviT6_lT7_lT5_lS6_lS7_lS5_lT8_i,"axG",@progbits,_ZL26rocblas_hemvn_kernel_lowerILb0ELi64ELi4ELi33ELi32ELi16EiPK19rocblas_complex_numIfES3_PS1_EviT6_lT7_lT5_lS6_lS7_lS5_lT8_i,comdat
.Lfunc_end119:
	.size	_ZL26rocblas_hemvn_kernel_lowerILb0ELi64ELi4ELi33ELi32ELi16EiPK19rocblas_complex_numIfES3_PS1_EviT6_lT7_lT5_lS6_lS7_lS5_lT8_i, .Lfunc_end119-_ZL26rocblas_hemvn_kernel_lowerILb0ELi64ELi4ELi33ELi32ELi16EiPK19rocblas_complex_numIfES3_PS1_EviT6_lT7_lT5_lS6_lS7_lS5_lT8_i
                                        ; -- End function
	.section	.AMDGPU.csdata,"",@progbits
; Kernel info:
; codeLenInByte = 7412
; NumSgprs: 54
; NumVgprs: 104
; NumAgprs: 0
; TotalNumVgprs: 104
; ScratchSize: 0
; MemoryBound: 1
; FloatMode: 240
; IeeeMode: 1
; LDSByteSize: 9600 bytes/workgroup (compile time only)
; SGPRBlocks: 6
; VGPRBlocks: 12
; NumSGPRsForWavesPerEU: 54
; NumVGPRsForWavesPerEU: 104
; AccumOffset: 104
; Occupancy: 4
; WaveLimiterHint : 1
; COMPUTE_PGM_RSRC2:SCRATCH_EN: 0
; COMPUTE_PGM_RSRC2:USER_SGPR: 2
; COMPUTE_PGM_RSRC2:TRAP_HANDLER: 0
; COMPUTE_PGM_RSRC2:TGID_X_EN: 1
; COMPUTE_PGM_RSRC2:TGID_Y_EN: 0
; COMPUTE_PGM_RSRC2:TGID_Z_EN: 1
; COMPUTE_PGM_RSRC2:TIDIG_COMP_CNT: 1
; COMPUTE_PGM_RSRC3_GFX90A:ACCUM_OFFSET: 25
; COMPUTE_PGM_RSRC3_GFX90A:TG_SPLIT: 0
	.section	.text._ZL26rocblas_hemvn_kernel_lowerILb0ELi64ELi4ELi33ELi32ELi16El19rocblas_complex_numIfEPKS1_PS1_EviT6_lT7_lT5_lS6_lS7_lS5_lT8_i,"axG",@progbits,_ZL26rocblas_hemvn_kernel_lowerILb0ELi64ELi4ELi33ELi32ELi16El19rocblas_complex_numIfEPKS1_PS1_EviT6_lT7_lT5_lS6_lS7_lS5_lT8_i,comdat
	.globl	_ZL26rocblas_hemvn_kernel_lowerILb0ELi64ELi4ELi33ELi32ELi16El19rocblas_complex_numIfEPKS1_PS1_EviT6_lT7_lT5_lS6_lS7_lS5_lT8_i ; -- Begin function _ZL26rocblas_hemvn_kernel_lowerILb0ELi64ELi4ELi33ELi32ELi16El19rocblas_complex_numIfEPKS1_PS1_EviT6_lT7_lT5_lS6_lS7_lS5_lT8_i
	.p2align	8
	.type	_ZL26rocblas_hemvn_kernel_lowerILb0ELi64ELi4ELi33ELi32ELi16El19rocblas_complex_numIfEPKS1_PS1_EviT6_lT7_lT5_lS6_lS7_lS5_lT8_i,@function
_ZL26rocblas_hemvn_kernel_lowerILb0ELi64ELi4ELi33ELi32ELi16El19rocblas_complex_numIfEPKS1_PS1_EviT6_lT7_lT5_lS6_lS7_lS5_lT8_i: ; @_ZL26rocblas_hemvn_kernel_lowerILb0ELi64ELi4ELi33ELi32ELi16El19rocblas_complex_numIfEPKS1_PS1_EviT6_lT7_lT5_lS6_lS7_lS5_lT8_i
; %bb.0:
	s_load_dwordx2 s[6:7], s[0:1], 0x84
	s_add_u32 s4, s0, 0x78
	s_addc_u32 s5, s1, 0
	s_waitcnt lgkmcnt(0)
	s_lshr_b32 s8, s6, 16
	s_and_b32 s6, s6, 0xffff
	s_and_b32 s7, s7, 0xffff
	s_mul_i32 s6, s8, s6
	s_mul_i32 s6, s6, s7
	s_cmpk_lg_i32 s6, 0x100
	s_cbranch_scc1 .LBB120_97
; %bb.1:
	s_load_dwordx2 s[6:7], s[0:1], 0x4
	s_mov_b64 s[8:9], -1
	s_waitcnt lgkmcnt(0)
	s_or_b32 s6, s6, s7
	s_bitset0_b32 s6, 31
	s_cmp_lg_u32 s6, 0
	s_cselect_b64 s[6:7], -1, 0
	s_and_b64 vcc, exec, s[6:7]
	s_cbranch_vccnz .LBB120_3
; %bb.2:
	s_load_dwordx2 s[8:9], s[0:1], 0x58
	s_waitcnt lgkmcnt(0)
	v_cmp_neq_f32_e64 s[10:11], s8, 1.0
	v_cmp_neq_f32_e64 s[8:9], s9, 0
	s_or_b64 s[8:9], s[10:11], s[8:9]
.LBB120_3:
	s_andn2_b64 vcc, exec, s[8:9]
	s_cbranch_vccnz .LBB120_97
; %bb.4:
	s_andn2_b64 vcc, exec, s[6:7]
	s_cbranch_vccnz .LBB120_97
; %bb.5:
	s_load_dwordx16 s[36:51], s[0:1], 0x18
	s_load_dword s52, s[4:5], 0x0
	s_load_dword s33, s[0:1], 0x0
	v_and_b32_e32 v26, 0x3ff, v0
	v_bfe_u32 v76, v0, 10, 10
	s_waitcnt lgkmcnt(0)
	s_mul_i32 s5, s3, s51
	s_mul_hi_u32 s6, s3, s50
	s_mul_i32 s4, s3, s50
	s_add_i32 s5, s6, s5
	s_lshl_b64 s[4:5], s[4:5], 3
	s_add_u32 s6, s44, s4
	s_addc_u32 s7, s45, s5
	s_lshl_b64 s[4:5], s[46:47], 3
	s_add_u32 s4, s6, s4
	s_addc_u32 s5, s7, s5
	s_ashr_i32 s44, s33, 31
	s_lshr_b32 s7, s44, 26
	s_add_i32 s7, s33, s7
	s_lshl_b32 s26, s2, 6
	s_andn2_b32 s7, s7, 63
	s_add_i32 s6, s52, -1
	s_sub_i32 s7, s33, s7
	v_add_u32_e32 v16, s26, v26
	s_cmp_eq_u32 s2, s6
	v_ashrrev_i32_e32 v17, 31, v16
	s_cselect_b32 s24, s7, 0
	v_mul_lo_u32 v2, v17, s48
	v_mul_lo_u32 v3, v16, s49
	v_mad_u64_u32 v[0:1], s[6:7], v16, s48, 0
	v_add3_u32 v1, v1, v3, v2
	v_lshl_add_u64 v[20:21], v[0:1], 3, s[4:5]
	v_cmp_ne_u32_e64 s[4:5], 0, v76
	v_cmp_eq_u32_e64 s[18:19], 0, v76
	s_and_saveexec_b64 s[6:7], s[18:19]
	s_cbranch_execz .LBB120_10
; %bb.6:
	s_cmp_lg_u32 s24, 0
	s_cselect_b64 s[8:9], -1, 0
	v_cmp_le_i32_e32 vcc, s24, v26
	v_mov_b32_e32 v0, 0x2380
	s_and_b64 s[8:9], s[8:9], vcc
	v_lshl_add_u32 v0, v26, 3, v0
	s_and_saveexec_b64 s[10:11], s[8:9]
	s_xor_b64 s[8:9], exec, s[10:11]
	s_cbranch_execz .LBB120_8
; %bb.7:
	v_mov_b32_e32 v2, 0
	v_mov_b32_e32 v3, v2
	ds_write_b64 v0, v[2:3]
                                        ; implicit-def: $vgpr0
.LBB120_8:
	s_andn2_saveexec_b64 s[8:9], s[8:9]
	s_cbranch_execz .LBB120_10
; %bb.9:
	global_load_dwordx2 v[2:3], v[20:21], off
	s_waitcnt vmcnt(0)
	ds_write_b64 v0, v[2:3]
.LBB120_10:
	s_or_b64 exec, exec, s[6:7]
	s_mul_i32 s6, s3, s43
	s_mul_hi_u32 s7, s3, s42
	s_add_i32 s7, s7, s6
	s_mul_i32 s6, s3, s42
	s_lshl_b64 s[6:7], s[6:7], 3
	s_add_u32 s8, s36, s6
	s_addc_u32 s9, s37, s7
	s_lshl_b64 s[6:7], s[38:39], 3
	s_add_u32 s8, s8, s6
	s_addc_u32 s9, s9, s7
	s_ashr_i32 s27, s26, 31
	v_lshl_add_u32 v27, v76, 6, v26
	s_lshl_b64 s[6:7], s[26:27], 3
	v_and_b32_e32 v0, 31, v26
	v_lshrrev_b32_e32 v10, 5, v27
	s_add_u32 s8, s8, s6
	v_mov_b32_e32 v1, 0
	s_addc_u32 s9, s9, s7
	v_mad_u64_u32 v[22:23], s[6:7], v10, s40, v[0:1]
	v_mov_b32_e32 v2, v23
	v_mad_u64_u32 v[2:3], s[6:7], v10, s41, v[2:3]
	s_mul_i32 s6, s26, s41
	s_mul_hi_u32 s7, s26, s40
	s_add_i32 s6, s7, s6
	s_mul_i32 s7, s27, s40
	s_add_i32 s7, s6, s7
	s_mul_i32 s6, s26, s40
	s_lshl_b64 s[28:29], s[6:7], 3
	s_add_u32 s6, s28, s8
	s_addc_u32 s7, s29, s9
	s_cmp_lg_u32 s24, 0
	v_mov_b32_e32 v23, v2
	s_cselect_b64 s[30:31], -1, 0
	s_cmp_eq_u32 s24, 0
	v_lshl_add_u64 v[2:3], v[22:23], 3, s[6:7]
	s_cselect_b64 s[20:21], -1, 0
	s_and_b64 vcc, exec, s[30:31]
	s_cbranch_vccnz .LBB120_12
; %bb.11:
	s_lshl_b64 s[6:7], s[40:41], 6
	v_lshl_add_u64 v[4:5], v[2:3], 0, s[6:7]
	v_mov_b32_e32 v1, 0xc0
	global_load_dwordx2 v[6:7], v[4:5], off
	global_load_dwordx2 v[12:13], v[2:3], off
	v_lshl_add_u64 v[4:5], v[4:5], 0, s[6:7]
	v_mad_u64_u32 v[8:9], s[6:7], s40, v1, v[2:3]
	s_mul_i32 s6, s41, 0xc0
	global_load_dwordx2 v[4:5], v[4:5], off
	v_add_u32_e32 v9, s6, v9
	global_load_dwordx2 v[8:9], v[8:9], off
	v_mul_u32_u24_e32 v1, 33, v10
	v_add_lshl_u32 v1, v1, v0, 3
	s_waitcnt vmcnt(2)
	ds_write_b64 v1, v[12:13]
	ds_write_b64 v1, v[6:7] offset:2112
	s_waitcnt vmcnt(1)
	ds_write_b64 v1, v[4:5] offset:4224
	s_waitcnt vmcnt(0)
	ds_write_b64 v1, v[8:9] offset:6336
	s_cbranch_execz .LBB120_13
	s_branch .LBB120_28
.LBB120_12:
.LBB120_13:
	v_lshlrev_b32_e32 v4, 3, v0
	v_sub_co_u32_e32 v6, vcc, v2, v4
	s_ashr_i32 s25, s24, 31
	s_nop 0
	v_subbrev_co_u32_e32 v7, vcc, 0, v3, vcc
	v_lshl_add_u64 v[6:7], s[24:25], 3, v[6:7]
	v_lshl_add_u64 v[6:7], v[6:7], 0, -8
	v_cmp_gt_i32_e32 vcc, s24, v0
	v_mov_b32_e32 v8, 0
	v_cmp_gt_i32_e64 s[6:7], s24, v10
	v_cndmask_b32_e32 v7, v7, v3, vcc
	v_cndmask_b32_e32 v6, v6, v2, vcc
	v_mov_b32_e32 v9, v8
	s_and_saveexec_b64 s[8:9], s[6:7]
	s_cbranch_execz .LBB120_15
; %bb.14:
	global_load_dwordx2 v[8:9], v[6:7], off
.LBB120_15:
	s_or_b64 exec, exec, s[8:9]
	v_mul_u32_u24_e32 v1, 33, v10
	v_add_u32_e32 v5, 8, v10
	v_add_lshl_u32 v1, v1, v0, 3
	v_cmp_le_i32_e64 s[6:7], s24, v5
	s_waitcnt vmcnt(0)
	ds_write_b64 v1, v[8:9]
	s_and_saveexec_b64 s[8:9], s[6:7]
	s_xor_b64 s[6:7], exec, s[8:9]
	s_cbranch_execz .LBB120_17
; %bb.16:
	v_mul_u32_u24_e32 v5, 33, v5
	v_mov_b32_e32 v8, 0
	v_add_lshl_u32 v5, v5, v0, 3
	v_mov_b32_e32 v9, v8
	ds_write_b64 v5, v[8:9]
.LBB120_17:
	s_andn2_saveexec_b64 s[6:7], s[6:7]
	s_cbranch_execz .LBB120_19
; %bb.18:
	s_lshl_b64 s[8:9], s[40:41], 6
	v_lshl_add_u64 v[8:9], v[6:7], 0, s[8:9]
	global_load_dwordx2 v[8:9], v[8:9], off
	s_waitcnt vmcnt(0)
	ds_write_b64 v1, v[8:9] offset:2112
.LBB120_19:
	s_or_b64 exec, exec, s[6:7]
	v_add_u32_e32 v5, 16, v10
	v_cmp_le_i32_e64 s[6:7], s24, v5
	s_and_saveexec_b64 s[8:9], s[6:7]
	s_xor_b64 s[6:7], exec, s[8:9]
	s_cbranch_execz .LBB120_21
; %bb.20:
	v_mov_b32_e32 v8, 0
	v_mov_b32_e32 v9, v8
	ds_write_b64 v1, v[8:9] offset:4224
.LBB120_21:
	s_andn2_saveexec_b64 s[6:7], s[6:7]
	s_cbranch_execz .LBB120_23
; %bb.22:
	s_lshl_b64 s[8:9], s[40:41], 7
	v_lshl_add_u64 v[8:9], v[6:7], 0, s[8:9]
	global_load_dwordx2 v[8:9], v[8:9], off
	s_waitcnt vmcnt(0)
	ds_write_b64 v1, v[8:9] offset:4224
.LBB120_23:
	s_or_b64 exec, exec, s[6:7]
	v_add_u32_e32 v5, 24, v10
	v_cmp_le_i32_e64 s[6:7], s24, v5
	s_and_saveexec_b64 s[8:9], s[6:7]
	s_xor_b64 s[6:7], exec, s[8:9]
	s_cbranch_execz .LBB120_25
; %bb.24:
	v_mov_b32_e32 v8, 0
	v_mov_b32_e32 v9, v8
	ds_write_b64 v1, v[8:9] offset:6336
                                        ; implicit-def: $vgpr1
.LBB120_25:
	s_andn2_saveexec_b64 s[6:7], s[6:7]
	s_cbranch_execz .LBB120_27
; %bb.26:
	v_mov_b32_e32 v5, 0xc0
	v_mad_u64_u32 v[8:9], s[8:9], s40, v5, v[6:7]
	s_mul_i32 s8, s41, 0xc0
	s_nop 0
	v_add_u32_e32 v9, s8, v9
	global_load_dwordx2 v[8:9], v[8:9], off
	s_waitcnt vmcnt(0)
	ds_write_b64 v1, v[8:9] offset:6336
.LBB120_27:
	s_or_b64 exec, exec, s[6:7]
	v_mov_b32_e32 v5, 0
	v_lshl_add_u64 v[4:5], v[6:7], 0, v[4:5]
	s_lshl_b64 s[6:7], s[24:25], 3
	v_mov_b32_e32 v1, s7
	v_subrev_co_u32_e64 v4, s[6:7], s6, v4
	s_nop 1
	v_subb_co_u32_e64 v5, s[6:7], v5, v1, s[6:7]
	v_lshl_add_u64 v[4:5], v[4:5], 0, 8
	v_cndmask_b32_e32 v3, v5, v3, vcc
	v_cndmask_b32_e32 v2, v4, v2, vcc
.LBB120_28:
	v_lshlrev_b32_e32 v4, 2, v10
	v_mul_u32_u24_e32 v28, 33, v0
	v_cmp_lt_u32_e64 s[8:9], v4, v0
	v_add_lshl_u32 v1, v4, v28, 3
	s_waitcnt lgkmcnt(0)
	s_barrier
	s_and_saveexec_b64 s[6:7], s[8:9]
	s_cbranch_execz .LBB120_30
; %bb.29:
	v_mul_u32_u24_e32 v5, 0x84, v10
	v_add_lshl_u32 v5, v5, v0, 3
	ds_read_b64 v[6:7], v5
	s_waitcnt lgkmcnt(0)
	ds_write_b64 v1, v[6:7]
.LBB120_30:
	s_or_b64 exec, exec, s[6:7]
	v_or_b32_e32 v5, 1, v4
	v_cmp_lt_u32_e64 s[10:11], v5, v0
	s_and_saveexec_b64 s[6:7], s[10:11]
	s_cbranch_execz .LBB120_32
; %bb.31:
	v_mul_u32_u24_e32 v5, 33, v5
	v_add_lshl_u32 v5, v5, v0, 3
	ds_read_b64 v[6:7], v5
	s_waitcnt lgkmcnt(0)
	ds_write_b64 v1, v[6:7] offset:8
.LBB120_32:
	s_or_b64 exec, exec, s[6:7]
	v_or_b32_e32 v5, 2, v4
	v_cmp_lt_u32_e64 s[12:13], v5, v0
	s_and_saveexec_b64 s[6:7], s[12:13]
	s_cbranch_execz .LBB120_34
; %bb.33:
	v_mul_u32_u24_e32 v5, 33, v5
	v_add_lshl_u32 v5, v5, v0, 3
	ds_read_b64 v[6:7], v5
	s_waitcnt lgkmcnt(0)
	ds_write_b64 v1, v[6:7] offset:16
.LBB120_34:
	s_or_b64 exec, exec, s[6:7]
	v_or_b32_e32 v5, 3, v4
	v_cmp_lt_u32_e64 s[14:15], v5, v0
	v_mad_u32_u24 v5, v5, 33, v0
	v_lshlrev_b32_e32 v11, 3, v5
	s_and_saveexec_b64 s[6:7], s[14:15]
	s_cbranch_execz .LBB120_36
; %bb.35:
	ds_read_b64 v[6:7], v11
	s_waitcnt lgkmcnt(0)
	ds_write_b64 v1, v[6:7] offset:24
.LBB120_36:
	s_or_b64 exec, exec, s[6:7]
	v_mul_u32_u24_e32 v5, 0x84, v10
	v_add_lshl_u32 v13, v5, v0, 3
	s_waitcnt lgkmcnt(0)
	s_barrier
	v_lshlrev_b32_e32 v14, 3, v4
	v_add_u32_e32 v12, 0xfffffdf0, v11
	ds_read_b64 v[8:9], v13
	ds_read_b128 v[4:7], v14 offset:9088
	ds_read2_b64 v[30:33], v12 offset1:33
	ds_read_b64 v[18:19], v11
	ds_read_b128 v[34:37], v14 offset:9104
	s_mov_b32 s16, 0
	s_mov_b32 s17, s16
	s_waitcnt lgkmcnt(3)
	v_pk_mul_f32 v[24:25], v[4:5], v[8:9] op_sel:[0,1]
	v_add_lshl_u32 v29, v10, v28, 3
	v_pk_fma_f32 v[38:39], v[4:5], v[8:9], v[24:25] op_sel:[0,0,1] op_sel_hi:[1,1,0] neg_lo:[0,0,1] neg_hi:[0,0,1]
	v_pk_fma_f32 v[4:5], v[4:5], v[8:9], v[24:25] op_sel:[0,0,1] op_sel_hi:[1,0,0]
	s_waitcnt lgkmcnt(2)
	v_pk_mul_f32 v[8:9], v[6:7], v[30:31] op_sel:[0,1]
	v_mov_b32_e32 v39, v5
	v_pk_fma_f32 v[24:25], v[6:7], v[30:31], v[8:9] op_sel:[0,0,1] op_sel_hi:[1,1,0] neg_lo:[0,0,1] neg_hi:[0,0,1]
	v_pk_fma_f32 v[6:7], v[6:7], v[30:31], v[8:9] op_sel:[0,0,1] op_sel_hi:[1,0,0]
	v_pk_add_f32 v[4:5], v[38:39], 0 op_sel_hi:[1,0]
	v_mov_b32_e32 v25, v7
	s_waitcnt lgkmcnt(0)
	v_pk_mul_f32 v[6:7], v[34:35], v[32:33] op_sel:[0,1]
	v_pk_add_f32 v[4:5], v[4:5], v[24:25]
	v_pk_fma_f32 v[8:9], v[34:35], v[32:33], v[6:7] op_sel:[0,0,1] op_sel_hi:[1,1,0] neg_lo:[0,0,1] neg_hi:[0,0,1]
	v_pk_fma_f32 v[6:7], v[34:35], v[32:33], v[6:7] op_sel:[0,0,1] op_sel_hi:[1,0,0]
	v_cmp_gt_u32_e64 s[6:7], 32, v27
	v_mov_b32_e32 v9, v7
	v_pk_mul_f32 v[6:7], v[36:37], v[18:19] op_sel:[0,1]
	v_pk_add_f32 v[4:5], v[4:5], v[8:9]
	v_pk_fma_f32 v[8:9], v[36:37], v[18:19], v[6:7] op_sel:[0,0,1] op_sel_hi:[1,1,0] neg_lo:[0,0,1] neg_hi:[0,0,1]
	v_pk_fma_f32 v[6:7], v[36:37], v[18:19], v[6:7] op_sel:[0,0,1] op_sel_hi:[1,0,0]
	v_mov_b64_e32 v[18:19], s[16:17]
	v_mov_b32_e32 v9, v7
	v_pk_add_f32 v[4:5], v[4:5], v[8:9]
	s_barrier
	ds_write_b64 v29, v[4:5]
	s_waitcnt lgkmcnt(0)
	s_barrier
	s_and_saveexec_b64 s[16:17], s[6:7]
	s_cbranch_execz .LBB120_38
; %bb.37:
	v_lshlrev_b32_e32 v8, 3, v28
	ds_read2_b64 v[4:7], v8 offset1:7
	ds_read2_b64 v[30:33], v8 offset0:1 offset1:2
	ds_read2_b64 v[34:37], v8 offset0:3 offset1:4
	s_waitcnt lgkmcnt(1)
	v_add_f32_e32 v4, v30, v4
	v_add_f32_e32 v5, v31, v5
	;; [unrolled: 1-line block ×4, first 2 shown]
	ds_read2_b64 v[30:33], v8 offset0:5 offset1:6
	s_waitcnt lgkmcnt(1)
	v_add_f32_e32 v4, v4, v34
	v_add_f32_e32 v5, v5, v35
	;; [unrolled: 1-line block ×4, first 2 shown]
	s_waitcnt lgkmcnt(0)
	v_add_f32_e32 v4, v4, v30
	v_add_f32_e32 v5, v5, v31
	v_add_f32_e32 v4, v4, v32
	v_add_f32_e32 v5, v5, v33
	v_pk_add_f32 v[18:19], v[4:5], v[6:7]
.LBB120_38:
	s_or_b64 exec, exec, s[16:17]
	s_lshl_b64 s[22:23], s[40:41], 8
	v_lshl_add_u64 v[4:5], v[2:3], 0, s[22:23]
	s_mov_b64 s[34:35], 0x100
	v_cndmask_b32_e64 v2, 0, 1, s[20:21]
	v_cmp_ne_u32_e64 s[16:17], 1, v2
	s_andn2_b64 vcc, exec, s[20:21]
	v_lshl_add_u64 v[2:3], v[4:5], 0, s[34:35]
	s_barrier
	s_cbranch_vccnz .LBB120_40
; %bb.39:
	s_lshl_b64 s[20:21], s[40:41], 6
	v_lshl_add_u64 v[6:7], v[4:5], 0, s[20:21]
	v_mov_b32_e32 v15, 0xc0
	v_lshl_add_u64 v[8:9], v[6:7], 0, s[20:21]
	v_mad_u64_u32 v[24:25], s[20:21], s40, v15, v[4:5]
	s_mul_i32 s20, s41, 0xc0
	s_nop 0
	v_add_u32_e32 v25, s20, v25
	global_load_dwordx2 v[30:31], v[4:5], off offset:256
	global_load_dwordx2 v[32:33], v[6:7], off offset:256
	;; [unrolled: 1-line block ×4, first 2 shown]
	v_mul_u32_u24_e32 v4, 33, v10
	v_add_lshl_u32 v4, v4, v0, 3
	s_waitcnt vmcnt(3)
	ds_write_b64 v4, v[30:31]
	s_waitcnt vmcnt(2)
	ds_write_b64 v4, v[32:33] offset:2112
	s_waitcnt vmcnt(1)
	ds_write_b64 v4, v[34:35] offset:4224
	;; [unrolled: 2-line block ×3, first 2 shown]
	s_cbranch_execz .LBB120_41
	s_branch .LBB120_56
.LBB120_40:
.LBB120_41:
	v_lshlrev_b32_e32 v4, 3, v0
	v_sub_co_u32_e32 v6, vcc, v2, v4
	s_ashr_i32 s25, s24, 31
	s_nop 0
	v_subbrev_co_u32_e32 v7, vcc, 0, v3, vcc
	s_movk_i32 s20, 0xfef8
	v_or_b32_e32 v5, 32, v0
	v_lshl_add_u64 v[6:7], s[24:25], 3, v[6:7]
	s_mov_b32 s21, -1
	v_lshl_add_u64 v[6:7], v[6:7], 0, s[20:21]
	v_cmp_gt_i32_e32 vcc, s24, v5
	s_sub_i32 s36, s24, 32
	v_mov_b32_e32 v8, 0
	v_cndmask_b32_e32 v7, v7, v3, vcc
	v_cndmask_b32_e32 v6, v6, v2, vcc
	v_cmp_gt_i32_e64 s[20:21], s36, v10
	v_mov_b32_e32 v9, v8
	s_and_saveexec_b64 s[34:35], s[20:21]
	s_cbranch_execz .LBB120_43
; %bb.42:
	global_load_dwordx2 v[8:9], v[6:7], off
.LBB120_43:
	s_or_b64 exec, exec, s[34:35]
	v_mul_u32_u24_e32 v5, 33, v10
	v_add_lshl_u32 v5, v5, v0, 3
	s_waitcnt vmcnt(0)
	ds_write_b64 v5, v[8:9]
	v_add_u32_e32 v8, 8, v10
	v_cmp_le_i32_e64 s[20:21], s36, v8
	s_and_saveexec_b64 s[34:35], s[20:21]
	s_xor_b64 s[20:21], exec, s[34:35]
	s_cbranch_execz .LBB120_45
; %bb.44:
	v_mul_u32_u24_e32 v8, 33, v8
	v_add_lshl_u32 v15, v8, v0, 3
	v_mov_b32_e32 v8, 0
	v_mov_b32_e32 v9, v8
	ds_write_b64 v15, v[8:9]
.LBB120_45:
	s_andn2_saveexec_b64 s[20:21], s[20:21]
	s_cbranch_execz .LBB120_47
; %bb.46:
	s_lshl_b64 s[34:35], s[40:41], 6
	v_lshl_add_u64 v[8:9], v[6:7], 0, s[34:35]
	global_load_dwordx2 v[8:9], v[8:9], off
	s_waitcnt vmcnt(0)
	ds_write_b64 v5, v[8:9] offset:2112
.LBB120_47:
	s_or_b64 exec, exec, s[20:21]
	v_add_u32_e32 v8, 16, v10
	v_cmp_le_i32_e64 s[20:21], s36, v8
	s_and_saveexec_b64 s[34:35], s[20:21]
	s_xor_b64 s[20:21], exec, s[34:35]
	s_cbranch_execz .LBB120_49
; %bb.48:
	v_mov_b32_e32 v8, 0
	v_mov_b32_e32 v9, v8
	ds_write_b64 v5, v[8:9] offset:4224
.LBB120_49:
	s_andn2_saveexec_b64 s[20:21], s[20:21]
	s_cbranch_execz .LBB120_51
; %bb.50:
	s_lshl_b64 s[34:35], s[40:41], 7
	v_lshl_add_u64 v[8:9], v[6:7], 0, s[34:35]
	global_load_dwordx2 v[8:9], v[8:9], off
	s_waitcnt vmcnt(0)
	ds_write_b64 v5, v[8:9] offset:4224
.LBB120_51:
	s_or_b64 exec, exec, s[20:21]
	v_add_u32_e32 v8, 24, v10
	v_cmp_le_i32_e64 s[20:21], s36, v8
	s_and_saveexec_b64 s[34:35], s[20:21]
	s_xor_b64 s[20:21], exec, s[34:35]
	s_cbranch_execz .LBB120_53
; %bb.52:
	v_mov_b32_e32 v8, 0
	v_mov_b32_e32 v9, v8
	ds_write_b64 v5, v[8:9] offset:6336
                                        ; implicit-def: $vgpr5
.LBB120_53:
	s_andn2_saveexec_b64 s[20:21], s[20:21]
	s_cbranch_execz .LBB120_55
; %bb.54:
	v_mov_b32_e32 v8, 0xc0
	v_mad_u64_u32 v[8:9], s[34:35], s40, v8, v[6:7]
	s_mul_i32 s34, s41, 0xc0
	s_nop 0
	v_add_u32_e32 v9, s34, v9
	global_load_dwordx2 v[8:9], v[8:9], off
	s_waitcnt vmcnt(0)
	ds_write_b64 v5, v[8:9] offset:6336
.LBB120_55:
	s_or_b64 exec, exec, s[20:21]
	v_mov_b32_e32 v5, 0
	v_lshl_add_u64 v[4:5], v[6:7], 0, v[4:5]
	s_lshl_b64 s[20:21], s[24:25], 3
	v_mov_b32_e32 v6, s21
	v_subrev_co_u32_e64 v4, s[20:21], s20, v4
	s_nop 1
	v_subb_co_u32_e64 v5, s[20:21], v5, v6, s[20:21]
	s_mov_b64 s[20:21], 0x108
	s_nop 0
	v_lshl_add_u64 v[4:5], v[4:5], 0, s[20:21]
	v_cndmask_b32_e32 v3, v5, v3, vcc
	v_cndmask_b32_e32 v2, v4, v2, vcc
.LBB120_56:
	v_add_u32_e32 v30, 0x2380, v14
	s_lshl_b64 s[20:21], s[40:41], 5
	s_waitcnt lgkmcnt(0)
	s_barrier
	s_and_saveexec_b64 s[34:35], s[8:9]
	s_cbranch_execnz .LBB120_65
; %bb.57:
	s_or_b64 exec, exec, s[34:35]
	s_and_saveexec_b64 s[8:9], s[10:11]
	s_cbranch_execnz .LBB120_66
.LBB120_58:
	s_or_b64 exec, exec, s[8:9]
	s_and_saveexec_b64 s[8:9], s[12:13]
	s_cbranch_execnz .LBB120_67
.LBB120_59:
	s_or_b64 exec, exec, s[8:9]
	s_and_saveexec_b64 s[8:9], s[14:15]
	s_cbranch_execz .LBB120_61
.LBB120_60:
	ds_read_b64 v[4:5], v11
	s_waitcnt lgkmcnt(0)
	ds_write_b64 v1, v[4:5] offset:24
.LBB120_61:
	s_or_b64 exec, exec, s[8:9]
	s_waitcnt lgkmcnt(0)
	s_barrier
	ds_read_b64 v[8:9], v13
	ds_read_b128 v[4:7], v30 offset:256
	ds_read2_b64 v[12:15], v12 offset1:33
	ds_read_b64 v[24:25], v11
	ds_read_b128 v[32:35], v30 offset:272
	v_cmp_eq_u32_e64 s[8:9], 1, v10
	s_waitcnt lgkmcnt(3)
	v_pk_mul_f32 v[36:37], v[4:5], v[8:9] op_sel:[0,1]
	s_waitcnt lgkmcnt(0)
	v_pk_fma_f32 v[38:39], v[4:5], v[8:9], v[36:37] op_sel:[0,0,1] op_sel_hi:[1,1,0] neg_lo:[0,0,1] neg_hi:[0,0,1]
	v_pk_fma_f32 v[4:5], v[4:5], v[8:9], v[36:37] op_sel:[0,0,1] op_sel_hi:[1,0,0]
	v_pk_mul_f32 v[8:9], v[6:7], v[12:13] op_sel:[0,1]
	v_mov_b32_e32 v39, v5
	v_pk_fma_f32 v[36:37], v[6:7], v[12:13], v[8:9] op_sel:[0,0,1] op_sel_hi:[1,1,0] neg_lo:[0,0,1] neg_hi:[0,0,1]
	v_pk_fma_f32 v[6:7], v[6:7], v[12:13], v[8:9] op_sel:[0,0,1] op_sel_hi:[1,0,0]
	v_pk_add_f32 v[4:5], v[38:39], 0 op_sel_hi:[1,0]
	v_mov_b32_e32 v37, v7
	v_pk_mul_f32 v[6:7], v[32:33], v[14:15] op_sel:[0,1]
	v_pk_add_f32 v[4:5], v[4:5], v[36:37]
	v_pk_fma_f32 v[8:9], v[32:33], v[14:15], v[6:7] op_sel:[0,0,1] op_sel_hi:[1,1,0] neg_lo:[0,0,1] neg_hi:[0,0,1]
	v_pk_fma_f32 v[6:7], v[32:33], v[14:15], v[6:7] op_sel:[0,0,1] op_sel_hi:[1,0,0]
	s_barrier
	v_mov_b32_e32 v9, v7
	v_pk_mul_f32 v[6:7], v[34:35], v[24:25] op_sel:[0,1]
	v_pk_add_f32 v[4:5], v[4:5], v[8:9]
	v_pk_fma_f32 v[8:9], v[34:35], v[24:25], v[6:7] op_sel:[0,0,1] op_sel_hi:[1,1,0] neg_lo:[0,0,1] neg_hi:[0,0,1]
	v_pk_fma_f32 v[6:7], v[34:35], v[24:25], v[6:7] op_sel:[0,0,1] op_sel_hi:[1,0,0]
	s_nop 0
	v_mov_b32_e32 v9, v7
	v_pk_add_f32 v[4:5], v[4:5], v[8:9]
	ds_write_b64 v29, v[4:5]
	s_waitcnt lgkmcnt(0)
	s_barrier
	s_and_saveexec_b64 s[10:11], s[8:9]
	s_cbranch_execz .LBB120_63
; %bb.62:
	v_lshlrev_b32_e32 v8, 3, v28
	ds_read2_b64 v[4:7], v8 offset1:7
	ds_read2_b64 v[12:15], v8 offset0:1 offset1:2
	ds_read2_b64 v[32:35], v8 offset0:3 offset1:4
	s_waitcnt lgkmcnt(1)
	v_add_f32_e32 v4, v12, v4
	v_add_f32_e32 v5, v13, v5
	;; [unrolled: 1-line block ×4, first 2 shown]
	ds_read2_b64 v[12:15], v8 offset0:5 offset1:6
	s_waitcnt lgkmcnt(1)
	v_add_f32_e32 v4, v4, v32
	v_add_f32_e32 v5, v5, v33
	v_add_f32_e32 v4, v4, v34
	v_add_f32_e32 v5, v5, v35
	s_waitcnt lgkmcnt(0)
	v_add_f32_e32 v4, v4, v12
	v_add_f32_e32 v5, v5, v13
	v_pk_add_f32 v[4:5], v[4:5], v[14:15]
	s_nop 0
	v_pk_add_f32 v[18:19], v[4:5], v[6:7]
.LBB120_63:
	s_or_b64 exec, exec, s[10:11]
	s_lshl_b64 s[10:11], s[20:21], 3
	v_mov_b32_e32 v4, s11
	v_subrev_co_u32_e64 v24, s[10:11], s10, v2
	s_and_b64 vcc, exec, s[16:17]
	s_nop 0
	v_subb_co_u32_e64 v25, s[10:11], v3, v4, s[10:11]
	s_barrier
	s_cbranch_vccnz .LBB120_68
; %bb.64:
	s_lshl_b64 s[10:11], s[40:41], 6
	v_lshl_add_u64 v[2:3], v[24:25], 0, s[10:11]
	v_mov_b32_e32 v6, 0xc0
	v_lshl_add_u64 v[4:5], v[2:3], 0, s[10:11]
	v_mad_u64_u32 v[6:7], s[10:11], s40, v6, v[24:25]
	s_mul_i32 s10, s41, 0xc0
	s_nop 0
	v_add_u32_e32 v7, s10, v7
	global_load_dwordx2 v[12:13], v[24:25], off
	global_load_dwordx2 v[14:15], v[2:3], off
	global_load_dwordx2 v[32:33], v[4:5], off
	global_load_dwordx2 v[34:35], v[6:7], off
	v_mad_u32_u24 v8, v10, 33, v0
	v_add_u32_e32 v6, 8, v10
	v_add_u32_e32 v7, 16, v10
	;; [unrolled: 1-line block ×3, first 2 shown]
	v_lshlrev_b32_e32 v4, 3, v8
	v_add_u32_e32 v2, 0x108, v8
	v_add_u32_e32 v3, 0x210, v8
	;; [unrolled: 1-line block ×3, first 2 shown]
	s_waitcnt vmcnt(3)
	ds_write_b64 v4, v[12:13]
	s_waitcnt vmcnt(2)
	ds_write_b64 v4, v[14:15] offset:2112
	s_waitcnt vmcnt(1)
	ds_write_b64 v4, v[32:33] offset:4224
	;; [unrolled: 2-line block ×3, first 2 shown]
	s_cbranch_execz .LBB120_69
	s_branch .LBB120_84
.LBB120_65:
	ds_read_b64 v[4:5], v13
	s_waitcnt lgkmcnt(0)
	ds_write_b64 v1, v[4:5]
	s_or_b64 exec, exec, s[34:35]
	s_and_saveexec_b64 s[8:9], s[10:11]
	s_cbranch_execz .LBB120_58
.LBB120_66:
	ds_read_b64 v[4:5], v12
	s_waitcnt lgkmcnt(0)
	ds_write_b64 v1, v[4:5] offset:8
	s_or_b64 exec, exec, s[8:9]
	s_and_saveexec_b64 s[8:9], s[12:13]
	s_cbranch_execz .LBB120_59
.LBB120_67:
	ds_read_b64 v[4:5], v12 offset:264
	s_waitcnt lgkmcnt(0)
	ds_write_b64 v1, v[4:5] offset:16
	s_or_b64 exec, exec, s[8:9]
	s_and_saveexec_b64 s[8:9], s[14:15]
	s_cbranch_execnz .LBB120_60
	s_branch .LBB120_61
.LBB120_68:
                                        ; implicit-def: $vgpr8
                                        ; implicit-def: $vgpr6
                                        ; implicit-def: $vgpr2
                                        ; implicit-def: $vgpr7
                                        ; implicit-def: $vgpr3
                                        ; implicit-def: $vgpr9
                                        ; implicit-def: $vgpr11
.LBB120_69:
	v_lshlrev_b32_e32 v2, 3, v0
	v_sub_co_u32_e32 v4, vcc, v24, v2
	s_ashr_i32 s25, s24, 31
	s_nop 0
	v_subbrev_co_u32_e32 v5, vcc, 0, v25, vcc
	s_movk_i32 s10, 0xfef8
	v_or_b32_e32 v3, 32, v0
	v_lshl_add_u64 v[4:5], s[24:25], 3, v[4:5]
	s_mov_b32 s11, -1
	v_lshl_add_u64 v[4:5], v[4:5], 0, s[10:11]
	v_cmp_gt_i32_e32 vcc, s24, v3
	v_mov_b32_e32 v6, 0
	v_cmp_gt_i32_e64 s[10:11], s24, v10
	v_cndmask_b32_e32 v5, v5, v25, vcc
	v_cndmask_b32_e32 v4, v4, v24, vcc
	v_mov_b32_e32 v7, v6
	s_and_saveexec_b64 s[12:13], s[10:11]
	s_cbranch_execz .LBB120_71
; %bb.70:
	global_load_dwordx2 v[6:7], v[4:5], off
.LBB120_71:
	s_or_b64 exec, exec, s[12:13]
	v_mad_u32_u24 v8, v10, 33, v0
	v_lshlrev_b32_e32 v3, 3, v8
	s_waitcnt vmcnt(0)
	ds_write_b64 v3, v[6:7]
	v_add_u32_e32 v6, 8, v10
	v_cmp_le_i32_e64 s[10:11], s24, v6
	s_and_saveexec_b64 s[12:13], s[10:11]
	s_xor_b64 s[10:11], exec, s[12:13]
	s_cbranch_execz .LBB120_73
; %bb.72:
	v_mul_u32_u24_e32 v7, 33, v6
	v_mov_b32_e32 v12, 0
	v_add_lshl_u32 v7, v7, v0, 3
	v_mov_b32_e32 v13, v12
	ds_write_b64 v7, v[12:13]
.LBB120_73:
	s_andn2_saveexec_b64 s[10:11], s[10:11]
	s_cbranch_execz .LBB120_75
; %bb.74:
	s_lshl_b64 s[12:13], s[40:41], 6
	v_lshl_add_u64 v[12:13], v[4:5], 0, s[12:13]
	global_load_dwordx2 v[12:13], v[12:13], off
	s_waitcnt vmcnt(0)
	ds_write_b64 v3, v[12:13] offset:2112
.LBB120_75:
	s_or_b64 exec, exec, s[10:11]
	v_add_u32_e32 v7, 16, v10
	v_cmp_le_i32_e64 s[10:11], s24, v7
	s_and_saveexec_b64 s[12:13], s[10:11]
	s_xor_b64 s[10:11], exec, s[12:13]
	s_cbranch_execz .LBB120_77
; %bb.76:
	v_mul_u32_u24_e32 v9, 33, v7
	v_mov_b32_e32 v12, 0
	v_add_lshl_u32 v0, v9, v0, 3
	v_mov_b32_e32 v13, v12
	ds_write_b64 v0, v[12:13]
.LBB120_77:
	s_andn2_saveexec_b64 s[10:11], s[10:11]
	s_cbranch_execz .LBB120_79
; %bb.78:
	s_lshl_b64 s[12:13], s[40:41], 7
	v_lshl_add_u64 v[12:13], v[4:5], 0, s[12:13]
	global_load_dwordx2 v[12:13], v[12:13], off
	s_waitcnt vmcnt(0)
	ds_write_b64 v3, v[12:13] offset:4224
.LBB120_79:
	s_or_b64 exec, exec, s[10:11]
	v_add_u32_e32 v9, 24, v10
	v_cmp_le_i32_e64 s[10:11], s24, v9
                                        ; implicit-def: $vgpr11
	s_and_saveexec_b64 s[12:13], s[10:11]
	s_xor_b64 s[10:11], exec, s[12:13]
	s_cbranch_execz .LBB120_81
; %bb.80:
	v_mov_b32_e32 v12, 0
	v_add_u32_e32 v11, 0x318, v8
	v_mov_b32_e32 v13, v12
	ds_write_b64 v3, v[12:13] offset:6336
                                        ; implicit-def: $vgpr3
.LBB120_81:
	s_andn2_saveexec_b64 s[10:11], s[10:11]
	s_cbranch_execz .LBB120_83
; %bb.82:
	v_mov_b32_e32 v0, 0xc0
	v_mad_u64_u32 v[12:13], s[12:13], s40, v0, v[4:5]
	s_mul_i32 s12, s41, 0xc0
	s_nop 0
	v_add_u32_e32 v13, s12, v13
	global_load_dwordx2 v[12:13], v[12:13], off
	v_add_u32_e32 v11, 0x318, v8
	s_waitcnt vmcnt(0)
	ds_write_b64 v3, v[12:13] offset:6336
.LBB120_83:
	s_or_b64 exec, exec, s[10:11]
	v_mov_b32_e32 v3, 0
	v_lshl_add_u64 v[2:3], v[4:5], 0, v[2:3]
	s_lshl_b64 s[10:11], s[24:25], 3
	v_mov_b32_e32 v0, s11
	v_subrev_co_u32_e64 v2, s[10:11], s10, v2
	s_nop 1
	v_subb_co_u32_e64 v3, s[10:11], v3, v0, s[10:11]
	s_mov_b64 s[10:11], 0x108
	s_nop 0
	v_lshl_add_u64 v[2:3], v[2:3], 0, s[10:11]
	v_cndmask_b32_e32 v25, v3, v25, vcc
	v_cndmask_b32_e32 v24, v2, v24, vcc
	v_add_u32_e32 v2, 0x108, v8
	v_add_u32_e32 v3, 0x210, v8
.LBB120_84:
	v_lshlrev_b32_e32 v0, 3, v8
	s_waitcnt lgkmcnt(0)
	s_barrier
	ds_read_b64 v[32:33], v0
	v_lshlrev_b32_e32 v4, 3, v10
	v_lshlrev_b32_e32 v5, 3, v2
	;; [unrolled: 1-line block ×7, first 2 shown]
	ds_read_b64 v[34:35], v0
	ds_read2_b64 v[8:11], v1 offset1:1
	ds_read2_b64 v[0:3], v1 offset0:2 offset1:3
	ds_read_b64 v[36:37], v6 offset:9088
	ds_read_b64 v[38:39], v5
	ds_read_b64 v[40:41], v4 offset:9088
	ds_read_b128 v[12:15], v30 offset:256
	ds_read_b128 v[4:7], v30 offset:272
	ds_read_b64 v[30:31], v31 offset:9088
	ds_read_b64 v[42:43], v42
	ds_read_b64 v[44:45], v44 offset:9088
	s_waitcnt lgkmcnt(5)
	v_pk_mul_f32 v[46:47], v[40:41], v[32:33] op_sel:[0,1]
	s_waitcnt lgkmcnt(0)
	v_pk_fma_f32 v[48:49], v[40:41], v[32:33], v[46:47] op_sel:[0,0,1] op_sel_hi:[1,1,0] neg_lo:[0,0,1] neg_hi:[0,0,1]
	v_pk_fma_f32 v[32:33], v[40:41], v[32:33], v[46:47] op_sel:[0,0,1] op_sel_hi:[1,0,0]
	v_pk_mul_f32 v[40:41], v[36:37], v[38:39] op_sel:[0,1]
	v_mov_b32_e32 v49, v33
	v_pk_fma_f32 v[46:47], v[36:37], v[38:39], v[40:41] op_sel:[0,0,1] op_sel_hi:[1,1,0] neg_lo:[0,0,1] neg_hi:[0,0,1]
	v_pk_fma_f32 v[36:37], v[36:37], v[38:39], v[40:41] op_sel:[0,0,1] op_sel_hi:[1,0,0]
	v_pk_add_f32 v[32:33], v[48:49], 0 op_sel_hi:[1,0]
	v_mov_b32_e32 v47, v37
	v_pk_mul_f32 v[36:37], v[44:45], v[34:35] op_sel:[0,1]
	v_pk_add_f32 v[32:33], v[32:33], v[46:47]
	v_pk_fma_f32 v[38:39], v[44:45], v[34:35], v[36:37] op_sel:[0,0,1] op_sel_hi:[1,1,0] neg_lo:[0,0,1] neg_hi:[0,0,1]
	v_pk_fma_f32 v[34:35], v[44:45], v[34:35], v[36:37] op_sel:[0,0,1] op_sel_hi:[1,0,0]
	s_barrier
	v_mov_b32_e32 v39, v35
	v_pk_mul_f32 v[34:35], v[30:31], v[42:43] op_sel:[0,1]
	v_pk_add_f32 v[32:33], v[32:33], v[38:39]
	v_pk_fma_f32 v[36:37], v[30:31], v[42:43], v[34:35] op_sel:[0,0,1] op_sel_hi:[1,1,0] neg_lo:[0,0,1] neg_hi:[0,0,1]
	v_pk_fma_f32 v[30:31], v[30:31], v[42:43], v[34:35] op_sel:[0,0,1] op_sel_hi:[1,0,0]
	s_nop 0
	v_mov_b32_e32 v37, v31
	v_pk_add_f32 v[30:31], v[32:33], v[36:37]
	ds_write_b64 v29, v[30:31]
	s_waitcnt lgkmcnt(0)
	s_barrier
	s_and_saveexec_b64 s[10:11], s[8:9]
	s_cbranch_execz .LBB120_86
; %bb.85:
	v_lshlrev_b32_e32 v42, 3, v28
	ds_read2_b64 v[30:33], v42 offset1:1
	ds_read2_b64 v[34:37], v42 offset0:2 offset1:3
	ds_read2_b64 v[38:41], v42 offset0:4 offset1:5
	s_waitcnt lgkmcnt(2)
	v_pk_add_f32 v[18:19], v[18:19], v[30:31]
	s_nop 0
	v_pk_add_f32 v[18:19], v[18:19], v[32:33]
	ds_read2_b64 v[30:33], v42 offset0:6 offset1:7
	s_waitcnt lgkmcnt(2)
	v_pk_add_f32 v[18:19], v[18:19], v[34:35]
	s_nop 0
	v_pk_add_f32 v[18:19], v[18:19], v[36:37]
	s_waitcnt lgkmcnt(1)
	v_pk_add_f32 v[18:19], v[18:19], v[38:39]
	s_nop 0
	v_pk_add_f32 v[18:19], v[18:19], v[40:41]
	;; [unrolled: 4-line block ×3, first 2 shown]
.LBB120_86:
	s_or_b64 exec, exec, s[10:11]
	v_pk_mul_f32 v[30:31], v[12:13], v[8:9] op_sel:[0,1]
	s_nop 0
	v_pk_fma_f32 v[32:33], v[12:13], v[8:9], v[30:31] op_sel:[0,0,1] op_sel_hi:[1,1,0] neg_lo:[0,0,1] neg_hi:[0,0,1]
	v_pk_fma_f32 v[8:9], v[12:13], v[8:9], v[30:31] op_sel:[0,0,1] op_sel_hi:[1,0,0]
	v_mov_b32_e32 v12, v11
	v_pk_mul_f32 v[12:13], v[14:15], v[12:13] op_sel_hi:[1,0]
	v_mov_b32_e32 v33, v9
	v_pk_fma_f32 v[30:31], v[14:15], v[10:11], v[12:13] op_sel:[0,0,1] op_sel_hi:[1,1,0] neg_lo:[0,0,1] neg_hi:[0,0,1]
	v_pk_fma_f32 v[10:11], v[14:15], v[10:11], v[12:13] op_sel:[0,0,1] op_sel_hi:[1,0,0]
	v_pk_add_f32 v[8:9], v[32:33], 0 op_sel_hi:[1,0]
	v_mov_b32_e32 v31, v11
	v_pk_mul_f32 v[10:11], v[4:5], v[0:1] op_sel:[0,1]
	v_pk_add_f32 v[8:9], v[8:9], v[30:31]
	v_pk_fma_f32 v[12:13], v[4:5], v[0:1], v[10:11] op_sel:[0,0,1] op_sel_hi:[1,1,0] neg_lo:[0,0,1] neg_hi:[0,0,1]
	v_pk_fma_f32 v[0:1], v[4:5], v[0:1], v[10:11] op_sel:[0,0,1] op_sel_hi:[1,0,0]
	v_mov_b32_e32 v4, v3
	v_mov_b32_e32 v13, v1
	v_pk_mul_f32 v[4:5], v[6:7], v[4:5] op_sel_hi:[1,0]
	v_pk_add_f32 v[0:1], v[8:9], v[12:13]
	v_pk_fma_f32 v[8:9], v[6:7], v[2:3], v[4:5] op_sel:[0,0,1] op_sel_hi:[1,1,0] neg_lo:[0,0,1] neg_hi:[0,0,1]
	v_pk_fma_f32 v[2:3], v[6:7], v[2:3], v[4:5] op_sel:[0,0,1] op_sel_hi:[1,0,0]
	s_barrier
	v_mov_b32_e32 v9, v3
	v_pk_add_f32 v[0:1], v[0:1], v[8:9]
	ds_write_b64 v29, v[0:1]
	s_waitcnt lgkmcnt(0)
	s_barrier
	s_and_saveexec_b64 s[8:9], s[6:7]
	s_cbranch_execz .LBB120_88
; %bb.87:
	v_lshlrev_b32_e32 v14, 3, v28
	ds_read2_b64 v[0:3], v14 offset1:1
	ds_read2_b64 v[4:7], v14 offset0:2 offset1:3
	ds_read2_b64 v[8:11], v14 offset0:4 offset1:5
	s_waitcnt lgkmcnt(2)
	v_pk_add_f32 v[0:1], v[18:19], v[0:1]
	s_nop 0
	v_pk_add_f32 v[12:13], v[0:1], v[2:3]
	ds_read2_b64 v[0:3], v14 offset0:6 offset1:7
	s_waitcnt lgkmcnt(2)
	v_pk_add_f32 v[4:5], v[12:13], v[4:5]
	s_nop 0
	v_pk_add_f32 v[4:5], v[4:5], v[6:7]
	s_waitcnt lgkmcnt(1)
	v_pk_add_f32 v[4:5], v[4:5], v[8:9]
	s_nop 0
	v_pk_add_f32 v[4:5], v[4:5], v[10:11]
	;; [unrolled: 4-line block ×3, first 2 shown]
.LBB120_88:
	s_or_b64 exec, exec, s[8:9]
	s_load_dwordx2 s[0:1], s[0:1], 0x68
	s_mul_hi_u32 s6, s33, s3
	s_mul_i32 s44, s44, s3
	s_add_i32 s6, s6, s44
	s_mul_i32 s3, s33, s3
	s_mul_i32 s6, s6, s52
	s_mul_hi_u32 s7, s3, s52
	s_add_i32 s7, s7, s6
	s_mul_i32 s6, s3, s52
	s_lshl_b64 s[6:7], s[6:7], 3
	s_waitcnt lgkmcnt(0)
	s_add_u32 s3, s0, s6
	s_mul_i32 s0, s2, s33
	s_addc_u32 s7, s1, s7
	s_ashr_i32 s1, s0, 31
	s_lshl_b64 s[0:1], s[0:1], 3
	s_add_u32 s6, s3, s0
	v_cmp_le_i32_e32 vcc, s24, v26
	s_addc_u32 s7, s7, s1
	s_and_b64 vcc, s[30:31], vcc
	s_cmp_lt_i32 s2, 1
	v_lshlrev_b32_e32 v4, 3, v26
	s_barrier
	s_cbranch_scc1 .LBB120_95
; %bb.89:
	s_mul_i32 s0, s26, s49
	s_mul_hi_u32 s1, s26, s48
	s_add_i32 s0, s1, s0
	s_mul_i32 s1, s27, s48
	s_add_i32 s1, s0, s1
	s_mul_i32 s0, s26, s48
	s_lshl_b64 s[0:1], s[0:1], 3
	v_mov_b32_e32 v0, s1
	v_subrev_co_u32_e64 v6, s[0:1], s0, v20
	v_lshlrev_b32_e32 v5, 2, v76
	s_nop 0
	v_subb_co_u32_e64 v7, s[0:1], v21, v0, s[0:1]
	v_mov_b32_e32 v0, s29
	v_subrev_co_u32_e64 v2, s[0:1], s28, v24
	s_ashr_i32 s25, s24, 31
	s_nop 0
	v_subb_co_u32_e64 v3, s[0:1], v25, v0, s[0:1]
	v_lshlrev_b64 v[0:1], 3, v[22:23]
	v_sub_co_u32_e64 v0, s[0:1], v2, v0
	v_and_b32_e32 v12, 15, v26
	s_nop 0
	v_subb_co_u32_e64 v1, s[0:1], v3, v1, s[0:1]
	v_mad_u64_u32 v[2:3], s[0:1], v5, s40, 0
	v_mov_b32_e32 v8, v3
	v_mad_u64_u32 v[8:9], s[0:1], v5, s41, v[8:9]
	v_mov_b32_e32 v3, v8
	v_lshl_add_u64 v[0:1], v[2:3], 3, v[0:1]
	s_movk_i32 s0, 0xfef8
	v_lshl_add_u64 v[2:3], s[24:25], 3, v[0:1]
	s_mov_b32 s1, -1
	v_mov_b32_e32 v9, 0
	v_lshl_add_u64 v[2:3], v[2:3], 0, s[0:1]
	v_mov_b32_e32 v5, v9
	s_movk_i32 s0, 0xff00
	v_lshl_add_u64 v[0:1], v[0:1], 0, v[4:5]
	s_mov_b32 s1, -1
	v_lshl_add_u64 v[0:1], v[0:1], 0, s[0:1]
	v_cndmask_b32_e32 v10, v0, v2, vcc
	v_and_b32_e32 v0, 48, v26
	v_cndmask_b32_e32 v11, v1, v3, vcc
	v_lshlrev_b32_e32 v1, 3, v0
	s_movk_i32 s3, 0x218
	v_lshrrev_b32_e32 v13, 4, v27
	v_mad_u32_u24 v78, v12, s3, v1
	v_or_b32_e32 v1, 0x78, v4
	v_mad_u32_u24 v79, v12, s3, v1
	v_lshlrev_b32_e32 v1, 5, v13
	v_mad_u32_u24 v80, v12, s3, v1
	v_mov_b32_e32 v1, 0x2180
	v_lshl_add_u32 v81, v76, 5, v1
	v_lshlrev_b32_e32 v1, 3, v13
	v_mad_u32_u24 v83, v12, s3, v1
	s_mul_i32 s3, s41, 24
	s_mul_hi_u32 s14, s40, 24
	s_add_i32 s15, s14, s3
	s_mul_i32 s3, s41, 0x90
	s_mul_hi_u32 s16, s40, 0x90
	s_add_i32 s17, s16, s3
	;; [unrolled: 3-line block ×9, first 2 shown]
	s_mul_i32 s3, s41, 0x108
	s_mul_hi_u32 s33, s40, 0x108
	s_movk_i32 s8, 0x860
	s_add_i32 s39, s33, s3
	s_mul_i32 s3, s41, 0x88
	s_mul_hi_u32 s33, s40, 0x88
	v_add_u32_e32 v5, 0x2180, v4
	v_add_u32_e32 v77, 0x2380, v4
	v_cmp_gt_u32_e64 s[0:1], 64, v27
	v_mad_u32_u24 v82, v76, s8, v4
	s_lshl_b64 s[8:9], s[40:41], 3
	s_lshl_b64 s[10:11], s[40:41], 9
	;; [unrolled: 1-line block ×3, first 2 shown]
	s_mul_i32 s14, s40, 24
	s_mul_i32 s16, s40, 0x90
	;; [unrolled: 1-line block ×10, first 2 shown]
	s_add_i32 s43, s33, s3
	s_mul_i32 s42, s40, 0x88
	s_lshl_b64 s[40:41], s[40:41], 7
	v_or_b32_e32 v84, v0, v12
	s_mov_b32 s3, 0
	s_branch .LBB120_91
.LBB120_90:                             ;   in Loop: Header=BB120_91 Depth=1
	s_or_b64 exec, exec, s[44:45]
	v_mul_f32_e32 v8, v25, v23
	v_fma_f32 v8, v24, v22, -v8
	v_add_f32_e32 v8, v18, v8
	v_mul_f32_e32 v18, v31, v21
	v_fma_f32 v18, v30, v20, -v18
	v_add_f32_e32 v8, v8, v18
	v_mul_f32_e32 v18, v29, v15
	v_fma_f32 v18, v28, v14, -v18
	v_mul_f32_e32 v22, v25, v22
	v_add_f32_e32 v8, v8, v18
	v_mul_f32_e32 v18, v27, v13
	v_mul_f32_e32 v20, v31, v20
	v_fma_f32 v18, v26, v12, -v18
	v_fmac_f32_e32 v22, v24, v23
	v_mul_f32_e32 v14, v29, v14
	v_add_f32_e32 v8, v8, v18
	v_add_f32_e32 v18, v19, v22
	v_fmac_f32_e32 v20, v30, v21
	v_mul_f32_e32 v12, v27, v12
	v_add_f32_e32 v18, v18, v20
	v_fmac_f32_e32 v14, v28, v15
	v_add_f32_e32 v14, v18, v14
	v_fmac_f32_e32 v12, v26, v13
	v_add_f32_e32 v13, v14, v12
	v_mul_f32_e32 v12, v41, v39
	v_fma_f32 v12, v40, v38, -v12
	v_add_f32_e32 v8, v8, v12
	v_mul_f32_e32 v12, v55, v37
	v_fma_f32 v12, v54, v36, -v12
	v_mul_f32_e32 v20, v41, v38
	v_add_f32_e32 v12, v8, v12
	v_mul_f32_e32 v8, v49, v33
	v_mul_f32_e32 v21, v55, v36
	v_fma_f32 v14, v48, v32, -v8
	v_mul_f32_e32 v8, v51, v35
	v_fmac_f32_e32 v20, v40, v39
	v_mul_f32_e32 v15, v49, v32
	v_fma_f32 v18, v50, v34, -v8
	v_add_f32_e32 v8, v13, v20
	v_fmac_f32_e32 v21, v54, v37
	v_mul_f32_e32 v19, v51, v34
	v_add_f32_e32 v13, v8, v21
	v_fmac_f32_e32 v15, v48, v33
	v_mov_b32_e32 v8, v53
	v_fmac_f32_e32 v19, v50, v35
	v_pk_add_f32 v[12:13], v[12:13], v[14:15]
	v_pk_mul_f32 v[14:15], v[56:57], v[8:9] op_sel_hi:[1,0]
	v_pk_add_f32 v[12:13], v[12:13], v[18:19]
	v_pk_fma_f32 v[18:19], v[56:57], v[52:53], v[14:15] op_sel:[0,0,1] op_sel_hi:[1,1,0] neg_lo:[0,0,1] neg_hi:[0,0,1]
	v_pk_fma_f32 v[14:15], v[56:57], v[52:53], v[14:15] op_sel:[0,0,1] op_sel_hi:[1,0,0]
	v_mov_b32_e32 v8, v47
	v_mov_b32_e32 v19, v15
	v_pk_mul_f32 v[14:15], v[0:1], v[8:9] op_sel_hi:[1,0]
	v_pk_add_f32 v[12:13], v[12:13], v[18:19]
	v_pk_fma_f32 v[18:19], v[0:1], v[46:47], v[14:15] op_sel:[0,0,1] op_sel_hi:[1,1,0] neg_lo:[0,0,1] neg_hi:[0,0,1]
	v_pk_fma_f32 v[0:1], v[0:1], v[46:47], v[14:15] op_sel:[0,0,1] op_sel_hi:[1,0,0]
	v_mov_b32_e32 v8, v45
	v_mov_b32_e32 v19, v1
	v_pk_add_f32 v[0:1], v[12:13], v[18:19]
	v_pk_mul_f32 v[12:13], v[2:3], v[8:9] op_sel_hi:[1,0]
	s_add_i32 s3, s3, 64
	v_pk_fma_f32 v[14:15], v[2:3], v[44:45], v[12:13] op_sel:[0,0,1] op_sel_hi:[1,1,0] neg_lo:[0,0,1] neg_hi:[0,0,1]
	v_pk_fma_f32 v[2:3], v[2:3], v[44:45], v[12:13] op_sel:[0,0,1] op_sel_hi:[1,0,0]
	s_add_i32 s2, s2, -1
	v_mov_b32_e32 v2, v43
	v_mov_b32_e32 v15, v3
	v_pk_mul_f32 v[2:3], v[60:61], v[2:3] op_sel_hi:[1,0]
	v_pk_add_f32 v[0:1], v[0:1], v[14:15]
	v_pk_fma_f32 v[12:13], v[60:61], v[42:43], v[2:3] op_sel:[0,0,1] op_sel_hi:[1,1,0] neg_lo:[0,0,1] neg_hi:[0,0,1]
	v_pk_fma_f32 v[2:3], v[60:61], v[42:43], v[2:3] op_sel:[0,0,1] op_sel_hi:[1,0,0]
	s_cmp_eq_u32 s2, 0
	v_mov_b32_e32 v2, v67
	v_mov_b32_e32 v13, v3
	v_pk_mul_f32 v[2:3], v[68:69], v[2:3] op_sel_hi:[1,0]
	v_pk_add_f32 v[0:1], v[0:1], v[12:13]
	v_pk_fma_f32 v[12:13], v[68:69], v[66:67], v[2:3] op_sel:[0,0,1] op_sel_hi:[1,1,0] neg_lo:[0,0,1] neg_hi:[0,0,1]
	v_pk_fma_f32 v[2:3], v[68:69], v[66:67], v[2:3] op_sel:[0,0,1] op_sel_hi:[1,0,0]
	v_lshl_add_u64 v[10:11], v[10:11], 0, s[10:11]
	v_mov_b32_e32 v2, v65
	v_mov_b32_e32 v13, v3
	v_pk_mul_f32 v[2:3], v[74:75], v[2:3] op_sel_hi:[1,0]
	v_pk_add_f32 v[0:1], v[0:1], v[12:13]
	v_pk_fma_f32 v[14:15], v[74:75], v[64:65], v[2:3] op_sel:[0,0,1] op_sel_hi:[1,1,0] neg_lo:[0,0,1] neg_hi:[0,0,1]
	v_pk_fma_f32 v[2:3], v[74:75], v[64:65], v[2:3] op_sel:[0,0,1] op_sel_hi:[1,0,0]
	s_nop 0
	v_mov_b32_e32 v2, v63
	v_mov_b32_e32 v15, v3
	v_pk_mul_f32 v[2:3], v[72:73], v[2:3] op_sel_hi:[1,0]
	v_pk_add_f32 v[0:1], v[0:1], v[14:15]
	v_pk_fma_f32 v[18:19], v[72:73], v[62:63], v[2:3] op_sel:[0,0,1] op_sel_hi:[1,1,0] neg_lo:[0,0,1] neg_hi:[0,0,1]
	v_pk_fma_f32 v[2:3], v[72:73], v[62:63], v[2:3] op_sel:[0,0,1] op_sel_hi:[1,0,0]
	s_barrier
	v_mov_b32_e32 v2, v59
	v_mov_b32_e32 v19, v3
	v_pk_mul_f32 v[2:3], v[70:71], v[2:3] op_sel_hi:[1,0]
	v_pk_add_f32 v[0:1], v[0:1], v[18:19]
	v_pk_fma_f32 v[20:21], v[70:71], v[58:59], v[2:3] op_sel:[0,0,1] op_sel_hi:[1,1,0] neg_lo:[0,0,1] neg_hi:[0,0,1]
	v_pk_fma_f32 v[2:3], v[70:71], v[58:59], v[2:3] op_sel:[0,0,1] op_sel_hi:[1,0,0]
	s_nop 0
	v_mov_b32_e32 v21, v3
	v_pk_add_f32 v[18:19], v[0:1], v[20:21]
	s_cbranch_scc1 .LBB120_95
.LBB120_91:                             ; =>This Inner Loop Header: Depth=1
	s_and_saveexec_b64 s[44:45], s[18:19]
	s_cbranch_execz .LBB120_93
; %bb.92:                               ;   in Loop: Header=BB120_91 Depth=1
	s_mul_i32 s33, s3, s49
	s_mul_hi_u32 s46, s3, s48
	s_add_i32 s47, s46, s33
	s_mul_i32 s46, s3, s48
	v_lshl_add_u64 v[0:1], s[46:47], 3, v[6:7]
	global_load_dwordx2 v[0:1], v[0:1], off
	s_waitcnt vmcnt(0)
	ds_write_b64 v5, v[0:1]
.LBB120_93:                             ;   in Loop: Header=BB120_91 Depth=1
	s_or_b64 exec, exec, s[44:45]
	v_lshl_add_u64 v[0:1], v[10:11], 0, s[8:9]
	s_waitcnt lgkmcnt(0)
	s_barrier
	global_load_dwordx2 v[22:23], v[10:11], off
	global_load_dwordx2 v[20:21], v[0:1], off
	v_lshl_add_u64 v[0:1], v[10:11], 0, s[12:13]
	global_load_dwordx2 v[14:15], v[0:1], off
	v_lshl_add_u64 v[0:1], v[10:11], 0, s[14:15]
	global_load_dwordx2 v[12:13], v[0:1], off
	ds_read_b64 v[0:1], v77
	ds_read_b64 v[24:25], v81
	v_lshl_add_u64 v[2:3], v[10:11], 0, s[40:41]
	v_lshl_add_u64 v[58:59], v[10:11], 0, s[36:37]
	s_waitcnt vmcnt(3) lgkmcnt(1)
	v_mul_f32_e32 v8, v1, v23
	v_mul_f32_e32 v27, v1, v22
	v_fma_f32 v26, v0, v22, -v8
	v_fmac_f32_e32 v27, v0, v23
	s_waitcnt vmcnt(2)
	v_mul_f32_e32 v8, v1, v21
	v_mul_f32_e32 v29, v1, v20
	s_waitcnt vmcnt(1)
	v_mul_f32_e32 v30, v1, v15
	v_mul_f32_e32 v33, v1, v14
	s_waitcnt vmcnt(0)
	v_mul_f32_e32 v31, v1, v13
	ds_write_b64 v82, v[26:27]
	v_fma_f32 v28, v0, v20, -v8
	v_fmac_f32_e32 v29, v0, v21
	v_mul_f32_e32 v35, v0, v13
	v_fma_f32 v32, v0, v14, -v30
	v_fmac_f32_e32 v33, v0, v15
	v_fma_f32 v34, v0, v12, -v31
	ds_read_b64 v[30:31], v81 offset:8
	ds_write_b64 v82, v[28:29] offset:536
	v_fmac_f32_e32 v35, v1, v12
	ds_read_b64 v[28:29], v81 offset:16
	ds_write_b64 v82, v[32:33] offset:1072
	ds_read_b64 v[26:27], v81 offset:24
	ds_write_b64 v82, v[34:35] offset:1608
	s_waitcnt lgkmcnt(0)
	s_barrier
	ds_read2_b64 v[68:71], v80 offset1:1
	ds_read2_b64 v[72:75], v80 offset0:2 offset1:3
	s_waitcnt lgkmcnt(0)
	s_barrier
	global_load_dwordx2 v[38:39], v[2:3], off
	v_lshl_add_u64 v[0:1], v[10:11], 0, s[42:43]
	global_load_dwordx2 v[36:37], v[0:1], off
	v_lshl_add_u64 v[0:1], v[10:11], 0, s[16:17]
	;; [unrolled: 2-line block ×3, first 2 shown]
	global_load_dwordx2 v[34:35], v[0:1], off
	ds_read_b64 v[0:1], v77
	ds_read_b64 v[40:41], v81 offset:128
	v_lshl_add_u64 v[2:3], v[10:11], 0, s[22:23]
	v_pk_add_f32 v[68:69], v[68:69], 0 op_sel_hi:[1,0]
	s_waitcnt vmcnt(3) lgkmcnt(1)
	v_mul_f32_e32 v8, v1, v39
	v_mul_f32_e32 v43, v1, v38
	s_waitcnt vmcnt(2)
	v_mul_f32_e32 v44, v1, v37
	v_mul_f32_e32 v45, v1, v36
	v_fma_f32 v42, v0, v38, -v8
	v_fmac_f32_e32 v43, v0, v39
	s_waitcnt vmcnt(1)
	v_mul_f32_e32 v46, v1, v33
	v_mul_f32_e32 v47, v1, v32
	v_fma_f32 v44, v0, v36, -v44
	v_fmac_f32_e32 v45, v0, v37
	ds_write_b64 v82, v[42:43]
	s_waitcnt vmcnt(0)
	v_mul_f32_e32 v48, v1, v35
	v_mul_f32_e32 v53, v0, v35
	v_fma_f32 v46, v0, v32, -v46
	v_fmac_f32_e32 v47, v0, v33
	ds_read_b64 v[54:55], v81 offset:136
	ds_write_b64 v82, v[44:45] offset:536
	v_fma_f32 v52, v0, v34, -v48
	v_fmac_f32_e32 v53, v1, v34
	ds_read_b64 v[48:49], v81 offset:144
	ds_write_b64 v82, v[46:47] offset:1072
	v_lshl_add_u64 v[0:1], v[10:11], 0, s[38:39]
	ds_read_b64 v[50:51], v81 offset:152
	ds_write_b64 v82, v[52:53] offset:1608
	s_waitcnt lgkmcnt(0)
	s_barrier
	ds_read2_b64 v[86:89], v80 offset1:1
	ds_read2_b64 v[90:93], v80 offset0:2 offset1:3
	s_waitcnt lgkmcnt(0)
	s_barrier
	global_load_dwordx2 v[52:53], v[2:3], off
	global_load_dwordx2 v[46:47], v[0:1], off
	v_lshl_add_u64 v[0:1], v[10:11], 0, s[24:25]
	global_load_dwordx2 v[44:45], v[0:1], off
	v_lshl_add_u64 v[0:1], v[10:11], 0, s[26:27]
	global_load_dwordx2 v[42:43], v[0:1], off
	ds_read_b64 v[0:1], v77
	ds_read_b64 v[56:57], v81 offset:256
	v_pk_add_f32 v[68:69], v[68:69], v[70:71]
	s_waitcnt vmcnt(3) lgkmcnt(1)
	v_mul_f32_e32 v2, v1, v53
	v_mul_f32_e32 v3, v1, v52
	s_waitcnt vmcnt(2)
	v_mul_f32_e32 v8, v1, v47
	v_mul_f32_e32 v61, v1, v46
	s_waitcnt vmcnt(1)
	;; [unrolled: 3-line block ×3, first 2 shown]
	v_mul_f32_e32 v64, v1, v43
	v_mul_f32_e32 v65, v0, v43
	v_fma_f32 v2, v0, v52, -v2
	v_fmac_f32_e32 v3, v0, v53
	v_fma_f32 v60, v0, v46, -v8
	v_fmac_f32_e32 v61, v0, v47
	;; [unrolled: 2-line block ×4, first 2 shown]
	ds_write2_b64 v82, v[2:3], v[60:61] offset1:67
	ds_write2_b64 v82, v[62:63], v[64:65] offset0:134 offset1:201
	ds_read2_b64 v[0:3], v81 offset0:33 offset1:34
	ds_read_b64 v[60:61], v81 offset:280
	s_waitcnt lgkmcnt(0)
	s_barrier
	ds_read2_b64 v[94:97], v80 offset1:1
	ds_read2_b64 v[98:101], v80 offset0:2 offset1:3
	s_waitcnt lgkmcnt(0)
	s_barrier
	global_load_dwordx2 v[66:67], v[58:59], off
	v_lshl_add_u64 v[58:59], v[10:11], 0, s[34:35]
	global_load_dwordx2 v[64:65], v[58:59], off
	v_lshl_add_u64 v[58:59], v[10:11], 0, s[28:29]
	;; [unrolled: 2-line block ×3, first 2 shown]
	global_load_dwordx2 v[58:59], v[58:59], off
	v_pk_add_f32 v[68:69], v[68:69], v[72:73]
	v_pk_add_f32 v[72:73], v[94:95], 0 op_sel_hi:[1,0]
	v_pk_add_f32 v[102:103], v[68:69], v[74:75]
	v_pk_add_f32 v[68:69], v[86:87], 0 op_sel_hi:[1,0]
	v_pk_add_f32 v[72:73], v[72:73], v[96:97]
	v_pk_add_f32 v[68:69], v[68:69], v[88:89]
	;; [unrolled: 1-line block ×6, first 2 shown]
	ds_read_b64 v[70:71], v77
	ds_read_b64 v[68:69], v81 offset:384
	s_waitcnt vmcnt(3) lgkmcnt(1)
	v_mul_f32_e32 v8, v71, v67
	v_mul_f32_e32 v73, v71, v66
	s_waitcnt vmcnt(2)
	v_mul_f32_e32 v74, v71, v65
	v_mul_f32_e32 v87, v71, v64
	v_fma_f32 v72, v70, v66, -v8
	v_fmac_f32_e32 v73, v70, v67
	s_waitcnt vmcnt(1)
	v_mul_f32_e32 v75, v71, v63
	v_mul_f32_e32 v89, v71, v62
	v_fma_f32 v86, v70, v64, -v74
	v_fmac_f32_e32 v87, v70, v65
	ds_write_b64 v82, v[72:73]
	s_waitcnt vmcnt(0)
	v_mul_f32_e32 v85, v71, v59
	v_mul_f32_e32 v91, v70, v59
	v_fma_f32 v88, v70, v62, -v75
	v_fmac_f32_e32 v89, v70, v63
	ds_read_b64 v[74:75], v81 offset:392
	ds_write_b64 v82, v[86:87] offset:536
	v_fma_f32 v90, v70, v58, -v85
	v_fmac_f32_e32 v91, v71, v58
	ds_read_b64 v[72:73], v81 offset:400
	ds_write_b64 v82, v[88:89] offset:1072
	ds_read_b64 v[70:71], v81 offset:408
	ds_write_b64 v82, v[90:91] offset:1608
	s_waitcnt lgkmcnt(0)
	s_barrier
	ds_read2_b64 v[86:89], v80 offset1:1
	ds_read2_b64 v[90:93], v80 offset0:2 offset1:3
	s_waitcnt lgkmcnt(0)
	s_barrier
	v_pk_add_f32 v[86:87], v[86:87], 0 op_sel_hi:[1,0]
	ds_write2_b64 v83, v[102:103], v[104:105] offset1:16
	v_pk_add_f32 v[86:87], v[86:87], v[88:89]
	s_nop 0
	v_pk_add_f32 v[86:87], v[86:87], v[90:91]
	s_nop 0
	v_pk_add_f32 v[86:87], v[86:87], v[92:93]
	ds_write2_b64 v83, v[94:95], v[86:87] offset0:32 offset1:48
	s_waitcnt lgkmcnt(0)
	s_barrier
	s_and_saveexec_b64 s[44:45], s[0:1]
	s_cbranch_execz .LBB120_90
; %bb.94:                               ;   in Loop: Header=BB120_91 Depth=1
	ds_read_b64 v[94:95], v78
	ds_read2_b64 v[86:89], v78 offset0:1 offset1:2
	ds_read2_b64 v[90:93], v78 offset0:3 offset1:4
	s_waitcnt lgkmcnt(1)
	v_add_f32_e32 v8, v86, v94
	v_add_f32_e32 v85, v87, v95
	;; [unrolled: 1-line block ×4, first 2 shown]
	ds_read2_b64 v[86:89], v78 offset0:5 offset1:6
	s_waitcnt lgkmcnt(1)
	v_add_f32_e32 v8, v8, v90
	v_add_f32_e32 v85, v85, v91
	v_add_f32_e32 v94, v8, v92
	v_add_f32_e32 v95, v85, v93
	ds_read2_b64 v[90:93], v78 offset0:7 offset1:8
	s_waitcnt lgkmcnt(1)
	v_pk_add_f32 v[86:87], v[94:95], v[86:87]
	ds_read2_b64 v[94:97], v78 offset0:9 offset1:10
	v_pk_add_f32 v[86:87], v[86:87], v[88:89]
	v_add_u32_e32 v8, s3, v84
	s_waitcnt lgkmcnt(1)
	v_pk_add_f32 v[86:87], v[86:87], v[90:91]
	v_lshl_add_u64 v[98:99], v[8:9], 3, s[6:7]
	v_pk_add_f32 v[90:91], v[86:87], v[92:93]
	ds_read2_b64 v[86:89], v78 offset0:11 offset1:12
	s_waitcnt lgkmcnt(1)
	v_pk_add_f32 v[94:95], v[90:91], v[94:95]
	ds_read2_b64 v[90:93], v78 offset0:13 offset1:14
	v_pk_add_f32 v[94:95], v[94:95], v[96:97]
	ds_read_b64 v[96:97], v79
	s_waitcnt lgkmcnt(2)
	v_pk_add_f32 v[86:87], v[94:95], v[86:87]
	s_nop 0
	v_pk_add_f32 v[86:87], v[86:87], v[88:89]
	s_waitcnt lgkmcnt(1)
	v_pk_add_f32 v[86:87], v[86:87], v[90:91]
	s_nop 0
	v_pk_add_f32 v[86:87], v[86:87], v[92:93]
	s_waitcnt lgkmcnt(0)
	v_pk_add_f32 v[86:87], v[86:87], v[96:97]
	global_store_dwordx2 v[98:99], v[86:87], off
	s_branch .LBB120_90
.LBB120_95:
	s_movk_i32 s0, 0x218
	v_mad_u32_u24 v0, v76, s0, v4
	s_or_b64 s[0:1], s[4:5], vcc
	s_xor_b64 s[0:1], s[0:1], -1
	ds_write_b64 v0, v[18:19]
	s_waitcnt lgkmcnt(0)
	s_barrier
	s_and_saveexec_b64 s[2:3], s[0:1]
	s_cbranch_execz .LBB120_97
; %bb.96:
	ds_read2_b64 v[0:3], v4 offset1:67
	ds_read2_b64 v[4:7], v4 offset0:134 offset1:201
	v_lshl_add_u64 v[8:9], v[16:17], 3, s[6:7]
	s_waitcnt lgkmcnt(1)
	v_pk_add_f32 v[0:1], v[2:3], v[0:1]
	s_waitcnt lgkmcnt(0)
	v_pk_add_f32 v[0:1], v[0:1], v[4:5]
	s_nop 0
	v_pk_add_f32 v[0:1], v[0:1], v[6:7]
	global_store_dwordx2 v[8:9], v[0:1], off
.LBB120_97:
	s_endpgm
	.section	.rodata,"a",@progbits
	.p2align	6, 0x0
	.amdhsa_kernel _ZL26rocblas_hemvn_kernel_lowerILb0ELi64ELi4ELi33ELi32ELi16El19rocblas_complex_numIfEPKS1_PS1_EviT6_lT7_lT5_lS6_lS7_lS5_lT8_i
		.amdhsa_group_segment_fixed_size 9600
		.amdhsa_private_segment_fixed_size 0
		.amdhsa_kernarg_size 376
		.amdhsa_user_sgpr_count 2
		.amdhsa_user_sgpr_dispatch_ptr 0
		.amdhsa_user_sgpr_queue_ptr 0
		.amdhsa_user_sgpr_kernarg_segment_ptr 1
		.amdhsa_user_sgpr_dispatch_id 0
		.amdhsa_user_sgpr_kernarg_preload_length 0
		.amdhsa_user_sgpr_kernarg_preload_offset 0
		.amdhsa_user_sgpr_private_segment_size 0
		.amdhsa_uses_dynamic_stack 0
		.amdhsa_enable_private_segment 0
		.amdhsa_system_sgpr_workgroup_id_x 1
		.amdhsa_system_sgpr_workgroup_id_y 0
		.amdhsa_system_sgpr_workgroup_id_z 1
		.amdhsa_system_sgpr_workgroup_info 0
		.amdhsa_system_vgpr_workitem_id 1
		.amdhsa_next_free_vgpr 106
		.amdhsa_next_free_sgpr 53
		.amdhsa_accum_offset 108
		.amdhsa_reserve_vcc 1
		.amdhsa_float_round_mode_32 0
		.amdhsa_float_round_mode_16_64 0
		.amdhsa_float_denorm_mode_32 3
		.amdhsa_float_denorm_mode_16_64 3
		.amdhsa_dx10_clamp 1
		.amdhsa_ieee_mode 1
		.amdhsa_fp16_overflow 0
		.amdhsa_tg_split 0
		.amdhsa_exception_fp_ieee_invalid_op 0
		.amdhsa_exception_fp_denorm_src 0
		.amdhsa_exception_fp_ieee_div_zero 0
		.amdhsa_exception_fp_ieee_overflow 0
		.amdhsa_exception_fp_ieee_underflow 0
		.amdhsa_exception_fp_ieee_inexact 0
		.amdhsa_exception_int_div_zero 0
	.end_amdhsa_kernel
	.section	.text._ZL26rocblas_hemvn_kernel_lowerILb0ELi64ELi4ELi33ELi32ELi16El19rocblas_complex_numIfEPKS1_PS1_EviT6_lT7_lT5_lS6_lS7_lS5_lT8_i,"axG",@progbits,_ZL26rocblas_hemvn_kernel_lowerILb0ELi64ELi4ELi33ELi32ELi16El19rocblas_complex_numIfEPKS1_PS1_EviT6_lT7_lT5_lS6_lS7_lS5_lT8_i,comdat
.Lfunc_end120:
	.size	_ZL26rocblas_hemvn_kernel_lowerILb0ELi64ELi4ELi33ELi32ELi16El19rocblas_complex_numIfEPKS1_PS1_EviT6_lT7_lT5_lS6_lS7_lS5_lT8_i, .Lfunc_end120-_ZL26rocblas_hemvn_kernel_lowerILb0ELi64ELi4ELi33ELi32ELi16El19rocblas_complex_numIfEPKS1_PS1_EviT6_lT7_lT5_lS6_lS7_lS5_lT8_i
                                        ; -- End function
	.section	.AMDGPU.csdata,"",@progbits
; Kernel info:
; codeLenInByte = 7544
; NumSgprs: 59
; NumVgprs: 106
; NumAgprs: 0
; TotalNumVgprs: 106
; ScratchSize: 0
; MemoryBound: 1
; FloatMode: 240
; IeeeMode: 1
; LDSByteSize: 9600 bytes/workgroup (compile time only)
; SGPRBlocks: 7
; VGPRBlocks: 13
; NumSGPRsForWavesPerEU: 59
; NumVGPRsForWavesPerEU: 106
; AccumOffset: 108
; Occupancy: 4
; WaveLimiterHint : 0
; COMPUTE_PGM_RSRC2:SCRATCH_EN: 0
; COMPUTE_PGM_RSRC2:USER_SGPR: 2
; COMPUTE_PGM_RSRC2:TRAP_HANDLER: 0
; COMPUTE_PGM_RSRC2:TGID_X_EN: 1
; COMPUTE_PGM_RSRC2:TGID_Y_EN: 0
; COMPUTE_PGM_RSRC2:TGID_Z_EN: 1
; COMPUTE_PGM_RSRC2:TIDIG_COMP_CNT: 1
; COMPUTE_PGM_RSRC3_GFX90A:ACCUM_OFFSET: 26
; COMPUTE_PGM_RSRC3_GFX90A:TG_SPLIT: 0
	.section	.text._ZL26rocblas_hemvn_kernel_lowerILb0ELi64ELi4ELi33ELi32ELi16Ei19rocblas_complex_numIfEPKS1_PS1_EviT6_lT7_lT5_lS6_lS7_lS5_lT8_i,"axG",@progbits,_ZL26rocblas_hemvn_kernel_lowerILb0ELi64ELi4ELi33ELi32ELi16Ei19rocblas_complex_numIfEPKS1_PS1_EviT6_lT7_lT5_lS6_lS7_lS5_lT8_i,comdat
	.globl	_ZL26rocblas_hemvn_kernel_lowerILb0ELi64ELi4ELi33ELi32ELi16Ei19rocblas_complex_numIfEPKS1_PS1_EviT6_lT7_lT5_lS6_lS7_lS5_lT8_i ; -- Begin function _ZL26rocblas_hemvn_kernel_lowerILb0ELi64ELi4ELi33ELi32ELi16Ei19rocblas_complex_numIfEPKS1_PS1_EviT6_lT7_lT5_lS6_lS7_lS5_lT8_i
	.p2align	8
	.type	_ZL26rocblas_hemvn_kernel_lowerILb0ELi64ELi4ELi33ELi32ELi16Ei19rocblas_complex_numIfEPKS1_PS1_EviT6_lT7_lT5_lS6_lS7_lS5_lT8_i,@function
_ZL26rocblas_hemvn_kernel_lowerILb0ELi64ELi4ELi33ELi32ELi16Ei19rocblas_complex_numIfEPKS1_PS1_EviT6_lT7_lT5_lS6_lS7_lS5_lT8_i: ; @_ZL26rocblas_hemvn_kernel_lowerILb0ELi64ELi4ELi33ELi32ELi16Ei19rocblas_complex_numIfEPKS1_PS1_EviT6_lT7_lT5_lS6_lS7_lS5_lT8_i
; %bb.0:
	s_load_dwordx2 s[6:7], s[0:1], 0x84
	s_add_u32 s4, s0, 0x78
	s_addc_u32 s5, s1, 0
	s_waitcnt lgkmcnt(0)
	s_lshr_b32 s8, s6, 16
	s_and_b32 s6, s6, 0xffff
	s_and_b32 s7, s7, 0xffff
	s_mul_i32 s6, s8, s6
	s_mul_i32 s6, s6, s7
	s_cmpk_lg_i32 s6, 0x100
	s_cbranch_scc1 .LBB121_97
; %bb.1:
	s_load_dwordx2 s[6:7], s[0:1], 0x4
	s_mov_b64 s[8:9], -1
	s_waitcnt lgkmcnt(0)
	s_or_b32 s6, s6, s7
	s_bitset0_b32 s6, 31
	s_cmp_lg_u32 s6, 0
	s_cselect_b64 s[6:7], -1, 0
	s_and_b64 vcc, exec, s[6:7]
	s_cbranch_vccnz .LBB121_3
; %bb.2:
	s_load_dwordx2 s[8:9], s[0:1], 0x58
	s_waitcnt lgkmcnt(0)
	v_cmp_neq_f32_e64 s[10:11], s8, 1.0
	v_cmp_neq_f32_e64 s[8:9], s9, 0
	s_or_b64 s[8:9], s[10:11], s[8:9]
.LBB121_3:
	s_andn2_b64 vcc, exec, s[8:9]
	s_cbranch_vccnz .LBB121_97
; %bb.4:
	s_andn2_b64 vcc, exec, s[6:7]
	s_cbranch_vccnz .LBB121_97
; %bb.5:
	s_load_dwordx2 s[6:7], s[0:1], 0x50
	s_load_dwordx2 s[12:13], s[0:1], 0x40
	s_load_dword s33, s[0:1], 0x48
	s_load_dword s39, s[4:5], 0x0
	s_load_dword s38, s[0:1], 0x0
	s_load_dwordx4 s[8:11], s[0:1], 0x30
	s_waitcnt lgkmcnt(0)
	s_mul_i32 s4, s3, s7
	s_mul_hi_u32 s5, s3, s6
	s_add_i32 s5, s5, s4
	s_mul_i32 s4, s3, s6
	s_lshl_b64 s[4:5], s[4:5], 3
	s_add_u32 s6, s10, s4
	s_addc_u32 s7, s11, s5
	s_lshl_b64 s[4:5], s[12:13], 3
	s_add_u32 s4, s6, s4
	s_addc_u32 s5, s7, s5
	s_ashr_i32 s40, s38, 31
	s_lshr_b32 s7, s40, 26
	v_and_b32_e32 v26, 0x3ff, v0
	s_lshl_b32 s26, s2, 6
	s_add_i32 s7, s38, s7
	s_andn2_b32 s7, s7, 63
	v_add_u32_e32 v16, s26, v26
	v_bfe_u32 v17, v0, 10, 10
	s_add_i32 s6, s39, -1
	s_sub_i32 s7, s38, s7
	v_mul_lo_u32 v0, v16, s33
	s_cmp_eq_u32 s2, s6
	v_ashrrev_i32_e32 v1, 31, v0
	s_cselect_b32 s24, s7, 0
	v_lshl_add_u64 v[20:21], v[0:1], 3, s[4:5]
	v_cmp_ne_u32_e64 s[4:5], 0, v17
	v_cmp_eq_u32_e64 s[18:19], 0, v17
	s_and_saveexec_b64 s[6:7], s[18:19]
	s_cbranch_execz .LBB121_10
; %bb.6:
	s_cmp_lg_u32 s24, 0
	s_cselect_b64 s[10:11], -1, 0
	v_cmp_le_i32_e32 vcc, s24, v26
	v_mov_b32_e32 v0, 0x2380
	s_and_b64 s[10:11], s[10:11], vcc
	v_lshl_add_u32 v0, v26, 3, v0
	s_and_saveexec_b64 s[12:13], s[10:11]
	s_xor_b64 s[10:11], exec, s[12:13]
	s_cbranch_execz .LBB121_8
; %bb.7:
	v_mov_b32_e32 v2, 0
	v_mov_b32_e32 v3, v2
	ds_write_b64 v0, v[2:3]
                                        ; implicit-def: $vgpr0
.LBB121_8:
	s_andn2_saveexec_b64 s[10:11], s[10:11]
	s_cbranch_execz .LBB121_10
; %bb.9:
	global_load_dwordx2 v[2:3], v[20:21], off
	s_waitcnt vmcnt(0)
	ds_write_b64 v0, v[2:3]
.LBB121_10:
	s_or_b64 exec, exec, s[6:7]
	s_load_dwordx4 s[12:15], s[0:1], 0x18
	s_load_dword s22, s[0:1], 0x28
	s_mul_i32 s6, s3, s9
	s_mul_hi_u32 s7, s3, s8
	s_add_i32 s7, s7, s6
	s_mul_i32 s6, s3, s8
	s_lshl_b64 s[6:7], s[6:7], 3
	s_waitcnt lgkmcnt(0)
	s_add_u32 s8, s12, s6
	s_addc_u32 s9, s13, s7
	s_lshl_b64 s[6:7], s[14:15], 3
	s_add_u32 s8, s8, s6
	s_addc_u32 s9, s9, s7
	s_ashr_i32 s27, s26, 31
	v_lshl_add_u32 v27, v17, 6, v26
	s_lshl_b64 s[6:7], s[26:27], 3
	v_and_b32_e32 v0, 31, v26
	v_lshrrev_b32_e32 v1, 5, v27
	s_add_u32 s8, s8, s6
	s_addc_u32 s9, s9, s7
	v_mad_u64_u32 v[22:23], s[6:7], v1, s22, v[0:1]
	s_mul_i32 s6, s26, s22
	s_ashr_i32 s7, s6, 31
	s_lshl_b64 s[28:29], s[6:7], 3
	s_add_u32 s6, s28, s8
	s_addc_u32 s7, s29, s9
	s_cmp_lg_u32 s24, 0
	v_ashrrev_i32_e32 v23, 31, v22
	s_cselect_b64 s[30:31], -1, 0
	s_cmp_eq_u32 s24, 0
	v_lshl_add_u64 v[2:3], v[22:23], 3, s[6:7]
	s_cselect_b64 s[20:21], -1, 0
	s_and_b64 vcc, exec, s[30:31]
	s_cbranch_vccnz .LBB121_12
; %bb.11:
	s_lshl_b32 s6, s22, 3
	s_ashr_i32 s7, s6, 31
	s_ashr_i32 s23, s22, 31
	global_load_dwordx2 v[4:5], v[2:3], off
	v_lshl_add_u64 v[6:7], s[6:7], 3, v[2:3]
	global_load_dwordx2 v[8:9], v[6:7], off
	s_lshl_b64 s[6:7], s[22:23], 6
	v_lshl_add_u64 v[6:7], v[6:7], 0, s[6:7]
	global_load_dwordx2 v[10:11], v[6:7], off
	v_lshl_add_u64 v[6:7], v[6:7], 0, s[6:7]
	global_load_dwordx2 v[6:7], v[6:7], off
	v_mul_u32_u24_e32 v12, 33, v1
	v_add_lshl_u32 v12, v12, v0, 3
	s_waitcnt vmcnt(3)
	ds_write_b64 v12, v[4:5]
	s_waitcnt vmcnt(2)
	ds_write_b64 v12, v[8:9] offset:2112
	s_waitcnt vmcnt(1)
	ds_write_b64 v12, v[10:11] offset:4224
	;; [unrolled: 2-line block ×3, first 2 shown]
	s_cbranch_execz .LBB121_13
	s_branch .LBB121_28
.LBB121_12:
.LBB121_13:
	v_lshlrev_b32_e32 v4, 3, v0
	v_sub_co_u32_e32 v6, vcc, v2, v4
	s_ashr_i32 s25, s24, 31
	s_nop 0
	v_subbrev_co_u32_e32 v7, vcc, 0, v3, vcc
	v_lshl_add_u64 v[6:7], s[24:25], 3, v[6:7]
	v_lshl_add_u64 v[6:7], v[6:7], 0, -8
	v_cmp_gt_i32_e32 vcc, s24, v0
	v_mov_b32_e32 v8, 0
	v_cmp_gt_i32_e64 s[6:7], s24, v1
	v_cndmask_b32_e32 v7, v7, v3, vcc
	v_cndmask_b32_e32 v6, v6, v2, vcc
	v_mov_b32_e32 v9, v8
	s_and_saveexec_b64 s[8:9], s[6:7]
	s_cbranch_execz .LBB121_15
; %bb.14:
	global_load_dwordx2 v[8:9], v[6:7], off
.LBB121_15:
	s_or_b64 exec, exec, s[8:9]
	v_mul_u32_u24_e32 v5, 33, v1
	v_add_lshl_u32 v5, v5, v0, 3
	s_waitcnt vmcnt(0)
	ds_write_b64 v5, v[8:9]
	v_add_u32_e32 v8, 8, v1
	v_cmp_le_i32_e64 s[6:7], s24, v8
	s_and_saveexec_b64 s[8:9], s[6:7]
	s_xor_b64 s[6:7], exec, s[8:9]
	s_cbranch_execz .LBB121_17
; %bb.16:
	v_mul_u32_u24_e32 v8, 33, v8
	v_add_lshl_u32 v10, v8, v0, 3
	v_mov_b32_e32 v8, 0
	v_mov_b32_e32 v9, v8
	ds_write_b64 v10, v[8:9]
.LBB121_17:
	s_andn2_saveexec_b64 s[6:7], s[6:7]
	s_cbranch_execz .LBB121_19
; %bb.18:
	s_lshl_b32 s8, s22, 3
	s_ashr_i32 s9, s8, 31
	v_lshl_add_u64 v[8:9], s[8:9], 3, v[6:7]
	global_load_dwordx2 v[8:9], v[8:9], off
	s_waitcnt vmcnt(0)
	ds_write_b64 v5, v[8:9] offset:2112
.LBB121_19:
	s_or_b64 exec, exec, s[6:7]
	v_add_u32_e32 v8, 16, v1
	v_cmp_le_i32_e64 s[6:7], s24, v8
	s_and_saveexec_b64 s[8:9], s[6:7]
	s_xor_b64 s[6:7], exec, s[8:9]
	s_cbranch_execz .LBB121_21
; %bb.20:
	v_mov_b32_e32 v8, 0
	v_mov_b32_e32 v9, v8
	ds_write_b64 v5, v[8:9] offset:4224
.LBB121_21:
	s_andn2_saveexec_b64 s[6:7], s[6:7]
	s_cbranch_execz .LBB121_23
; %bb.22:
	s_lshl_b32 s8, s22, 4
	s_ashr_i32 s9, s8, 31
	v_lshl_add_u64 v[8:9], s[8:9], 3, v[6:7]
	global_load_dwordx2 v[8:9], v[8:9], off
	s_waitcnt vmcnt(0)
	ds_write_b64 v5, v[8:9] offset:4224
.LBB121_23:
	s_or_b64 exec, exec, s[6:7]
	v_add_u32_e32 v8, 24, v1
	v_cmp_le_i32_e64 s[6:7], s24, v8
	s_and_saveexec_b64 s[8:9], s[6:7]
	s_xor_b64 s[6:7], exec, s[8:9]
	s_cbranch_execz .LBB121_25
; %bb.24:
	v_mov_b32_e32 v8, 0
	v_mov_b32_e32 v9, v8
	ds_write_b64 v5, v[8:9] offset:6336
                                        ; implicit-def: $vgpr5
.LBB121_25:
	s_andn2_saveexec_b64 s[6:7], s[6:7]
	s_cbranch_execz .LBB121_27
; %bb.26:
	s_mul_i32 s8, s22, 24
	s_ashr_i32 s9, s8, 31
	v_lshl_add_u64 v[8:9], s[8:9], 3, v[6:7]
	global_load_dwordx2 v[8:9], v[8:9], off
	s_waitcnt vmcnt(0)
	ds_write_b64 v5, v[8:9] offset:6336
.LBB121_27:
	s_or_b64 exec, exec, s[6:7]
	v_mov_b32_e32 v5, 0
	v_lshl_add_u64 v[4:5], v[6:7], 0, v[4:5]
	s_lshl_b64 s[6:7], s[24:25], 3
	v_mov_b32_e32 v6, s7
	v_subrev_co_u32_e64 v4, s[6:7], s6, v4
	s_nop 1
	v_subb_co_u32_e64 v5, s[6:7], v5, v6, s[6:7]
	v_lshl_add_u64 v[4:5], v[4:5], 0, 8
	v_cndmask_b32_e32 v3, v5, v3, vcc
	v_cndmask_b32_e32 v2, v4, v2, vcc
.LBB121_28:
	v_lshlrev_b32_e32 v4, 2, v1
	v_mul_u32_u24_e32 v28, 33, v0
	v_cmp_lt_u32_e64 s[8:9], v4, v0
	v_add_lshl_u32 v12, v4, v28, 3
	s_waitcnt lgkmcnt(0)
	s_barrier
	s_and_saveexec_b64 s[6:7], s[8:9]
	s_cbranch_execz .LBB121_30
; %bb.29:
	v_mul_u32_u24_e32 v5, 0x84, v1
	v_add_lshl_u32 v5, v5, v0, 3
	ds_read_b64 v[6:7], v5
	s_waitcnt lgkmcnt(0)
	ds_write_b64 v12, v[6:7]
.LBB121_30:
	s_or_b64 exec, exec, s[6:7]
	v_or_b32_e32 v5, 1, v4
	v_cmp_lt_u32_e64 s[10:11], v5, v0
	s_and_saveexec_b64 s[6:7], s[10:11]
	s_cbranch_execz .LBB121_32
; %bb.31:
	v_mul_u32_u24_e32 v5, 33, v5
	v_add_lshl_u32 v5, v5, v0, 3
	ds_read_b64 v[6:7], v5
	s_waitcnt lgkmcnt(0)
	ds_write_b64 v12, v[6:7] offset:8
.LBB121_32:
	s_or_b64 exec, exec, s[6:7]
	v_or_b32_e32 v5, 2, v4
	v_cmp_lt_u32_e64 s[12:13], v5, v0
	s_and_saveexec_b64 s[6:7], s[12:13]
	s_cbranch_execz .LBB121_34
; %bb.33:
	v_mul_u32_u24_e32 v5, 33, v5
	v_add_lshl_u32 v5, v5, v0, 3
	ds_read_b64 v[6:7], v5
	s_waitcnt lgkmcnt(0)
	ds_write_b64 v12, v[6:7] offset:16
.LBB121_34:
	s_or_b64 exec, exec, s[6:7]
	v_or_b32_e32 v5, 3, v4
	v_cmp_lt_u32_e64 s[14:15], v5, v0
	v_mad_u32_u24 v5, v5, 33, v0
	v_lshlrev_b32_e32 v10, 3, v5
	s_and_saveexec_b64 s[6:7], s[14:15]
	s_cbranch_execz .LBB121_36
; %bb.35:
	ds_read_b64 v[6:7], v10
	s_waitcnt lgkmcnt(0)
	ds_write_b64 v12, v[6:7] offset:24
.LBB121_36:
	s_or_b64 exec, exec, s[6:7]
	v_mul_u32_u24_e32 v5, 0x84, v1
	v_add_lshl_u32 v13, v5, v0, 3
	s_waitcnt lgkmcnt(0)
	s_barrier
	v_lshlrev_b32_e32 v14, 3, v4
	v_add_u32_e32 v11, 0xfffffdf0, v10
	ds_read_b64 v[8:9], v13
	ds_read_b128 v[4:7], v14 offset:9088
	ds_read2_b64 v[30:33], v11 offset1:33
	ds_read_b64 v[18:19], v10
	ds_read_b128 v[34:37], v14 offset:9104
	s_mov_b32 s16, 0
	s_mov_b32 s17, s16
	s_waitcnt lgkmcnt(3)
	v_pk_mul_f32 v[24:25], v[4:5], v[8:9] op_sel:[0,1]
	v_add_lshl_u32 v29, v1, v28, 3
	v_pk_fma_f32 v[38:39], v[4:5], v[8:9], v[24:25] op_sel:[0,0,1] op_sel_hi:[1,1,0] neg_lo:[0,0,1] neg_hi:[0,0,1]
	v_pk_fma_f32 v[4:5], v[4:5], v[8:9], v[24:25] op_sel:[0,0,1] op_sel_hi:[1,0,0]
	s_waitcnt lgkmcnt(2)
	v_pk_mul_f32 v[8:9], v[6:7], v[30:31] op_sel:[0,1]
	v_mov_b32_e32 v39, v5
	v_pk_fma_f32 v[24:25], v[6:7], v[30:31], v[8:9] op_sel:[0,0,1] op_sel_hi:[1,1,0] neg_lo:[0,0,1] neg_hi:[0,0,1]
	v_pk_fma_f32 v[6:7], v[6:7], v[30:31], v[8:9] op_sel:[0,0,1] op_sel_hi:[1,0,0]
	v_pk_add_f32 v[4:5], v[38:39], 0 op_sel_hi:[1,0]
	v_mov_b32_e32 v25, v7
	s_waitcnt lgkmcnt(0)
	v_pk_mul_f32 v[6:7], v[34:35], v[32:33] op_sel:[0,1]
	v_pk_add_f32 v[4:5], v[4:5], v[24:25]
	v_pk_fma_f32 v[8:9], v[34:35], v[32:33], v[6:7] op_sel:[0,0,1] op_sel_hi:[1,1,0] neg_lo:[0,0,1] neg_hi:[0,0,1]
	v_pk_fma_f32 v[6:7], v[34:35], v[32:33], v[6:7] op_sel:[0,0,1] op_sel_hi:[1,0,0]
	v_cmp_gt_u32_e64 s[6:7], 32, v27
	v_mov_b32_e32 v9, v7
	v_pk_mul_f32 v[6:7], v[36:37], v[18:19] op_sel:[0,1]
	v_pk_add_f32 v[4:5], v[4:5], v[8:9]
	v_pk_fma_f32 v[8:9], v[36:37], v[18:19], v[6:7] op_sel:[0,0,1] op_sel_hi:[1,1,0] neg_lo:[0,0,1] neg_hi:[0,0,1]
	v_pk_fma_f32 v[6:7], v[36:37], v[18:19], v[6:7] op_sel:[0,0,1] op_sel_hi:[1,0,0]
	v_mov_b64_e32 v[18:19], s[16:17]
	v_mov_b32_e32 v9, v7
	v_pk_add_f32 v[4:5], v[4:5], v[8:9]
	s_barrier
	ds_write_b64 v29, v[4:5]
	s_waitcnt lgkmcnt(0)
	s_barrier
	s_and_saveexec_b64 s[16:17], s[6:7]
	s_cbranch_execz .LBB121_38
; %bb.37:
	v_lshlrev_b32_e32 v8, 3, v28
	ds_read2_b64 v[4:7], v8 offset1:7
	ds_read2_b64 v[30:33], v8 offset0:1 offset1:2
	ds_read2_b64 v[34:37], v8 offset0:3 offset1:4
	s_waitcnt lgkmcnt(1)
	v_add_f32_e32 v4, v30, v4
	v_add_f32_e32 v5, v31, v5
	;; [unrolled: 1-line block ×4, first 2 shown]
	ds_read2_b64 v[30:33], v8 offset0:5 offset1:6
	s_waitcnt lgkmcnt(1)
	v_add_f32_e32 v4, v4, v34
	v_add_f32_e32 v5, v5, v35
	;; [unrolled: 1-line block ×4, first 2 shown]
	s_waitcnt lgkmcnt(0)
	v_add_f32_e32 v4, v4, v30
	v_add_f32_e32 v5, v5, v31
	;; [unrolled: 1-line block ×4, first 2 shown]
	v_pk_add_f32 v[18:19], v[4:5], v[6:7]
.LBB121_38:
	s_or_b64 exec, exec, s[16:17]
	s_lshl_b32 s34, s22, 5
	s_ashr_i32 s35, s34, 31
	v_lshl_add_u64 v[4:5], s[34:35], 3, v[2:3]
	s_mov_b64 s[36:37], 0x100
	v_cndmask_b32_e64 v2, 0, 1, s[20:21]
	v_cmp_ne_u32_e64 s[16:17], 1, v2
	s_andn2_b64 vcc, exec, s[20:21]
	v_lshl_add_u64 v[2:3], v[4:5], 0, s[36:37]
	s_barrier
	s_cbranch_vccnz .LBB121_40
; %bb.39:
	s_lshl_b32 s20, s22, 3
	s_ashr_i32 s21, s20, 31
	s_ashr_i32 s23, s22, 31
	v_lshl_add_u64 v[6:7], s[20:21], 3, v[4:5]
	s_lshl_b64 s[20:21], s[22:23], 6
	v_lshl_add_u64 v[8:9], v[6:7], 0, s[20:21]
	v_lshl_add_u64 v[24:25], v[8:9], 0, s[20:21]
	global_load_dwordx2 v[30:31], v[4:5], off offset:256
	global_load_dwordx2 v[32:33], v[6:7], off offset:256
	;; [unrolled: 1-line block ×4, first 2 shown]
	v_mul_u32_u24_e32 v4, 33, v1
	v_add_lshl_u32 v4, v4, v0, 3
	s_waitcnt vmcnt(3)
	ds_write_b64 v4, v[30:31]
	s_waitcnt vmcnt(2)
	ds_write_b64 v4, v[32:33] offset:2112
	s_waitcnt vmcnt(1)
	ds_write_b64 v4, v[34:35] offset:4224
	s_waitcnt vmcnt(0)
	ds_write_b64 v4, v[36:37] offset:6336
	s_cbranch_execz .LBB121_41
	s_branch .LBB121_56
.LBB121_40:
.LBB121_41:
	v_lshlrev_b32_e32 v4, 3, v0
	v_sub_co_u32_e32 v6, vcc, v2, v4
	s_ashr_i32 s25, s24, 31
	s_nop 0
	v_subbrev_co_u32_e32 v7, vcc, 0, v3, vcc
	s_movk_i32 s20, 0xfef8
	v_or_b32_e32 v5, 32, v0
	v_lshl_add_u64 v[6:7], s[24:25], 3, v[6:7]
	s_mov_b32 s21, -1
	v_lshl_add_u64 v[6:7], v[6:7], 0, s[20:21]
	v_cmp_gt_i32_e32 vcc, s24, v5
	s_sub_i32 s23, s24, 32
	v_mov_b32_e32 v8, 0
	v_cndmask_b32_e32 v7, v7, v3, vcc
	v_cndmask_b32_e32 v6, v6, v2, vcc
	v_cmp_gt_i32_e64 s[20:21], s23, v1
	v_mov_b32_e32 v9, v8
	s_and_saveexec_b64 s[36:37], s[20:21]
	s_cbranch_execz .LBB121_43
; %bb.42:
	global_load_dwordx2 v[8:9], v[6:7], off
.LBB121_43:
	s_or_b64 exec, exec, s[36:37]
	v_mul_u32_u24_e32 v5, 33, v1
	v_add_lshl_u32 v5, v5, v0, 3
	s_waitcnt vmcnt(0)
	ds_write_b64 v5, v[8:9]
	v_add_u32_e32 v8, 8, v1
	v_cmp_le_i32_e64 s[20:21], s23, v8
	s_and_saveexec_b64 s[36:37], s[20:21]
	s_xor_b64 s[20:21], exec, s[36:37]
	s_cbranch_execz .LBB121_45
; %bb.44:
	v_mul_u32_u24_e32 v8, 33, v8
	v_add_lshl_u32 v15, v8, v0, 3
	v_mov_b32_e32 v8, 0
	v_mov_b32_e32 v9, v8
	ds_write_b64 v15, v[8:9]
.LBB121_45:
	s_andn2_saveexec_b64 s[20:21], s[20:21]
	s_cbranch_execz .LBB121_47
; %bb.46:
	s_lshl_b32 s36, s22, 3
	s_ashr_i32 s37, s36, 31
	v_lshl_add_u64 v[8:9], s[36:37], 3, v[6:7]
	global_load_dwordx2 v[8:9], v[8:9], off
	s_waitcnt vmcnt(0)
	ds_write_b64 v5, v[8:9] offset:2112
.LBB121_47:
	s_or_b64 exec, exec, s[20:21]
	v_add_u32_e32 v8, 16, v1
	v_cmp_le_i32_e64 s[20:21], s23, v8
	s_and_saveexec_b64 s[36:37], s[20:21]
	s_xor_b64 s[20:21], exec, s[36:37]
	s_cbranch_execz .LBB121_49
; %bb.48:
	v_mul_u32_u24_e32 v8, 33, v8
	v_add_lshl_u32 v15, v8, v0, 3
	v_mov_b32_e32 v8, 0
	v_mov_b32_e32 v9, v8
	ds_write_b64 v15, v[8:9]
.LBB121_49:
	s_andn2_saveexec_b64 s[20:21], s[20:21]
	s_cbranch_execz .LBB121_51
; %bb.50:
	s_lshl_b32 s36, s22, 4
	s_ashr_i32 s37, s36, 31
	v_lshl_add_u64 v[8:9], s[36:37], 3, v[6:7]
	global_load_dwordx2 v[8:9], v[8:9], off
	s_waitcnt vmcnt(0)
	ds_write_b64 v5, v[8:9] offset:4224
.LBB121_51:
	s_or_b64 exec, exec, s[20:21]
	v_add_u32_e32 v8, 24, v1
	v_cmp_le_i32_e64 s[20:21], s23, v8
	s_and_saveexec_b64 s[36:37], s[20:21]
	s_xor_b64 s[20:21], exec, s[36:37]
	s_cbranch_execz .LBB121_53
; %bb.52:
	v_mov_b32_e32 v8, 0
	v_mov_b32_e32 v9, v8
	ds_write_b64 v5, v[8:9] offset:6336
                                        ; implicit-def: $vgpr5
.LBB121_53:
	s_andn2_saveexec_b64 s[20:21], s[20:21]
	s_cbranch_execz .LBB121_55
; %bb.54:
	s_mul_i32 s36, s22, 24
	s_ashr_i32 s37, s36, 31
	v_lshl_add_u64 v[8:9], s[36:37], 3, v[6:7]
	global_load_dwordx2 v[8:9], v[8:9], off
	s_waitcnt vmcnt(0)
	ds_write_b64 v5, v[8:9] offset:6336
.LBB121_55:
	s_or_b64 exec, exec, s[20:21]
	v_mov_b32_e32 v5, 0
	v_lshl_add_u64 v[4:5], v[6:7], 0, v[4:5]
	s_lshl_b64 s[20:21], s[24:25], 3
	v_mov_b32_e32 v6, s21
	v_subrev_co_u32_e64 v4, s[20:21], s20, v4
	s_nop 1
	v_subb_co_u32_e64 v5, s[20:21], v5, v6, s[20:21]
	s_mov_b64 s[20:21], 0x108
	s_nop 0
	v_lshl_add_u64 v[4:5], v[4:5], 0, s[20:21]
	v_cndmask_b32_e32 v3, v5, v3, vcc
	v_cndmask_b32_e32 v2, v4, v2, vcc
.LBB121_56:
	v_add_u32_e32 v30, 0x2380, v14
	s_waitcnt lgkmcnt(0)
	s_barrier
	s_and_saveexec_b64 s[20:21], s[8:9]
	s_cbranch_execnz .LBB121_65
; %bb.57:
	s_or_b64 exec, exec, s[20:21]
	s_and_saveexec_b64 s[8:9], s[10:11]
	s_cbranch_execnz .LBB121_66
.LBB121_58:
	s_or_b64 exec, exec, s[8:9]
	s_and_saveexec_b64 s[8:9], s[12:13]
	s_cbranch_execnz .LBB121_67
.LBB121_59:
	s_or_b64 exec, exec, s[8:9]
	s_and_saveexec_b64 s[8:9], s[14:15]
	s_cbranch_execz .LBB121_61
.LBB121_60:
	ds_read_b64 v[4:5], v10
	s_waitcnt lgkmcnt(0)
	ds_write_b64 v12, v[4:5] offset:24
.LBB121_61:
	s_or_b64 exec, exec, s[8:9]
	s_waitcnt lgkmcnt(0)
	s_barrier
	ds_read_b64 v[14:15], v13
	ds_read_b128 v[4:7], v30 offset:256
	ds_read2_b64 v[32:35], v11 offset1:33
	ds_read_b64 v[24:25], v10
	ds_read_b128 v[8:11], v30 offset:272
	v_cmp_eq_u32_e64 s[8:9], 1, v1
	s_waitcnt lgkmcnt(3)
	v_pk_mul_f32 v[36:37], v[4:5], v[14:15] op_sel:[0,1]
	s_waitcnt lgkmcnt(0)
	v_pk_fma_f32 v[38:39], v[4:5], v[14:15], v[36:37] op_sel:[0,0,1] op_sel_hi:[1,1,0] neg_lo:[0,0,1] neg_hi:[0,0,1]
	v_pk_fma_f32 v[4:5], v[4:5], v[14:15], v[36:37] op_sel:[0,0,1] op_sel_hi:[1,0,0]
	v_pk_mul_f32 v[14:15], v[6:7], v[32:33] op_sel:[0,1]
	v_mov_b32_e32 v39, v5
	v_pk_fma_f32 v[36:37], v[6:7], v[32:33], v[14:15] op_sel:[0,0,1] op_sel_hi:[1,1,0] neg_lo:[0,0,1] neg_hi:[0,0,1]
	v_pk_fma_f32 v[6:7], v[6:7], v[32:33], v[14:15] op_sel:[0,0,1] op_sel_hi:[1,0,0]
	v_pk_add_f32 v[4:5], v[38:39], 0 op_sel_hi:[1,0]
	v_mov_b32_e32 v37, v7
	v_pk_mul_f32 v[6:7], v[8:9], v[34:35] op_sel:[0,1]
	v_pk_add_f32 v[4:5], v[4:5], v[36:37]
	v_pk_fma_f32 v[14:15], v[8:9], v[34:35], v[6:7] op_sel:[0,0,1] op_sel_hi:[1,1,0] neg_lo:[0,0,1] neg_hi:[0,0,1]
	v_pk_fma_f32 v[6:7], v[8:9], v[34:35], v[6:7] op_sel:[0,0,1] op_sel_hi:[1,0,0]
	s_barrier
	v_mov_b32_e32 v15, v7
	v_pk_mul_f32 v[6:7], v[10:11], v[24:25] op_sel:[0,1]
	v_pk_add_f32 v[4:5], v[4:5], v[14:15]
	v_pk_fma_f32 v[8:9], v[10:11], v[24:25], v[6:7] op_sel:[0,0,1] op_sel_hi:[1,1,0] neg_lo:[0,0,1] neg_hi:[0,0,1]
	v_pk_fma_f32 v[6:7], v[10:11], v[24:25], v[6:7] op_sel:[0,0,1] op_sel_hi:[1,0,0]
	s_nop 0
	v_mov_b32_e32 v9, v7
	v_pk_add_f32 v[4:5], v[4:5], v[8:9]
	ds_write_b64 v29, v[4:5]
	s_waitcnt lgkmcnt(0)
	s_barrier
	s_and_saveexec_b64 s[10:11], s[8:9]
	s_cbranch_execz .LBB121_63
; %bb.62:
	v_lshlrev_b32_e32 v13, 3, v28
	ds_read2_b64 v[4:7], v13 offset1:7
	ds_read2_b64 v[8:11], v13 offset0:1 offset1:2
	ds_read2_b64 v[32:35], v13 offset0:3 offset1:4
	s_waitcnt lgkmcnt(1)
	v_add_f32_e32 v4, v8, v4
	v_add_f32_e32 v5, v9, v5
	;; [unrolled: 1-line block ×4, first 2 shown]
	ds_read2_b64 v[8:11], v13 offset0:5 offset1:6
	s_waitcnt lgkmcnt(1)
	v_add_f32_e32 v4, v4, v32
	v_add_f32_e32 v5, v5, v33
	;; [unrolled: 1-line block ×4, first 2 shown]
	s_waitcnt lgkmcnt(0)
	v_add_f32_e32 v4, v4, v8
	v_add_f32_e32 v5, v5, v9
	v_pk_add_f32 v[4:5], v[4:5], v[10:11]
	s_nop 0
	v_pk_add_f32 v[18:19], v[4:5], v[6:7]
.LBB121_63:
	s_or_b64 exec, exec, s[10:11]
	s_lshl_b64 s[10:11], s[34:35], 3
	v_mov_b32_e32 v4, s11
	v_subrev_co_u32_e64 v24, s[10:11], s10, v2
	s_and_b64 vcc, exec, s[16:17]
	s_nop 0
	v_subb_co_u32_e64 v25, s[10:11], v3, v4, s[10:11]
	s_barrier
	s_cbranch_vccnz .LBB121_68
; %bb.64:
	s_lshl_b32 s10, s22, 3
	s_ashr_i32 s11, s10, 31
	s_ashr_i32 s23, s22, 31
	v_lshl_add_u64 v[2:3], s[10:11], 3, v[24:25]
	s_lshl_b64 s[10:11], s[22:23], 6
	v_lshl_add_u64 v[4:5], v[2:3], 0, s[10:11]
	v_lshl_add_u64 v[6:7], v[4:5], 0, s[10:11]
	global_load_dwordx2 v[14:15], v[24:25], off
	global_load_dwordx2 v[32:33], v[2:3], off
	;; [unrolled: 1-line block ×4, first 2 shown]
	v_mad_u32_u24 v8, v1, 33, v0
	v_add_u32_e32 v6, 8, v1
	v_add_u32_e32 v7, 16, v1
	;; [unrolled: 1-line block ×3, first 2 shown]
	v_lshlrev_b32_e32 v4, 3, v8
	v_add_u32_e32 v2, 0x108, v8
	v_add_u32_e32 v3, 0x210, v8
	;; [unrolled: 1-line block ×3, first 2 shown]
	s_waitcnt vmcnt(3)
	ds_write_b64 v4, v[14:15]
	s_waitcnt vmcnt(2)
	ds_write_b64 v4, v[32:33] offset:2112
	s_waitcnt vmcnt(1)
	ds_write_b64 v4, v[34:35] offset:4224
	;; [unrolled: 2-line block ×3, first 2 shown]
	s_cbranch_execz .LBB121_69
	s_branch .LBB121_84
.LBB121_65:
	ds_read_b64 v[4:5], v13
	s_waitcnt lgkmcnt(0)
	ds_write_b64 v12, v[4:5]
	s_or_b64 exec, exec, s[20:21]
	s_and_saveexec_b64 s[8:9], s[10:11]
	s_cbranch_execz .LBB121_58
.LBB121_66:
	ds_read_b64 v[4:5], v11
	s_waitcnt lgkmcnt(0)
	ds_write_b64 v12, v[4:5] offset:8
	s_or_b64 exec, exec, s[8:9]
	s_and_saveexec_b64 s[8:9], s[12:13]
	s_cbranch_execz .LBB121_59
.LBB121_67:
	ds_read_b64 v[4:5], v11 offset:264
	s_waitcnt lgkmcnt(0)
	ds_write_b64 v12, v[4:5] offset:16
	s_or_b64 exec, exec, s[8:9]
	s_and_saveexec_b64 s[8:9], s[14:15]
	s_cbranch_execnz .LBB121_60
	s_branch .LBB121_61
.LBB121_68:
                                        ; implicit-def: $vgpr8
                                        ; implicit-def: $vgpr6
                                        ; implicit-def: $vgpr2
                                        ; implicit-def: $vgpr7
                                        ; implicit-def: $vgpr3
                                        ; implicit-def: $vgpr9
                                        ; implicit-def: $vgpr10
.LBB121_69:
	v_lshlrev_b32_e32 v2, 3, v0
	v_sub_co_u32_e32 v4, vcc, v24, v2
	s_ashr_i32 s25, s24, 31
	s_nop 0
	v_subbrev_co_u32_e32 v5, vcc, 0, v25, vcc
	s_movk_i32 s10, 0xfef8
	v_or_b32_e32 v3, 32, v0
	v_lshl_add_u64 v[4:5], s[24:25], 3, v[4:5]
	s_mov_b32 s11, -1
	v_lshl_add_u64 v[4:5], v[4:5], 0, s[10:11]
	v_cmp_gt_i32_e32 vcc, s24, v3
	v_mov_b32_e32 v6, 0
	v_cmp_gt_i32_e64 s[10:11], s24, v1
	v_cndmask_b32_e32 v5, v5, v25, vcc
	v_cndmask_b32_e32 v4, v4, v24, vcc
	v_mov_b32_e32 v7, v6
	s_and_saveexec_b64 s[12:13], s[10:11]
	s_cbranch_execz .LBB121_71
; %bb.70:
	global_load_dwordx2 v[6:7], v[4:5], off
.LBB121_71:
	s_or_b64 exec, exec, s[12:13]
	v_mad_u32_u24 v8, v1, 33, v0
	v_lshlrev_b32_e32 v3, 3, v8
	s_waitcnt vmcnt(0)
	ds_write_b64 v3, v[6:7]
	v_add_u32_e32 v6, 8, v1
	v_cmp_le_i32_e64 s[10:11], s24, v6
	s_and_saveexec_b64 s[12:13], s[10:11]
	s_xor_b64 s[10:11], exec, s[12:13]
	s_cbranch_execz .LBB121_73
; %bb.72:
	v_mul_u32_u24_e32 v7, 33, v6
	v_mov_b32_e32 v10, 0
	v_add_lshl_u32 v7, v7, v0, 3
	v_mov_b32_e32 v11, v10
	ds_write_b64 v7, v[10:11]
.LBB121_73:
	s_andn2_saveexec_b64 s[10:11], s[10:11]
	s_cbranch_execz .LBB121_75
; %bb.74:
	s_lshl_b32 s12, s22, 3
	s_ashr_i32 s13, s12, 31
	v_lshl_add_u64 v[10:11], s[12:13], 3, v[4:5]
	global_load_dwordx2 v[10:11], v[10:11], off
	s_waitcnt vmcnt(0)
	ds_write_b64 v3, v[10:11] offset:2112
.LBB121_75:
	s_or_b64 exec, exec, s[10:11]
	v_add_u32_e32 v7, 16, v1
	v_cmp_le_i32_e64 s[10:11], s24, v7
	s_and_saveexec_b64 s[12:13], s[10:11]
	s_xor_b64 s[10:11], exec, s[12:13]
	s_cbranch_execz .LBB121_77
; %bb.76:
	v_mul_u32_u24_e32 v9, 33, v7
	v_mov_b32_e32 v10, 0
	v_add_lshl_u32 v9, v9, v0, 3
	v_mov_b32_e32 v11, v10
	ds_write_b64 v9, v[10:11]
.LBB121_77:
	s_andn2_saveexec_b64 s[10:11], s[10:11]
	s_cbranch_execz .LBB121_79
; %bb.78:
	s_lshl_b32 s12, s22, 4
	s_ashr_i32 s13, s12, 31
	v_lshl_add_u64 v[10:11], s[12:13], 3, v[4:5]
	global_load_dwordx2 v[10:11], v[10:11], off
	s_waitcnt vmcnt(0)
	ds_write_b64 v3, v[10:11] offset:4224
.LBB121_79:
	s_or_b64 exec, exec, s[10:11]
	v_add_u32_e32 v9, 24, v1
	v_cmp_le_i32_e64 s[10:11], s24, v9
                                        ; implicit-def: $vgpr10
	s_and_saveexec_b64 s[12:13], s[10:11]
	s_xor_b64 s[10:11], exec, s[12:13]
	s_cbranch_execz .LBB121_81
; %bb.80:
	v_mad_u32_u24 v10, v9, 33, v0
	v_mov_b32_e32 v14, 0
	v_lshlrev_b32_e32 v0, 3, v10
	v_mov_b32_e32 v15, v14
	ds_write_b64 v0, v[14:15]
                                        ; implicit-def: $vgpr3
.LBB121_81:
	s_andn2_saveexec_b64 s[10:11], s[10:11]
	s_cbranch_execz .LBB121_83
; %bb.82:
	s_mul_i32 s12, s22, 24
	s_ashr_i32 s13, s12, 31
	v_lshl_add_u64 v[10:11], s[12:13], 3, v[4:5]
	global_load_dwordx2 v[14:15], v[10:11], off
	v_add_u32_e32 v10, 0x318, v8
	s_waitcnt vmcnt(0)
	ds_write_b64 v3, v[14:15] offset:6336
.LBB121_83:
	s_or_b64 exec, exec, s[10:11]
	v_mov_b32_e32 v3, 0
	v_lshl_add_u64 v[2:3], v[4:5], 0, v[2:3]
	s_lshl_b64 s[10:11], s[24:25], 3
	v_mov_b32_e32 v0, s11
	v_subrev_co_u32_e64 v2, s[10:11], s10, v2
	s_nop 1
	v_subb_co_u32_e64 v3, s[10:11], v3, v0, s[10:11]
	s_mov_b64 s[10:11], 0x108
	s_nop 0
	v_lshl_add_u64 v[2:3], v[2:3], 0, s[10:11]
	v_cndmask_b32_e32 v25, v3, v25, vcc
	v_cndmask_b32_e32 v24, v2, v24, vcc
	v_add_u32_e32 v2, 0x108, v8
	v_add_u32_e32 v3, 0x210, v8
.LBB121_84:
	v_lshlrev_b32_e32 v0, 3, v8
	s_waitcnt lgkmcnt(0)
	s_barrier
	ds_read_b64 v[32:33], v0
	v_lshlrev_b32_e32 v4, 3, v1
	v_lshlrev_b32_e32 v5, 3, v2
	;; [unrolled: 1-line block ×7, first 2 shown]
	ds_read_b64 v[34:35], v0
	ds_read2_b64 v[8:11], v12 offset1:1
	ds_read2_b64 v[0:3], v12 offset0:2 offset1:3
	ds_read_b64 v[36:37], v6 offset:9088
	ds_read_b64 v[38:39], v5
	ds_read_b64 v[40:41], v4 offset:9088
	ds_read_b128 v[12:15], v30 offset:256
	ds_read_b128 v[4:7], v30 offset:272
	ds_read_b64 v[30:31], v31 offset:9088
	ds_read_b64 v[42:43], v42
	ds_read_b64 v[44:45], v44 offset:9088
	s_waitcnt lgkmcnt(5)
	v_pk_mul_f32 v[46:47], v[40:41], v[32:33] op_sel:[0,1]
	s_waitcnt lgkmcnt(0)
	v_pk_fma_f32 v[48:49], v[40:41], v[32:33], v[46:47] op_sel:[0,0,1] op_sel_hi:[1,1,0] neg_lo:[0,0,1] neg_hi:[0,0,1]
	v_pk_fma_f32 v[32:33], v[40:41], v[32:33], v[46:47] op_sel:[0,0,1] op_sel_hi:[1,0,0]
	v_pk_mul_f32 v[40:41], v[36:37], v[38:39] op_sel:[0,1]
	v_mov_b32_e32 v49, v33
	v_pk_fma_f32 v[46:47], v[36:37], v[38:39], v[40:41] op_sel:[0,0,1] op_sel_hi:[1,1,0] neg_lo:[0,0,1] neg_hi:[0,0,1]
	v_pk_fma_f32 v[36:37], v[36:37], v[38:39], v[40:41] op_sel:[0,0,1] op_sel_hi:[1,0,0]
	v_pk_add_f32 v[32:33], v[48:49], 0 op_sel_hi:[1,0]
	v_mov_b32_e32 v47, v37
	v_pk_mul_f32 v[36:37], v[44:45], v[34:35] op_sel:[0,1]
	v_pk_add_f32 v[32:33], v[32:33], v[46:47]
	v_pk_fma_f32 v[38:39], v[44:45], v[34:35], v[36:37] op_sel:[0,0,1] op_sel_hi:[1,1,0] neg_lo:[0,0,1] neg_hi:[0,0,1]
	v_pk_fma_f32 v[34:35], v[44:45], v[34:35], v[36:37] op_sel:[0,0,1] op_sel_hi:[1,0,0]
	s_barrier
	v_mov_b32_e32 v39, v35
	v_pk_mul_f32 v[34:35], v[30:31], v[42:43] op_sel:[0,1]
	v_pk_add_f32 v[32:33], v[32:33], v[38:39]
	v_pk_fma_f32 v[36:37], v[30:31], v[42:43], v[34:35] op_sel:[0,0,1] op_sel_hi:[1,1,0] neg_lo:[0,0,1] neg_hi:[0,0,1]
	v_pk_fma_f32 v[30:31], v[30:31], v[42:43], v[34:35] op_sel:[0,0,1] op_sel_hi:[1,0,0]
	s_nop 0
	v_mov_b32_e32 v37, v31
	v_pk_add_f32 v[30:31], v[32:33], v[36:37]
	ds_write_b64 v29, v[30:31]
	s_waitcnt lgkmcnt(0)
	s_barrier
	s_and_saveexec_b64 s[10:11], s[8:9]
	s_cbranch_execz .LBB121_86
; %bb.85:
	v_lshlrev_b32_e32 v42, 3, v28
	ds_read2_b64 v[30:33], v42 offset1:1
	ds_read2_b64 v[34:37], v42 offset0:2 offset1:3
	ds_read2_b64 v[38:41], v42 offset0:4 offset1:5
	s_waitcnt lgkmcnt(2)
	v_pk_add_f32 v[18:19], v[18:19], v[30:31]
	s_nop 0
	v_pk_add_f32 v[18:19], v[18:19], v[32:33]
	ds_read2_b64 v[30:33], v42 offset0:6 offset1:7
	s_waitcnt lgkmcnt(2)
	v_pk_add_f32 v[18:19], v[18:19], v[34:35]
	s_nop 0
	v_pk_add_f32 v[18:19], v[18:19], v[36:37]
	s_waitcnt lgkmcnt(1)
	v_pk_add_f32 v[18:19], v[18:19], v[38:39]
	s_nop 0
	v_pk_add_f32 v[18:19], v[18:19], v[40:41]
	;; [unrolled: 4-line block ×3, first 2 shown]
.LBB121_86:
	s_or_b64 exec, exec, s[10:11]
	v_pk_mul_f32 v[30:31], v[12:13], v[8:9] op_sel:[0,1]
	s_nop 0
	v_pk_fma_f32 v[32:33], v[12:13], v[8:9], v[30:31] op_sel:[0,0,1] op_sel_hi:[1,1,0] neg_lo:[0,0,1] neg_hi:[0,0,1]
	v_pk_fma_f32 v[8:9], v[12:13], v[8:9], v[30:31] op_sel:[0,0,1] op_sel_hi:[1,0,0]
	v_mov_b32_e32 v12, v11
	v_pk_mul_f32 v[12:13], v[14:15], v[12:13] op_sel_hi:[1,0]
	v_mov_b32_e32 v33, v9
	v_pk_fma_f32 v[30:31], v[14:15], v[10:11], v[12:13] op_sel:[0,0,1] op_sel_hi:[1,1,0] neg_lo:[0,0,1] neg_hi:[0,0,1]
	v_pk_fma_f32 v[10:11], v[14:15], v[10:11], v[12:13] op_sel:[0,0,1] op_sel_hi:[1,0,0]
	v_pk_add_f32 v[8:9], v[32:33], 0 op_sel_hi:[1,0]
	v_mov_b32_e32 v31, v11
	v_pk_mul_f32 v[10:11], v[4:5], v[0:1] op_sel:[0,1]
	v_pk_add_f32 v[8:9], v[8:9], v[30:31]
	v_pk_fma_f32 v[12:13], v[4:5], v[0:1], v[10:11] op_sel:[0,0,1] op_sel_hi:[1,1,0] neg_lo:[0,0,1] neg_hi:[0,0,1]
	v_pk_fma_f32 v[0:1], v[4:5], v[0:1], v[10:11] op_sel:[0,0,1] op_sel_hi:[1,0,0]
	v_mov_b32_e32 v4, v3
	v_mov_b32_e32 v13, v1
	v_pk_mul_f32 v[4:5], v[6:7], v[4:5] op_sel_hi:[1,0]
	v_pk_add_f32 v[0:1], v[8:9], v[12:13]
	v_pk_fma_f32 v[8:9], v[6:7], v[2:3], v[4:5] op_sel:[0,0,1] op_sel_hi:[1,1,0] neg_lo:[0,0,1] neg_hi:[0,0,1]
	v_pk_fma_f32 v[2:3], v[6:7], v[2:3], v[4:5] op_sel:[0,0,1] op_sel_hi:[1,0,0]
	s_barrier
	v_mov_b32_e32 v9, v3
	v_pk_add_f32 v[0:1], v[0:1], v[8:9]
	ds_write_b64 v29, v[0:1]
	s_waitcnt lgkmcnt(0)
	s_barrier
	s_and_saveexec_b64 s[8:9], s[6:7]
	s_cbranch_execz .LBB121_88
; %bb.87:
	v_lshlrev_b32_e32 v14, 3, v28
	ds_read2_b64 v[0:3], v14 offset1:1
	ds_read2_b64 v[4:7], v14 offset0:2 offset1:3
	ds_read2_b64 v[8:11], v14 offset0:4 offset1:5
	s_waitcnt lgkmcnt(2)
	v_pk_add_f32 v[0:1], v[18:19], v[0:1]
	s_nop 0
	v_pk_add_f32 v[12:13], v[0:1], v[2:3]
	ds_read2_b64 v[0:3], v14 offset0:6 offset1:7
	s_waitcnt lgkmcnt(2)
	v_pk_add_f32 v[4:5], v[12:13], v[4:5]
	s_nop 0
	v_pk_add_f32 v[4:5], v[4:5], v[6:7]
	s_waitcnt lgkmcnt(1)
	v_pk_add_f32 v[4:5], v[4:5], v[8:9]
	s_nop 0
	v_pk_add_f32 v[4:5], v[4:5], v[10:11]
	;; [unrolled: 4-line block ×3, first 2 shown]
.LBB121_88:
	s_or_b64 exec, exec, s[8:9]
	s_load_dwordx2 s[0:1], s[0:1], 0x68
	s_mul_hi_u32 s6, s38, s3
	s_mul_i32 s40, s40, s3
	s_add_i32 s6, s6, s40
	s_mul_i32 s3, s38, s3
	s_mul_i32 s6, s6, s39
	s_mul_hi_u32 s7, s3, s39
	s_add_i32 s7, s7, s6
	s_mul_i32 s6, s3, s39
	s_lshl_b64 s[6:7], s[6:7], 3
	s_waitcnt lgkmcnt(0)
	s_add_u32 s3, s0, s6
	s_mul_i32 s0, s2, s38
	s_addc_u32 s7, s1, s7
	s_ashr_i32 s1, s0, 31
	s_lshl_b64 s[0:1], s[0:1], 3
	s_add_u32 s6, s3, s0
	v_cmp_le_i32_e32 vcc, s24, v26
	s_addc_u32 s7, s7, s1
	s_and_b64 vcc, s[30:31], vcc
	s_cmp_lt_i32 s2, 1
	v_lshlrev_b32_e32 v74, 3, v26
	s_barrier
	s_cbranch_scc1 .LBB121_95
; %bb.89:
	s_mul_i32 s0, s26, s33
	s_ashr_i32 s1, s0, 31
	s_lshl_b64 s[0:1], s[0:1], 3
	v_mov_b32_e32 v0, s1
	v_subrev_co_u32_e64 v4, s[0:1], s0, v20
	s_ashr_i32 s25, s24, 31
	s_nop 0
	v_subb_co_u32_e64 v5, s[0:1], v21, v0, s[0:1]
	v_mov_b32_e32 v0, s29
	v_subrev_co_u32_e64 v2, s[0:1], s28, v24
	v_and_b32_e32 v6, 15, v26
	s_nop 0
	v_subb_co_u32_e64 v3, s[0:1], v25, v0, s[0:1]
	v_lshlrev_b64 v[0:1], 3, v[22:23]
	v_sub_co_u32_e64 v0, s[0:1], v2, v0
	v_mul_lo_u32 v2, v17, s22
	s_nop 0
	v_subb_co_u32_e64 v1, s[0:1], v3, v1, s[0:1]
	v_lshl_add_u32 v2, v2, 2, v26
	v_ashrrev_i32_e32 v3, 31, v2
	s_movk_i32 s0, 0xff00
	v_lshl_add_u64 v[0:1], v[2:3], 3, v[0:1]
	s_mov_b32 s1, -1
	v_lshl_add_u64 v[2:3], v[0:1], 0, s[0:1]
	v_sub_co_u32_e64 v0, s[0:1], v0, v74
	s_movk_i32 s8, 0x218
	s_nop 0
	v_subbrev_co_u32_e64 v1, s[0:1], 0, v1, s[0:1]
	s_movk_i32 s0, 0xfef8
	v_lshl_add_u64 v[0:1], s[24:25], 3, v[0:1]
	s_mov_b32 s1, -1
	v_lshl_add_u64 v[0:1], v[0:1], 0, s[0:1]
	v_cndmask_b32_e32 v8, v2, v0, vcc
	v_and_b32_e32 v0, 48, v26
	v_cndmask_b32_e32 v9, v3, v1, vcc
	v_lshlrev_b32_e32 v1, 3, v0
	v_lshrrev_b32_e32 v10, 4, v27
	v_mad_u32_u24 v77, v6, s8, v1
	v_or_b32_e32 v1, 0x78, v74
	v_mad_u32_u24 v78, v6, s8, v1
	v_lshlrev_b32_e32 v1, 5, v10
	v_mad_u32_u24 v79, v6, s8, v1
	v_mov_b32_e32 v1, 0x2180
	s_ashr_i32 s23, s22, 31
	v_lshl_add_u32 v80, v17, 5, v1
	s_movk_i32 s9, 0x860
	v_lshlrev_b32_e32 v1, 3, v10
	v_mov_b32_e32 v7, 0
	s_lshl_b32 s3, s33, 6
	v_add_u32_e32 v75, 0x2180, v74
	v_add_u32_e32 v76, 0x2380, v74
	v_cmp_gt_u32_e64 s[0:1], 64, v27
	v_mad_u32_u24 v81, v17, s9, v74
	v_mad_u32_u24 v82, v6, s8, v1
	s_lshl_b64 s[8:9], s[22:23], 3
	s_lshl_b64 s[10:11], s[22:23], 9
	;; [unrolled: 1-line block ×3, first 2 shown]
	s_mul_hi_i32 s15, s22, 24
	s_mul_i32 s14, s22, 24
	s_mul_hi_i32 s17, s22, 0x90
	s_mul_i32 s16, s22, 0x90
	;; [unrolled: 2-line block ×10, first 2 shown]
	s_lshl_b64 s[40:41], s[22:23], 8
	s_mul_hi_i32 s43, s22, 0x88
	s_mul_i32 s42, s22, 0x88
	s_lshl_b64 s[22:23], s[22:23], 7
	v_or_b32_e32 v6, v0, v6
	s_mov_b32 s44, 0
	s_branch .LBB121_91
.LBB121_90:                             ;   in Loop: Header=BB121_91 Depth=1
	s_or_b64 exec, exec, s[46:47]
	v_mul_f32_e32 v83, v23, v21
	v_fma_f32 v83, v22, v20, -v83
	v_mul_f32_e32 v20, v23, v20
	v_mul_f32_e32 v23, v29, v15
	v_add_f32_e32 v18, v18, v83
	v_fma_f32 v23, v28, v14, -v23
	v_add_f32_e32 v18, v18, v23
	v_mul_f32_e32 v23, v27, v13
	v_mul_f32_e32 v14, v29, v14
	v_fma_f32 v23, v26, v12, -v23
	v_fmac_f32_e32 v20, v22, v21
	v_mul_f32_e32 v12, v27, v12
	v_add_f32_e32 v18, v18, v23
	v_mul_f32_e32 v23, v25, v11
	v_add_f32_e32 v19, v19, v20
	v_fmac_f32_e32 v14, v28, v15
	v_fma_f32 v23, v24, v10, -v23
	v_mul_f32_e32 v10, v25, v10
	v_add_f32_e32 v14, v19, v14
	v_fmac_f32_e32 v12, v26, v13
	v_add_f32_e32 v12, v14, v12
	v_fmac_f32_e32 v10, v24, v11
	v_add_f32_e32 v11, v12, v10
	v_mul_f32_e32 v10, v39, v37
	v_add_f32_e32 v18, v18, v23
	v_fma_f32 v10, v38, v36, -v10
	v_mul_f32_e32 v19, v39, v36
	v_mul_f32_e32 v12, v53, v35
	v_add_f32_e32 v10, v18, v10
	v_fma_f32 v12, v52, v34, -v12
	v_mul_f32_e32 v18, v53, v34
	v_fmac_f32_e32 v19, v38, v37
	v_add_f32_e32 v10, v10, v12
	v_mul_f32_e32 v12, v47, v31
	v_mul_f32_e32 v13, v47, v30
	v_add_f32_e32 v11, v11, v19
	v_fmac_f32_e32 v18, v52, v35
	v_fma_f32 v12, v46, v30, -v12
	v_add_f32_e32 v11, v11, v18
	v_fmac_f32_e32 v13, v46, v31
	v_mul_f32_e32 v14, v49, v33
	v_mul_f32_e32 v15, v49, v32
	v_pk_add_f32 v[10:11], v[10:11], v[12:13]
	v_mov_b32_e32 v12, v51
	v_fma_f32 v14, v48, v32, -v14
	v_fmac_f32_e32 v15, v48, v33
	v_pk_mul_f32 v[12:13], v[54:55], v[12:13] op_sel_hi:[1,0]
	v_pk_add_f32 v[10:11], v[10:11], v[14:15]
	v_pk_fma_f32 v[14:15], v[54:55], v[50:51], v[12:13] op_sel:[0,0,1] op_sel_hi:[1,1,0] neg_lo:[0,0,1] neg_hi:[0,0,1]
	v_pk_fma_f32 v[12:13], v[54:55], v[50:51], v[12:13] op_sel:[0,0,1] op_sel_hi:[1,0,0]
	s_add_i32 s2, s2, -1
	v_mov_b32_e32 v12, v45
	v_mov_b32_e32 v15, v13
	v_pk_mul_f32 v[12:13], v[0:1], v[12:13] op_sel_hi:[1,0]
	v_pk_add_f32 v[10:11], v[10:11], v[14:15]
	v_pk_fma_f32 v[14:15], v[0:1], v[44:45], v[12:13] op_sel:[0,0,1] op_sel_hi:[1,1,0] neg_lo:[0,0,1] neg_hi:[0,0,1]
	v_pk_fma_f32 v[0:1], v[0:1], v[44:45], v[12:13] op_sel:[0,0,1] op_sel_hi:[1,0,0]
	s_add_i32 s44, s44, s3
	v_mov_b32_e32 v15, v1
	v_pk_add_f32 v[0:1], v[10:11], v[14:15]
	v_mov_b32_e32 v10, v43
	v_pk_mul_f32 v[10:11], v[2:3], v[10:11] op_sel_hi:[1,0]
	v_lshl_add_u64 v[8:9], v[8:9], 0, s[10:11]
	v_pk_fma_f32 v[12:13], v[2:3], v[42:43], v[10:11] op_sel:[0,0,1] op_sel_hi:[1,1,0] neg_lo:[0,0,1] neg_hi:[0,0,1]
	v_pk_fma_f32 v[2:3], v[2:3], v[42:43], v[10:11] op_sel:[0,0,1] op_sel_hi:[1,0,0]
	s_cmp_eq_u32 s2, 0
	v_mov_b32_e32 v2, v41
	v_mov_b32_e32 v13, v3
	v_pk_mul_f32 v[2:3], v[58:59], v[2:3] op_sel_hi:[1,0]
	v_pk_add_f32 v[0:1], v[0:1], v[12:13]
	v_pk_fma_f32 v[10:11], v[58:59], v[40:41], v[2:3] op_sel:[0,0,1] op_sel_hi:[1,1,0] neg_lo:[0,0,1] neg_hi:[0,0,1]
	v_pk_fma_f32 v[2:3], v[58:59], v[40:41], v[2:3] op_sel:[0,0,1] op_sel_hi:[1,0,0]
	v_add_u32_e32 v6, 64, v6
	v_mov_b32_e32 v2, v65
	v_mov_b32_e32 v11, v3
	v_pk_mul_f32 v[2:3], v[66:67], v[2:3] op_sel_hi:[1,0]
	v_pk_add_f32 v[0:1], v[0:1], v[10:11]
	v_pk_fma_f32 v[10:11], v[66:67], v[64:65], v[2:3] op_sel:[0,0,1] op_sel_hi:[1,1,0] neg_lo:[0,0,1] neg_hi:[0,0,1]
	v_pk_fma_f32 v[2:3], v[66:67], v[64:65], v[2:3] op_sel:[0,0,1] op_sel_hi:[1,0,0]
	s_nop 0
	v_mov_b32_e32 v2, v63
	v_mov_b32_e32 v11, v3
	v_pk_mul_f32 v[2:3], v[72:73], v[2:3] op_sel_hi:[1,0]
	v_pk_add_f32 v[0:1], v[0:1], v[10:11]
	v_pk_fma_f32 v[12:13], v[72:73], v[62:63], v[2:3] op_sel:[0,0,1] op_sel_hi:[1,1,0] neg_lo:[0,0,1] neg_hi:[0,0,1]
	v_pk_fma_f32 v[2:3], v[72:73], v[62:63], v[2:3] op_sel:[0,0,1] op_sel_hi:[1,0,0]
	s_barrier
	v_mov_b32_e32 v2, v61
	v_mov_b32_e32 v13, v3
	v_pk_mul_f32 v[2:3], v[70:71], v[2:3] op_sel_hi:[1,0]
	v_pk_add_f32 v[0:1], v[0:1], v[12:13]
	v_pk_fma_f32 v[14:15], v[70:71], v[60:61], v[2:3] op_sel:[0,0,1] op_sel_hi:[1,1,0] neg_lo:[0,0,1] neg_hi:[0,0,1]
	v_pk_fma_f32 v[2:3], v[70:71], v[60:61], v[2:3] op_sel:[0,0,1] op_sel_hi:[1,0,0]
	s_nop 0
	v_mov_b32_e32 v2, v57
	v_mov_b32_e32 v15, v3
	v_pk_mul_f32 v[2:3], v[68:69], v[2:3] op_sel_hi:[1,0]
	v_pk_add_f32 v[0:1], v[0:1], v[14:15]
	v_pk_fma_f32 v[18:19], v[68:69], v[56:57], v[2:3] op_sel:[0,0,1] op_sel_hi:[1,1,0] neg_lo:[0,0,1] neg_hi:[0,0,1]
	v_pk_fma_f32 v[2:3], v[68:69], v[56:57], v[2:3] op_sel:[0,0,1] op_sel_hi:[1,0,0]
	s_nop 0
	v_mov_b32_e32 v19, v3
	v_pk_add_f32 v[18:19], v[0:1], v[18:19]
	s_cbranch_scc1 .LBB121_95
.LBB121_91:                             ; =>This Inner Loop Header: Depth=1
	s_and_saveexec_b64 s[46:47], s[18:19]
	s_cbranch_execz .LBB121_93
; %bb.92:                               ;   in Loop: Header=BB121_91 Depth=1
	s_ashr_i32 s45, s44, 31
	v_lshl_add_u64 v[0:1], s[44:45], 3, v[4:5]
	global_load_dwordx2 v[0:1], v[0:1], off
	s_waitcnt vmcnt(0)
	ds_write_b64 v75, v[0:1]
.LBB121_93:                             ;   in Loop: Header=BB121_91 Depth=1
	s_or_b64 exec, exec, s[46:47]
	v_lshl_add_u64 v[0:1], v[8:9], 0, s[8:9]
	s_waitcnt lgkmcnt(0)
	s_barrier
	global_load_dwordx2 v[20:21], v[8:9], off
	global_load_dwordx2 v[14:15], v[0:1], off
	v_lshl_add_u64 v[0:1], v[8:9], 0, s[12:13]
	global_load_dwordx2 v[12:13], v[0:1], off
	v_lshl_add_u64 v[0:1], v[8:9], 0, s[14:15]
	global_load_dwordx2 v[10:11], v[0:1], off
	ds_read_b64 v[0:1], v76
	ds_read_b64 v[22:23], v80
	v_lshl_add_u64 v[2:3], v[8:9], 0, s[22:23]
	v_lshl_add_u64 v[56:57], v[8:9], 0, s[36:37]
	s_waitcnt vmcnt(3) lgkmcnt(1)
	v_mul_f32_e32 v24, v1, v21
	v_mul_f32_e32 v25, v1, v20
	v_fma_f32 v24, v0, v20, -v24
	v_fmac_f32_e32 v25, v0, v21
	s_waitcnt vmcnt(2)
	v_mul_f32_e32 v26, v1, v15
	v_mul_f32_e32 v27, v1, v14
	s_waitcnt vmcnt(1)
	v_mul_f32_e32 v28, v1, v13
	v_mul_f32_e32 v31, v1, v12
	s_waitcnt vmcnt(0)
	v_mul_f32_e32 v29, v1, v11
	ds_write_b64 v81, v[24:25]
	v_fma_f32 v26, v0, v14, -v26
	v_fmac_f32_e32 v27, v0, v15
	v_mul_f32_e32 v33, v0, v11
	v_fma_f32 v30, v0, v12, -v28
	v_fmac_f32_e32 v31, v0, v13
	v_fma_f32 v32, v0, v10, -v29
	ds_read_b64 v[28:29], v80 offset:8
	ds_write_b64 v81, v[26:27] offset:536
	v_fmac_f32_e32 v33, v1, v10
	ds_read_b64 v[26:27], v80 offset:16
	ds_write_b64 v81, v[30:31] offset:1072
	ds_read_b64 v[24:25], v80 offset:24
	ds_write_b64 v81, v[32:33] offset:1608
	s_waitcnt lgkmcnt(0)
	s_barrier
	ds_read2_b64 v[66:69], v79 offset1:1
	ds_read2_b64 v[70:73], v79 offset0:2 offset1:3
	s_waitcnt lgkmcnt(0)
	s_barrier
	global_load_dwordx2 v[36:37], v[2:3], off
	v_lshl_add_u64 v[0:1], v[8:9], 0, s[42:43]
	global_load_dwordx2 v[34:35], v[0:1], off
	v_lshl_add_u64 v[0:1], v[8:9], 0, s[16:17]
	;; [unrolled: 2-line block ×3, first 2 shown]
	global_load_dwordx2 v[32:33], v[0:1], off
	ds_read_b64 v[0:1], v76
	ds_read_b64 v[38:39], v80 offset:128
	v_lshl_add_u64 v[2:3], v[8:9], 0, s[40:41]
	v_pk_add_f32 v[66:67], v[66:67], 0 op_sel_hi:[1,0]
	s_waitcnt vmcnt(3) lgkmcnt(1)
	v_mul_f32_e32 v40, v1, v37
	v_mul_f32_e32 v41, v1, v36
	s_waitcnt vmcnt(2)
	v_mul_f32_e32 v42, v1, v35
	v_mul_f32_e32 v43, v1, v34
	v_fma_f32 v40, v0, v36, -v40
	v_fmac_f32_e32 v41, v0, v37
	s_waitcnt vmcnt(1)
	v_mul_f32_e32 v44, v1, v31
	v_mul_f32_e32 v45, v1, v30
	v_fma_f32 v42, v0, v34, -v42
	v_fmac_f32_e32 v43, v0, v35
	ds_write_b64 v81, v[40:41]
	s_waitcnt vmcnt(0)
	v_mul_f32_e32 v46, v1, v33
	v_mul_f32_e32 v51, v0, v33
	v_fma_f32 v44, v0, v30, -v44
	v_fmac_f32_e32 v45, v0, v31
	ds_read_b64 v[52:53], v80 offset:136
	ds_write_b64 v81, v[42:43] offset:536
	v_fma_f32 v50, v0, v32, -v46
	v_fmac_f32_e32 v51, v1, v32
	ds_read_b64 v[46:47], v80 offset:144
	ds_write_b64 v81, v[44:45] offset:1072
	v_lshl_add_u64 v[0:1], v[8:9], 0, s[38:39]
	ds_read_b64 v[48:49], v80 offset:152
	ds_write_b64 v81, v[50:51] offset:1608
	s_waitcnt lgkmcnt(0)
	s_barrier
	ds_read2_b64 v[84:87], v79 offset1:1
	ds_read2_b64 v[88:91], v79 offset0:2 offset1:3
	s_waitcnt lgkmcnt(0)
	s_barrier
	global_load_dwordx2 v[50:51], v[2:3], off
	global_load_dwordx2 v[44:45], v[0:1], off
	v_lshl_add_u64 v[0:1], v[8:9], 0, s[24:25]
	global_load_dwordx2 v[42:43], v[0:1], off
	v_lshl_add_u64 v[0:1], v[8:9], 0, s[26:27]
	global_load_dwordx2 v[40:41], v[0:1], off
	ds_read_b64 v[0:1], v76
	ds_read_b64 v[54:55], v80 offset:256
	v_pk_add_f32 v[66:67], v[66:67], v[68:69]
	s_waitcnt vmcnt(3) lgkmcnt(1)
	v_mul_f32_e32 v2, v1, v51
	v_mul_f32_e32 v3, v1, v50
	s_waitcnt vmcnt(2)
	v_mul_f32_e32 v58, v1, v45
	v_mul_f32_e32 v59, v1, v44
	s_waitcnt vmcnt(1)
	;; [unrolled: 3-line block ×3, first 2 shown]
	v_mul_f32_e32 v62, v1, v41
	v_mul_f32_e32 v63, v0, v41
	v_fma_f32 v2, v0, v50, -v2
	v_fmac_f32_e32 v3, v0, v51
	v_fma_f32 v58, v0, v44, -v58
	v_fmac_f32_e32 v59, v0, v45
	;; [unrolled: 2-line block ×4, first 2 shown]
	ds_write2_b64 v81, v[2:3], v[58:59] offset1:67
	ds_write2_b64 v81, v[60:61], v[62:63] offset0:134 offset1:201
	ds_read2_b64 v[0:3], v80 offset0:33 offset1:34
	ds_read_b64 v[58:59], v80 offset:280
	s_waitcnt lgkmcnt(0)
	s_barrier
	ds_read2_b64 v[92:95], v79 offset1:1
	ds_read2_b64 v[96:99], v79 offset0:2 offset1:3
	s_waitcnt lgkmcnt(0)
	s_barrier
	global_load_dwordx2 v[64:65], v[56:57], off
	v_lshl_add_u64 v[56:57], v[8:9], 0, s[34:35]
	global_load_dwordx2 v[62:63], v[56:57], off
	v_lshl_add_u64 v[56:57], v[8:9], 0, s[28:29]
	;; [unrolled: 2-line block ×3, first 2 shown]
	global_load_dwordx2 v[56:57], v[56:57], off
	v_pk_add_f32 v[66:67], v[66:67], v[70:71]
	v_pk_add_f32 v[70:71], v[92:93], 0 op_sel_hi:[1,0]
	v_pk_add_f32 v[100:101], v[66:67], v[72:73]
	v_pk_add_f32 v[66:67], v[84:85], 0 op_sel_hi:[1,0]
	v_pk_add_f32 v[70:71], v[70:71], v[94:95]
	v_pk_add_f32 v[66:67], v[66:67], v[86:87]
	;; [unrolled: 1-line block ×6, first 2 shown]
	ds_read_b64 v[68:69], v76
	ds_read_b64 v[66:67], v80 offset:384
	s_waitcnt vmcnt(3) lgkmcnt(1)
	v_mul_f32_e32 v70, v69, v65
	v_mul_f32_e32 v71, v69, v64
	s_waitcnt vmcnt(2)
	v_mul_f32_e32 v72, v69, v63
	v_mul_f32_e32 v85, v69, v62
	v_fma_f32 v70, v68, v64, -v70
	v_fmac_f32_e32 v71, v68, v65
	s_waitcnt vmcnt(1)
	v_mul_f32_e32 v73, v69, v61
	v_mul_f32_e32 v87, v69, v60
	v_fma_f32 v84, v68, v62, -v72
	v_fmac_f32_e32 v85, v68, v63
	ds_write_b64 v81, v[70:71]
	s_waitcnt vmcnt(0)
	v_mul_f32_e32 v83, v69, v57
	v_mul_f32_e32 v89, v68, v57
	v_fma_f32 v86, v68, v60, -v73
	v_fmac_f32_e32 v87, v68, v61
	ds_read_b64 v[72:73], v80 offset:392
	ds_write_b64 v81, v[84:85] offset:536
	v_fma_f32 v88, v68, v56, -v83
	v_fmac_f32_e32 v89, v69, v56
	ds_read_b64 v[70:71], v80 offset:400
	ds_write_b64 v81, v[86:87] offset:1072
	ds_read_b64 v[68:69], v80 offset:408
	ds_write_b64 v81, v[88:89] offset:1608
	s_waitcnt lgkmcnt(0)
	s_barrier
	ds_read2_b64 v[84:87], v79 offset1:1
	ds_read2_b64 v[88:91], v79 offset0:2 offset1:3
	s_waitcnt lgkmcnt(0)
	s_barrier
	v_pk_add_f32 v[84:85], v[84:85], 0 op_sel_hi:[1,0]
	ds_write2_b64 v82, v[100:101], v[102:103] offset1:16
	v_pk_add_f32 v[84:85], v[84:85], v[86:87]
	s_nop 0
	v_pk_add_f32 v[84:85], v[84:85], v[88:89]
	s_nop 0
	v_pk_add_f32 v[84:85], v[84:85], v[90:91]
	ds_write2_b64 v82, v[92:93], v[84:85] offset0:32 offset1:48
	s_waitcnt lgkmcnt(0)
	s_barrier
	s_and_saveexec_b64 s[46:47], s[0:1]
	s_cbranch_execz .LBB121_90
; %bb.94:                               ;   in Loop: Header=BB121_91 Depth=1
	ds_read_b64 v[92:93], v77
	ds_read2_b64 v[84:87], v77 offset0:1 offset1:2
	ds_read2_b64 v[88:91], v77 offset0:3 offset1:4
	v_lshl_add_u64 v[96:97], v[6:7], 3, s[6:7]
	s_waitcnt lgkmcnt(1)
	v_add_f32_e32 v83, v84, v92
	v_add_f32_e32 v84, v85, v93
	;; [unrolled: 1-line block ×4, first 2 shown]
	ds_read2_b64 v[84:87], v77 offset0:5 offset1:6
	s_waitcnt lgkmcnt(1)
	v_add_f32_e32 v83, v83, v88
	v_add_f32_e32 v88, v92, v89
	;; [unrolled: 1-line block ×4, first 2 shown]
	ds_read2_b64 v[88:91], v77 offset0:7 offset1:8
	s_waitcnt lgkmcnt(1)
	v_pk_add_f32 v[84:85], v[92:93], v[84:85]
	ds_read2_b64 v[92:95], v77 offset0:9 offset1:10
	v_pk_add_f32 v[84:85], v[84:85], v[86:87]
	s_waitcnt lgkmcnt(1)
	v_pk_add_f32 v[84:85], v[84:85], v[88:89]
	s_nop 0
	v_pk_add_f32 v[88:89], v[84:85], v[90:91]
	ds_read2_b64 v[84:87], v77 offset0:11 offset1:12
	s_waitcnt lgkmcnt(1)
	v_pk_add_f32 v[92:93], v[88:89], v[92:93]
	ds_read2_b64 v[88:91], v77 offset0:13 offset1:14
	v_pk_add_f32 v[92:93], v[92:93], v[94:95]
	ds_read_b64 v[94:95], v78
	s_waitcnt lgkmcnt(2)
	v_pk_add_f32 v[84:85], v[92:93], v[84:85]
	s_nop 0
	v_pk_add_f32 v[84:85], v[84:85], v[86:87]
	s_waitcnt lgkmcnt(1)
	v_pk_add_f32 v[84:85], v[84:85], v[88:89]
	s_nop 0
	v_pk_add_f32 v[84:85], v[84:85], v[90:91]
	s_waitcnt lgkmcnt(0)
	v_pk_add_f32 v[84:85], v[84:85], v[94:95]
	global_store_dwordx2 v[96:97], v[84:85], off
	s_branch .LBB121_90
.LBB121_95:
	s_movk_i32 s0, 0x218
	v_mad_u32_u24 v0, v17, s0, v74
	s_or_b64 s[0:1], s[4:5], vcc
	s_xor_b64 s[0:1], s[0:1], -1
	ds_write_b64 v0, v[18:19]
	s_waitcnt lgkmcnt(0)
	s_barrier
	s_and_saveexec_b64 s[2:3], s[0:1]
	s_cbranch_execz .LBB121_97
; %bb.96:
	ds_read2_b64 v[0:3], v74 offset1:67
	ds_read2_b64 v[4:7], v74 offset0:134 offset1:201
	v_ashrrev_i32_e32 v17, 31, v16
	v_lshl_add_u64 v[8:9], v[16:17], 3, s[6:7]
	s_waitcnt lgkmcnt(1)
	v_pk_add_f32 v[0:1], v[2:3], v[0:1]
	s_waitcnt lgkmcnt(0)
	v_pk_add_f32 v[0:1], v[0:1], v[4:5]
	s_nop 0
	v_pk_add_f32 v[0:1], v[0:1], v[6:7]
	global_store_dwordx2 v[8:9], v[0:1], off
.LBB121_97:
	s_endpgm
	.section	.rodata,"a",@progbits
	.p2align	6, 0x0
	.amdhsa_kernel _ZL26rocblas_hemvn_kernel_lowerILb0ELi64ELi4ELi33ELi32ELi16Ei19rocblas_complex_numIfEPKS1_PS1_EviT6_lT7_lT5_lS6_lS7_lS5_lT8_i
		.amdhsa_group_segment_fixed_size 9600
		.amdhsa_private_segment_fixed_size 0
		.amdhsa_kernarg_size 376
		.amdhsa_user_sgpr_count 2
		.amdhsa_user_sgpr_dispatch_ptr 0
		.amdhsa_user_sgpr_queue_ptr 0
		.amdhsa_user_sgpr_kernarg_segment_ptr 1
		.amdhsa_user_sgpr_dispatch_id 0
		.amdhsa_user_sgpr_kernarg_preload_length 0
		.amdhsa_user_sgpr_kernarg_preload_offset 0
		.amdhsa_user_sgpr_private_segment_size 0
		.amdhsa_uses_dynamic_stack 0
		.amdhsa_enable_private_segment 0
		.amdhsa_system_sgpr_workgroup_id_x 1
		.amdhsa_system_sgpr_workgroup_id_y 0
		.amdhsa_system_sgpr_workgroup_id_z 1
		.amdhsa_system_sgpr_workgroup_info 0
		.amdhsa_system_vgpr_workitem_id 1
		.amdhsa_next_free_vgpr 104
		.amdhsa_next_free_sgpr 48
		.amdhsa_accum_offset 104
		.amdhsa_reserve_vcc 1
		.amdhsa_float_round_mode_32 0
		.amdhsa_float_round_mode_16_64 0
		.amdhsa_float_denorm_mode_32 3
		.amdhsa_float_denorm_mode_16_64 3
		.amdhsa_dx10_clamp 1
		.amdhsa_ieee_mode 1
		.amdhsa_fp16_overflow 0
		.amdhsa_tg_split 0
		.amdhsa_exception_fp_ieee_invalid_op 0
		.amdhsa_exception_fp_denorm_src 0
		.amdhsa_exception_fp_ieee_div_zero 0
		.amdhsa_exception_fp_ieee_overflow 0
		.amdhsa_exception_fp_ieee_underflow 0
		.amdhsa_exception_fp_ieee_inexact 0
		.amdhsa_exception_int_div_zero 0
	.end_amdhsa_kernel
	.section	.text._ZL26rocblas_hemvn_kernel_lowerILb0ELi64ELi4ELi33ELi32ELi16Ei19rocblas_complex_numIfEPKS1_PS1_EviT6_lT7_lT5_lS6_lS7_lS5_lT8_i,"axG",@progbits,_ZL26rocblas_hemvn_kernel_lowerILb0ELi64ELi4ELi33ELi32ELi16Ei19rocblas_complex_numIfEPKS1_PS1_EviT6_lT7_lT5_lS6_lS7_lS5_lT8_i,comdat
.Lfunc_end121:
	.size	_ZL26rocblas_hemvn_kernel_lowerILb0ELi64ELi4ELi33ELi32ELi16Ei19rocblas_complex_numIfEPKS1_PS1_EviT6_lT7_lT5_lS6_lS7_lS5_lT8_i, .Lfunc_end121-_ZL26rocblas_hemvn_kernel_lowerILb0ELi64ELi4ELi33ELi32ELi16Ei19rocblas_complex_numIfEPKS1_PS1_EviT6_lT7_lT5_lS6_lS7_lS5_lT8_i
                                        ; -- End function
	.section	.AMDGPU.csdata,"",@progbits
; Kernel info:
; codeLenInByte = 7364
; NumSgprs: 54
; NumVgprs: 104
; NumAgprs: 0
; TotalNumVgprs: 104
; ScratchSize: 0
; MemoryBound: 1
; FloatMode: 240
; IeeeMode: 1
; LDSByteSize: 9600 bytes/workgroup (compile time only)
; SGPRBlocks: 6
; VGPRBlocks: 12
; NumSGPRsForWavesPerEU: 54
; NumVGPRsForWavesPerEU: 104
; AccumOffset: 104
; Occupancy: 4
; WaveLimiterHint : 1
; COMPUTE_PGM_RSRC2:SCRATCH_EN: 0
; COMPUTE_PGM_RSRC2:USER_SGPR: 2
; COMPUTE_PGM_RSRC2:TRAP_HANDLER: 0
; COMPUTE_PGM_RSRC2:TGID_X_EN: 1
; COMPUTE_PGM_RSRC2:TGID_Y_EN: 0
; COMPUTE_PGM_RSRC2:TGID_Z_EN: 1
; COMPUTE_PGM_RSRC2:TIDIG_COMP_CNT: 1
; COMPUTE_PGM_RSRC3_GFX90A:ACCUM_OFFSET: 25
; COMPUTE_PGM_RSRC3_GFX90A:TG_SPLIT: 0
	.section	.text._ZL26rocblas_hemvn_kernel_upperILb0ELi64ELi4ELi33ELi32ELi16ElPK19rocblas_complex_numIdES3_PS1_EviT6_lT7_lT5_lS6_lS7_lS5_lT8_i,"axG",@progbits,_ZL26rocblas_hemvn_kernel_upperILb0ELi64ELi4ELi33ELi32ELi16ElPK19rocblas_complex_numIdES3_PS1_EviT6_lT7_lT5_lS6_lS7_lS5_lT8_i,comdat
	.globl	_ZL26rocblas_hemvn_kernel_upperILb0ELi64ELi4ELi33ELi32ELi16ElPK19rocblas_complex_numIdES3_PS1_EviT6_lT7_lT5_lS6_lS7_lS5_lT8_i ; -- Begin function _ZL26rocblas_hemvn_kernel_upperILb0ELi64ELi4ELi33ELi32ELi16ElPK19rocblas_complex_numIdES3_PS1_EviT6_lT7_lT5_lS6_lS7_lS5_lT8_i
	.p2align	8
	.type	_ZL26rocblas_hemvn_kernel_upperILb0ELi64ELi4ELi33ELi32ELi16ElPK19rocblas_complex_numIdES3_PS1_EviT6_lT7_lT5_lS6_lS7_lS5_lT8_i,@function
_ZL26rocblas_hemvn_kernel_upperILb0ELi64ELi4ELi33ELi32ELi16ElPK19rocblas_complex_numIdES3_PS1_EviT6_lT7_lT5_lS6_lS7_lS5_lT8_i: ; @_ZL26rocblas_hemvn_kernel_upperILb0ELi64ELi4ELi33ELi32ELi16ElPK19rocblas_complex_numIdES3_PS1_EviT6_lT7_lT5_lS6_lS7_lS5_lT8_i
; %bb.0:
	s_load_dwordx2 s[6:7], s[0:1], 0x84
	s_add_u32 s4, s0, 0x78
	s_addc_u32 s5, s1, 0
	s_waitcnt lgkmcnt(0)
	s_lshr_b32 s8, s6, 16
	s_and_b32 s6, s6, 0xffff
	s_and_b32 s7, s7, 0xffff
	s_mul_i32 s6, s8, s6
	s_mul_i32 s6, s6, s7
	s_cmpk_lg_i32 s6, 0x100
	s_cbranch_scc1 .LBB122_154
; %bb.1:
	s_load_dwordx16 s[8:23], s[0:1], 0x8
	s_waitcnt lgkmcnt(0)
	s_mul_i32 s7, s3, s11
	s_mul_hi_u32 s11, s3, s10
	s_mul_i32 s6, s3, s10
	s_add_i32 s7, s11, s7
	s_lshl_b64 s[6:7], s[6:7], 4
	s_add_u32 s6, s8, s6
	s_addc_u32 s7, s9, s7
	s_load_dwordx4 s[8:11], s[6:7], 0x0
	s_load_dwordx2 s[34:35], s[0:1], 0x68
	s_load_dwordx8 s[24:31], s[0:1], 0x48
	s_waitcnt lgkmcnt(0)
	v_cmp_neq_f64_e64 s[6:7], s[8:9], 0
	v_cmp_neq_f64_e64 s[8:9], s[10:11], 0
	s_or_b64 s[6:7], s[6:7], s[8:9]
	s_mov_b64 s[8:9], -1
	s_and_b64 vcc, exec, s[6:7]
	s_cbranch_vccnz .LBB122_3
; %bb.2:
	s_mul_i32 s8, s3, s31
	s_mul_hi_u32 s9, s3, s30
	s_add_i32 s9, s9, s8
	s_mul_i32 s8, s3, s30
	s_lshl_b64 s[8:9], s[8:9], 4
	s_add_u32 s8, s28, s8
	s_addc_u32 s9, s29, s9
	s_load_dwordx4 s[8:11], s[8:9], 0x0
	s_waitcnt lgkmcnt(0)
	v_cmp_neq_f64_e64 s[8:9], s[8:9], 1.0
	v_cmp_neq_f64_e64 s[10:11], s[10:11], 0
	s_or_b64 s[8:9], s[8:9], s[10:11]
.LBB122_3:
	s_andn2_b64 vcc, exec, s[8:9]
	s_cbranch_vccnz .LBB122_154
; %bb.4:
	s_andn2_b64 vcc, exec, s[6:7]
	s_cbranch_vccnz .LBB122_154
; %bb.5:
	s_load_dword s28, s[4:5], 0x0
	s_load_dword s30, s[0:1], 0x0
	s_mul_i32 s0, s3, s27
	s_mul_hi_u32 s1, s3, s26
	s_add_i32 s1, s1, s0
	s_mul_i32 s0, s3, s26
	s_lshl_b64 s[0:1], s[0:1], 4
	s_add_u32 s4, s20, s0
	s_addc_u32 s5, s21, s1
	s_lshl_b64 s[0:1], s[22:23], 4
	s_add_u32 s0, s4, s0
	s_addc_u32 s1, s5, s1
	s_waitcnt lgkmcnt(0)
	s_ashr_i32 s31, s30, 31
	s_lshr_b32 s5, s31, 26
	v_and_b32_e32 v204, 0x3ff, v0
	s_lshl_b32 s22, s2, 6
	s_add_i32 s5, s30, s5
	s_andn2_b32 s5, s5, 63
	v_add_u32_e32 v166, s22, v204
	s_add_i32 s4, s28, -1
	s_sub_i32 s29, s30, s5
	v_ashrrev_i32_e32 v167, 31, v166
	v_bfe_u32 v205, v0, 10, 10
	s_cmp_eq_u32 s2, s4
	v_mul_lo_u32 v2, v167, s24
	v_mul_lo_u32 v3, v166, s25
	v_mad_u64_u32 v[0:1], s[4:5], v166, s24, 0
	v_add3_u32 v1, v1, v3, v2
	s_cselect_b32 s20, s29, 0
	v_lshl_add_u64 v[36:37], v[0:1], 4, s[0:1]
	v_cmp_eq_u32_e64 s[0:1], 0, v205
	s_and_saveexec_b64 s[4:5], s[0:1]
	s_cbranch_execz .LBB122_10
; %bb.6:
	s_cmp_lg_u32 s20, 0
	s_cselect_b64 s[6:7], -1, 0
	v_cmp_le_i32_e32 vcc, s20, v204
	v_mov_b32_e32 v0, 0x4700
	s_and_b64 s[6:7], s[6:7], vcc
	v_lshl_add_u32 v0, v204, 4, v0
	s_and_saveexec_b64 s[8:9], s[6:7]
	s_xor_b64 s[6:7], exec, s[8:9]
	s_cbranch_execz .LBB122_8
; %bb.7:
	v_mov_b32_e32 v2, 0
	v_mov_b32_e32 v3, v2
	;; [unrolled: 1-line block ×4, first 2 shown]
	ds_write_b128 v0, v[2:5]
                                        ; implicit-def: $vgpr0
.LBB122_8:
	s_andn2_saveexec_b64 s[6:7], s[6:7]
	s_cbranch_execz .LBB122_10
; %bb.9:
	global_load_dwordx4 v[2:5], v[36:37], off
	s_waitcnt vmcnt(0)
	ds_write2_b64 v0, v[2:3], v[4:5] offset1:1
.LBB122_10:
	s_or_b64 exec, exec, s[4:5]
	s_mul_i32 s4, s3, s19
	s_mul_hi_u32 s5, s3, s18
	s_add_i32 s5, s5, s4
	s_mul_i32 s4, s3, s18
	s_lshl_b64 s[4:5], s[4:5], 4
	s_add_u32 s6, s12, s4
	s_addc_u32 s7, s13, s5
	s_lshl_b64 s[4:5], s[14:15], 4
	s_add_u32 s6, s6, s4
	s_addc_u32 s7, s7, s5
	s_ashr_i32 s23, s22, 31
	v_lshl_add_u32 v42, v205, 6, v204
	s_lshl_b64 s[4:5], s[22:23], 4
	v_and_b32_e32 v4, 31, v204
	v_lshrrev_b32_e32 v14, 5, v42
	s_add_u32 s6, s6, s4
	v_mov_b32_e32 v5, 0
	s_addc_u32 s7, s7, s5
	v_mad_u64_u32 v[38:39], s[4:5], v14, s16, v[4:5]
	v_mov_b32_e32 v0, v39
	v_mad_u64_u32 v[0:1], s[4:5], v14, s17, v[0:1]
	s_mul_i32 s4, s22, s17
	s_mul_hi_u32 s5, s22, s16
	s_add_i32 s4, s5, s4
	s_mul_i32 s5, s23, s16
	s_add_i32 s5, s4, s5
	s_mul_i32 s4, s22, s16
	s_lshl_b64 s[4:5], s[4:5], 4
	s_add_u32 s4, s4, s6
	s_addc_u32 s5, s5, s7
	s_cmp_eq_u32 s20, 0
	s_cselect_b64 s[18:19], -1, 0
	s_cmp_lg_u32 s20, 0
	v_mov_b32_e32 v39, v0
	s_cselect_b64 s[26:27], -1, 0
	v_lshl_add_u64 v[0:1], v[38:39], 4, s[4:5]
	s_and_b64 vcc, exec, s[26:27]
	v_cmp_gt_i32_e64 s[4:5], s20, v4
	v_lshlrev_b32_e32 v6, 4, v4
	v_mul_u32_u24_e32 v5, 33, v14
	s_mul_i32 s33, s17, 0x180
	s_cbranch_vccz .LBB122_28
; %bb.11:
	v_sub_co_u32_e32 v2, vcc, v0, v6
	s_ashr_i32 s21, s20, 31
	s_nop 0
	v_subbrev_co_u32_e32 v3, vcc, 0, v1, vcc
	v_lshl_add_u64 v[2:3], s[20:21], 4, v[2:3]
	v_lshl_add_u64 v[2:3], v[2:3], 0, -16
	v_cndmask_b32_e64 v3, v3, v1, s[4:5]
	v_cndmask_b32_e64 v2, v2, v0, s[4:5]
	v_cmp_le_i32_e32 vcc, s20, v14
	v_add_lshl_u32 v7, v5, v4, 4
	s_and_saveexec_b64 s[6:7], vcc
	s_xor_b64 s[6:7], exec, s[6:7]
	s_cbranch_execz .LBB122_13
; %bb.12:
	v_mov_b32_e32 v8, 0
	v_mov_b32_e32 v9, v8
	v_mov_b32_e32 v10, v8
	v_mov_b32_e32 v11, v8
	ds_write_b128 v7, v[8:11]
.LBB122_13:
	s_andn2_saveexec_b64 s[6:7], s[6:7]
	s_cbranch_execz .LBB122_15
; %bb.14:
	global_load_dwordx4 v[8:11], v[2:3], off
	s_waitcnt vmcnt(0)
	ds_write2_b64 v7, v[8:9], v[10:11] offset1:1
.LBB122_15:
	s_or_b64 exec, exec, s[6:7]
	v_add_u32_e32 v8, 8, v14
	v_cmp_le_i32_e32 vcc, s20, v8
	s_and_saveexec_b64 s[6:7], vcc
	s_xor_b64 s[6:7], exec, s[6:7]
	s_cbranch_execz .LBB122_17
; %bb.16:
	v_mul_u32_u24_e32 v8, 33, v8
	v_add_lshl_u32 v12, v8, v4, 4
	v_mov_b32_e32 v8, 0
	v_mov_b32_e32 v9, v8
	;; [unrolled: 1-line block ×4, first 2 shown]
	ds_write_b128 v12, v[8:11]
.LBB122_17:
	s_andn2_saveexec_b64 s[6:7], s[6:7]
	s_cbranch_execz .LBB122_19
; %bb.18:
	s_lshl_b64 s[8:9], s[16:17], 7
	v_lshl_add_u64 v[8:9], v[2:3], 0, s[8:9]
	global_load_dwordx4 v[8:11], v[8:9], off
	v_add_u32_e32 v12, 0x1080, v7
	s_waitcnt vmcnt(0)
	ds_write2_b64 v12, v[8:9], v[10:11] offset1:1
.LBB122_19:
	s_or_b64 exec, exec, s[6:7]
	v_add_u32_e32 v8, 16, v14
	v_cmp_le_i32_e32 vcc, s20, v8
	s_and_saveexec_b64 s[6:7], vcc
	s_xor_b64 s[6:7], exec, s[6:7]
	s_cbranch_execz .LBB122_21
; %bb.20:
	v_mov_b32_e32 v8, 0
	v_mov_b32_e32 v9, v8
	;; [unrolled: 1-line block ×4, first 2 shown]
	ds_write_b128 v7, v[8:11] offset:8448
.LBB122_21:
	s_andn2_saveexec_b64 s[6:7], s[6:7]
	s_cbranch_execz .LBB122_23
; %bb.22:
	s_lshl_b64 s[8:9], s[16:17], 8
	v_lshl_add_u64 v[8:9], v[2:3], 0, s[8:9]
	global_load_dwordx4 v[8:11], v[8:9], off
	v_add_u32_e32 v12, 0x2100, v7
	s_waitcnt vmcnt(0)
	ds_write2_b64 v12, v[8:9], v[10:11] offset1:1
.LBB122_23:
	s_or_b64 exec, exec, s[6:7]
	v_add_u32_e32 v8, 24, v14
	v_cmp_le_i32_e32 vcc, s20, v8
	s_and_saveexec_b64 s[6:7], vcc
	s_xor_b64 s[6:7], exec, s[6:7]
	s_cbranch_execz .LBB122_25
; %bb.24:
	v_mov_b32_e32 v8, 0
	v_mov_b32_e32 v9, v8
	;; [unrolled: 1-line block ×4, first 2 shown]
	ds_write_b128 v7, v[8:11] offset:12672
                                        ; implicit-def: $vgpr7
.LBB122_25:
	s_andn2_saveexec_b64 s[6:7], s[6:7]
	s_cbranch_execz .LBB122_27
; %bb.26:
	v_mov_b32_e32 v8, 0x180
	v_mad_u64_u32 v[8:9], s[8:9], s16, v8, v[2:3]
	v_add_u32_e32 v9, s33, v9
	global_load_dwordx4 v[8:11], v[8:9], off
	v_add_u32_e32 v7, 0x3180, v7
	s_waitcnt vmcnt(0)
	ds_write2_b64 v7, v[8:9], v[10:11] offset1:1
.LBB122_27:
	s_or_b64 exec, exec, s[6:7]
	v_mov_b32_e32 v7, 0
	v_lshl_add_u64 v[2:3], v[2:3], 0, v[6:7]
	s_lshl_b64 s[6:7], s[20:21], 4
	v_mov_b32_e32 v7, s7
	v_subrev_co_u32_e32 v2, vcc, s6, v2
	s_nop 1
	v_subb_co_u32_e32 v3, vcc, v3, v7, vcc
	v_lshl_add_u64 v[2:3], v[2:3], 0, 16
	v_cndmask_b32_e64 v9, v3, v1, s[4:5]
	v_cndmask_b32_e64 v8, v2, v0, s[4:5]
	s_branch .LBB122_30
.LBB122_28:
                                        ; implicit-def: $vgpr8_vgpr9
	s_cbranch_execz .LBB122_30
; %bb.29:
	s_lshl_b64 s[4:5], s[16:17], 7
	v_lshl_add_u64 v[2:3], v[0:1], 0, s[4:5]
	global_load_dwordx4 v[8:11], v[0:1], off
	global_load_dwordx4 v[16:19], v[2:3], off
	v_lshl_add_u64 v[2:3], v[2:3], 0, s[4:5]
	global_load_dwordx4 v[20:23], v[2:3], off
	v_mov_b32_e32 v2, 0x180
	v_mad_u64_u32 v[2:3], s[4:5], s16, v2, v[0:1]
	v_add_u32_e32 v3, s33, v3
	global_load_dwordx4 v[24:27], v[2:3], off
	v_add_lshl_u32 v2, v5, v4, 4
	v_add_u32_e32 v3, 0x1080, v2
	v_add_u32_e32 v7, 0x2100, v2
	;; [unrolled: 1-line block ×3, first 2 shown]
	s_waitcnt vmcnt(3)
	ds_write2_b64 v2, v[8:9], v[10:11] offset1:1
	s_waitcnt vmcnt(2)
	ds_write2_b64 v3, v[16:17], v[18:19] offset1:1
	;; [unrolled: 2-line block ×4, first 2 shown]
	v_mov_b64_e32 v[8:9], v[0:1]
.LBB122_30:
	v_lshlrev_b32_e32 v0, 2, v14
	v_mul_u32_u24_e32 v15, 33, v4
	v_cmp_gt_u32_e64 s[4:5], v0, v4
	v_add_lshl_u32 v17, v0, v15, 4
	s_waitcnt lgkmcnt(0)
	s_barrier
	s_and_saveexec_b64 s[6:7], s[4:5]
	s_cbranch_execz .LBB122_32
; %bb.31:
	v_mul_u32_u24_e32 v1, 0x84, v14
	v_add_lshl_u32 v1, v1, v4, 4
	ds_read_b128 v[10:13], v1
	s_waitcnt lgkmcnt(0)
	ds_write_b128 v17, v[10:13]
.LBB122_32:
	s_or_b64 exec, exec, s[6:7]
	v_cmp_ge_u32_e64 s[6:7], v0, v4
	s_and_saveexec_b64 s[8:9], s[6:7]
	s_cbranch_execz .LBB122_34
; %bb.33:
	v_or_b32_e32 v1, 1, v0
	v_mul_u32_u24_e32 v1, 33, v1
	v_add_lshl_u32 v1, v1, v4, 4
	ds_read_b128 v[10:13], v1
	s_waitcnt lgkmcnt(0)
	ds_write_b128 v17, v[10:13] offset:16
.LBB122_34:
	s_or_b64 exec, exec, s[8:9]
	v_or_b32_e32 v1, 2, v0
	v_cmp_gt_u32_e64 s[8:9], v1, v4
	s_and_saveexec_b64 s[10:11], s[8:9]
	s_cbranch_execz .LBB122_36
; %bb.35:
	v_mul_u32_u24_e32 v1, 33, v1
	v_add_lshl_u32 v1, v1, v4, 4
	ds_read_b128 v[10:13], v1
	s_waitcnt lgkmcnt(0)
	ds_write_b128 v17, v[10:13] offset:32
.LBB122_36:
	s_or_b64 exec, exec, s[10:11]
	v_or_b32_e32 v1, 3, v0
	v_cmp_gt_u32_e64 s[10:11], v1, v4
	v_mad_u32_u24 v1, v1, 33, v4
	v_lshlrev_b32_e32 v16, 4, v1
	s_and_saveexec_b64 s[12:13], s[10:11]
	s_cbranch_execz .LBB122_38
; %bb.37:
	ds_read_b128 v[10:13], v16
	s_waitcnt lgkmcnt(0)
	ds_write_b128 v17, v[10:13] offset:48
.LBB122_38:
	s_or_b64 exec, exec, s[12:13]
	v_mul_u32_u24_e32 v1, 0x84, v14
	v_lshlrev_b32_e32 v18, 4, v0
	s_waitcnt lgkmcnt(0)
	s_barrier
	v_add_lshl_u32 v24, v1, v4, 4
	ds_read_b128 v[0:3], v18 offset:18176
	ds_read_b128 v[10:13], v24
	ds_read_b128 v[20:23], v18 offset:18192
	ds_read_b128 v[26:29], v18 offset:18208
	v_add_u32_e32 v25, 0xfffffbe0, v16
	ds_read_b128 v[30:33], v25
	ds_read_b128 v[44:47], v25 offset:528
	s_waitcnt lgkmcnt(4)
	v_mul_f64 v[34:35], v[2:3], v[12:13]
	v_fma_f64 v[34:35], v[0:1], v[10:11], -v[34:35]
	v_mul_f64 v[0:1], v[0:1], v[12:13]
	v_fmac_f64_e32 v[0:1], v[2:3], v[10:11]
	s_waitcnt lgkmcnt(1)
	v_mul_f64 v[12:13], v[20:21], v[32:33]
	v_add_f64 v[0:1], v[0:1], 0
	v_mul_f64 v[10:11], v[22:23], v[32:33]
	v_fmac_f64_e32 v[12:13], v[22:23], v[30:31]
	v_add_f64 v[2:3], v[34:35], 0
	v_fma_f64 v[10:11], v[20:21], v[30:31], -v[10:11]
	v_add_f64 v[22:23], v[0:1], v[12:13]
	s_waitcnt lgkmcnt(0)
	v_mul_f64 v[0:1], v[28:29], v[46:47]
	v_add_f64 v[20:21], v[2:3], v[10:11]
	v_fma_f64 v[30:31], v[26:27], v[44:45], -v[0:1]
	ds_read_b128 v[0:3], v18 offset:18224
	ds_read_b128 v[10:13], v16
	v_mul_f64 v[26:27], v[26:27], v[46:47]
	v_fmac_f64_e32 v[26:27], v[28:29], v[44:45]
	v_add_f64 v[22:23], v[22:23], v[26:27]
	v_add_f64 v[20:21], v[20:21], v[30:31]
	s_waitcnt lgkmcnt(0)
	v_mul_f64 v[26:27], v[2:3], v[12:13]
	v_mul_f64 v[12:13], v[0:1], v[12:13]
	v_fma_f64 v[26:27], v[0:1], v[10:11], -v[26:27]
	v_fmac_f64_e32 v[12:13], v[2:3], v[10:11]
	v_add_f64 v[0:1], v[20:21], v[26:27]
	v_add_f64 v[2:3], v[22:23], v[12:13]
	v_add_lshl_u32 v44, v14, v15, 4
	s_barrier
	ds_write_b128 v44, v[0:3]
	v_mov_b64_e32 v[0:1], 0
	v_cmp_gt_u32_e64 s[12:13], 32, v42
	v_lshlrev_b32_e32 v43, 4, v15
	v_mov_b64_e32 v[2:3], v[0:1]
	s_waitcnt lgkmcnt(0)
	s_barrier
	s_and_saveexec_b64 s[14:15], s[12:13]
	s_cbranch_execz .LBB122_40
; %bb.39:
	ds_read_b128 v[0:3], v43
	ds_read_b128 v[10:13], v43 offset:16
	ds_read_b128 v[20:23], v43 offset:32
	;; [unrolled: 1-line block ×3, first 2 shown]
	s_waitcnt lgkmcnt(2)
	v_add_f64 v[0:1], v[10:11], v[0:1]
	v_add_f64 v[10:11], v[12:13], v[2:3]
	s_waitcnt lgkmcnt(1)
	v_add_f64 v[12:13], v[0:1], v[20:21]
	ds_read_b128 v[0:3], v43 offset:64
	v_add_f64 v[10:11], v[10:11], v[22:23]
	s_waitcnt lgkmcnt(1)
	v_add_f64 v[20:21], v[12:13], v[26:27]
	v_add_f64 v[26:27], v[10:11], v[28:29]
	ds_read_b128 v[10:13], v43 offset:80
	s_waitcnt lgkmcnt(1)
	v_add_f64 v[28:29], v[20:21], v[0:1]
	ds_read_b128 v[20:23], v43 offset:96
	v_add_f64 v[26:27], v[26:27], v[2:3]
	ds_read_b128 v[0:3], v43 offset:112
	s_waitcnt lgkmcnt(2)
	v_add_f64 v[10:11], v[28:29], v[10:11]
	v_add_f64 v[12:13], v[26:27], v[12:13]
	s_waitcnt lgkmcnt(1)
	v_add_f64 v[10:11], v[10:11], v[20:21]
	v_add_f64 v[12:13], v[12:13], v[22:23]
	;; [unrolled: 3-line block ×3, first 2 shown]
.LBB122_40:
	s_or_b64 exec, exec, s[14:15]
	s_lshl_b64 s[14:15], s[16:17], 9
	v_lshl_add_u64 v[12:13], v[8:9], 0, s[14:15]
	s_mov_b64 s[14:15], 0x200
	v_lshl_add_u64 v[10:11], v[12:13], 0, s[14:15]
	s_and_b64 vcc, exec, s[26:27]
	s_barrier
	s_cbranch_vccz .LBB122_58
; %bb.41:
	v_sub_co_u32_e32 v8, vcc, v10, v6
	s_ashr_i32 s21, s20, 31
	s_nop 0
	v_subbrev_co_u32_e32 v9, vcc, 0, v11, vcc
	s_movk_i32 s14, 0xfdf0
	v_or_b32_e32 v7, 32, v4
	v_lshl_add_u64 v[8:9], s[20:21], 4, v[8:9]
	s_mov_b32 s15, -1
	v_lshl_add_u64 v[8:9], v[8:9], 0, s[14:15]
	v_cmp_gt_i32_e32 vcc, s20, v7
	s_sub_i32 s36, s20, 32
	v_cmp_le_i32_e64 s[14:15], s36, v14
	v_cndmask_b32_e32 v9, v9, v11, vcc
	v_cndmask_b32_e32 v8, v8, v10, vcc
	v_add_lshl_u32 v7, v5, v4, 4
	s_and_saveexec_b64 s[38:39], s[14:15]
	s_xor_b64 s[14:15], exec, s[38:39]
	s_cbranch_execz .LBB122_43
; %bb.42:
	v_mov_b32_e32 v20, 0
	v_mov_b32_e32 v21, v20
	;; [unrolled: 1-line block ×4, first 2 shown]
	ds_write_b128 v7, v[20:23]
.LBB122_43:
	s_andn2_saveexec_b64 s[14:15], s[14:15]
	s_cbranch_execz .LBB122_45
; %bb.44:
	global_load_dwordx4 v[20:23], v[8:9], off
	s_waitcnt vmcnt(0)
	ds_write2_b64 v7, v[20:21], v[22:23] offset1:1
.LBB122_45:
	s_or_b64 exec, exec, s[14:15]
	v_add_u32_e32 v19, 8, v14
	v_cmp_le_i32_e64 s[14:15], s36, v19
	s_and_saveexec_b64 s[38:39], s[14:15]
	s_xor_b64 s[14:15], exec, s[38:39]
	s_cbranch_execz .LBB122_47
; %bb.46:
	v_mul_u32_u24_e32 v19, 33, v19
	v_mov_b32_e32 v20, 0
	v_add_lshl_u32 v19, v19, v4, 4
	v_mov_b32_e32 v21, v20
	v_mov_b32_e32 v22, v20
	v_mov_b32_e32 v23, v20
	ds_write_b128 v19, v[20:23]
.LBB122_47:
	s_andn2_saveexec_b64 s[14:15], s[14:15]
	s_cbranch_execz .LBB122_49
; %bb.48:
	s_lshl_b64 s[38:39], s[16:17], 7
	v_lshl_add_u64 v[20:21], v[8:9], 0, s[38:39]
	global_load_dwordx4 v[20:23], v[20:21], off
	v_add_u32_e32 v19, 0x1080, v7
	s_waitcnt vmcnt(0)
	ds_write2_b64 v19, v[20:21], v[22:23] offset1:1
.LBB122_49:
	s_or_b64 exec, exec, s[14:15]
	v_add_u32_e32 v19, 16, v14
	v_cmp_le_i32_e64 s[14:15], s36, v19
	s_and_saveexec_b64 s[38:39], s[14:15]
	s_xor_b64 s[14:15], exec, s[38:39]
	s_cbranch_execz .LBB122_51
; %bb.50:
	v_mov_b32_e32 v20, 0
	v_mov_b32_e32 v21, v20
	;; [unrolled: 1-line block ×4, first 2 shown]
	ds_write_b128 v7, v[20:23] offset:8448
.LBB122_51:
	s_andn2_saveexec_b64 s[14:15], s[14:15]
	s_cbranch_execz .LBB122_53
; %bb.52:
	s_lshl_b64 s[38:39], s[16:17], 8
	v_lshl_add_u64 v[20:21], v[8:9], 0, s[38:39]
	global_load_dwordx4 v[20:23], v[20:21], off
	v_add_u32_e32 v19, 0x2100, v7
	s_waitcnt vmcnt(0)
	ds_write2_b64 v19, v[20:21], v[22:23] offset1:1
.LBB122_53:
	s_or_b64 exec, exec, s[14:15]
	v_add_u32_e32 v19, 24, v14
	v_cmp_le_i32_e64 s[14:15], s36, v19
	s_and_saveexec_b64 s[36:37], s[14:15]
	s_xor_b64 s[14:15], exec, s[36:37]
	s_cbranch_execz .LBB122_55
; %bb.54:
	v_mov_b32_e32 v20, 0
	v_mov_b32_e32 v21, v20
	;; [unrolled: 1-line block ×4, first 2 shown]
	ds_write_b128 v7, v[20:23] offset:12672
                                        ; implicit-def: $vgpr7
.LBB122_55:
	s_andn2_saveexec_b64 s[14:15], s[14:15]
	s_cbranch_execz .LBB122_57
; %bb.56:
	v_mov_b32_e32 v19, 0x180
	v_mad_u64_u32 v[20:21], s[36:37], s16, v19, v[8:9]
	v_add_u32_e32 v21, s33, v21
	global_load_dwordx4 v[20:23], v[20:21], off
	v_add_u32_e32 v7, 0x3180, v7
	s_waitcnt vmcnt(0)
	ds_write2_b64 v7, v[20:21], v[22:23] offset1:1
.LBB122_57:
	s_or_b64 exec, exec, s[14:15]
	v_mov_b32_e32 v7, 0
	v_lshl_add_u64 v[8:9], v[8:9], 0, v[6:7]
	s_lshl_b64 s[14:15], s[20:21], 4
	v_mov_b32_e32 v7, s15
	v_subrev_co_u32_e64 v8, s[14:15], s14, v8
	s_nop 1
	v_subb_co_u32_e64 v9, s[14:15], v9, v7, s[14:15]
	s_mov_b64 s[14:15], 0x210
	s_nop 0
	v_lshl_add_u64 v[8:9], v[8:9], 0, s[14:15]
	v_cndmask_b32_e32 v9, v9, v11, vcc
	v_cndmask_b32_e32 v8, v8, v10, vcc
	s_branch .LBB122_60
.LBB122_58:
                                        ; implicit-def: $vgpr8_vgpr9
	s_cbranch_execz .LBB122_60
; %bb.59:
	s_lshl_b64 s[14:15], s[16:17], 7
	v_lshl_add_u64 v[8:9], v[12:13], 0, s[14:15]
	v_mov_b32_e32 v7, 0x180
	global_load_dwordx4 v[20:23], v[10:11], off
	global_load_dwordx4 v[26:29], v[8:9], off offset:512
	v_lshl_add_u64 v[8:9], v[8:9], 0, s[14:15]
	v_mad_u64_u32 v[12:13], s[14:15], s16, v7, v[12:13]
	v_add_u32_e32 v13, s33, v13
	global_load_dwordx4 v[30:33], v[8:9], off offset:512
	global_load_dwordx4 v[46:49], v[12:13], off offset:512
	v_add_lshl_u32 v7, v5, v4, 4
	v_add_u32_e32 v8, 0x1080, v7
	v_add_u32_e32 v9, 0x2100, v7
	;; [unrolled: 1-line block ×3, first 2 shown]
	s_waitcnt vmcnt(3)
	ds_write2_b64 v7, v[20:21], v[22:23] offset1:1
	s_waitcnt vmcnt(2)
	ds_write2_b64 v8, v[26:27], v[28:29] offset1:1
	;; [unrolled: 2-line block ×4, first 2 shown]
	v_mov_b64_e32 v[8:9], v[10:11]
.LBB122_60:
	s_waitcnt lgkmcnt(0)
	s_barrier
	s_and_saveexec_b64 s[14:15], s[4:5]
	s_cbranch_execnz .LBB122_85
; %bb.61:
	s_or_b64 exec, exec, s[14:15]
	s_and_saveexec_b64 s[4:5], s[6:7]
	s_cbranch_execnz .LBB122_86
.LBB122_62:
	s_or_b64 exec, exec, s[4:5]
	s_and_saveexec_b64 s[4:5], s[8:9]
	s_cbranch_execnz .LBB122_87
.LBB122_63:
	s_or_b64 exec, exec, s[4:5]
	v_add_u32_e32 v26, 0x4700, v18
	s_and_saveexec_b64 s[4:5], s[10:11]
	s_cbranch_execz .LBB122_65
.LBB122_64:
	ds_read_b128 v[10:13], v16
	s_waitcnt lgkmcnt(0)
	ds_write_b128 v17, v[10:13] offset:48
.LBB122_65:
	s_or_b64 exec, exec, s[4:5]
	s_waitcnt lgkmcnt(0)
	s_barrier
	ds_read_b128 v[10:13], v26 offset:512
	ds_read_b128 v[18:21], v24
	ds_read_b128 v[28:31], v26 offset:528
	ds_read_b128 v[32:35], v26 offset:544
	;; [unrolled: 1-line block ×3, first 2 shown]
	ds_read_b128 v[50:53], v25
	v_cmp_eq_u32_e64 s[4:5], 1, v14
	s_waitcnt lgkmcnt(4)
	v_mul_f64 v[22:23], v[12:13], v[20:21]
	v_fma_f64 v[22:23], v[10:11], v[18:19], -v[22:23]
	v_mul_f64 v[10:11], v[10:11], v[20:21]
	v_fmac_f64_e32 v[10:11], v[12:13], v[18:19]
	v_add_f64 v[20:21], v[10:11], 0
	s_waitcnt lgkmcnt(0)
	v_mul_f64 v[10:11], v[30:31], v[52:53]
	v_add_f64 v[18:19], v[22:23], 0
	v_fma_f64 v[22:23], v[28:29], v[50:51], -v[10:11]
	v_mul_f64 v[28:29], v[28:29], v[52:53]
	ds_read_b128 v[10:13], v25 offset:528
	v_fmac_f64_e32 v[28:29], v[30:31], v[50:51]
	v_add_f64 v[22:23], v[18:19], v[22:23]
	v_add_f64 v[28:29], v[20:21], v[28:29]
	ds_read_b128 v[18:21], v16
	s_waitcnt lgkmcnt(1)
	v_mul_f64 v[30:31], v[34:35], v[12:13]
	v_fma_f64 v[30:31], v[32:33], v[10:11], -v[30:31]
	v_mul_f64 v[12:13], v[32:33], v[12:13]
	v_fmac_f64_e32 v[12:13], v[34:35], v[10:11]
	v_add_f64 v[10:11], v[22:23], v[30:31]
	s_waitcnt lgkmcnt(0)
	v_mul_f64 v[22:23], v[48:49], v[20:21]
	v_mul_f64 v[20:21], v[46:47], v[20:21]
	v_add_f64 v[12:13], v[28:29], v[12:13]
	v_fma_f64 v[22:23], v[46:47], v[18:19], -v[22:23]
	v_fmac_f64_e32 v[20:21], v[48:49], v[18:19]
	v_add_f64 v[10:11], v[10:11], v[22:23]
	v_add_f64 v[12:13], v[12:13], v[20:21]
	s_barrier
	ds_write_b128 v44, v[10:13]
	s_waitcnt lgkmcnt(0)
	s_barrier
	s_and_saveexec_b64 s[6:7], s[4:5]
	s_cbranch_execz .LBB122_67
; %bb.66:
	ds_read_b128 v[0:3], v43
	ds_read_b128 v[10:13], v43 offset:16
	ds_read_b128 v[18:21], v43 offset:32
	;; [unrolled: 1-line block ×3, first 2 shown]
	s_waitcnt lgkmcnt(2)
	v_add_f64 v[0:1], v[10:11], v[0:1]
	v_add_f64 v[10:11], v[12:13], v[2:3]
	s_waitcnt lgkmcnt(1)
	v_add_f64 v[12:13], v[0:1], v[18:19]
	ds_read_b128 v[0:3], v43 offset:64
	v_add_f64 v[10:11], v[10:11], v[20:21]
	s_waitcnt lgkmcnt(1)
	v_add_f64 v[18:19], v[12:13], v[28:29]
	v_add_f64 v[22:23], v[10:11], v[30:31]
	ds_read_b128 v[10:13], v43 offset:80
	s_waitcnt lgkmcnt(1)
	v_add_f64 v[28:29], v[18:19], v[0:1]
	ds_read_b128 v[18:21], v43 offset:96
	v_add_f64 v[22:23], v[22:23], v[2:3]
	ds_read_b128 v[0:3], v43 offset:112
	s_waitcnt lgkmcnt(2)
	v_add_f64 v[10:11], v[28:29], v[10:11]
	v_add_f64 v[12:13], v[22:23], v[12:13]
	s_waitcnt lgkmcnt(1)
	v_add_f64 v[10:11], v[10:11], v[18:19]
	v_add_f64 v[12:13], v[12:13], v[20:21]
	;; [unrolled: 3-line block ×3, first 2 shown]
.LBB122_67:
	s_or_b64 exec, exec, s[6:7]
	s_movk_i32 s6, 0xfe00
	s_mov_b32 s7, -1
	v_lshl_add_u64 v[10:11], v[8:9], 0, s[6:7]
	s_and_b64 vcc, exec, s[26:27]
	s_barrier
	s_cbranch_vccz .LBB122_88
; %bb.68:
	v_sub_co_u32_e32 v12, vcc, v8, v6
	s_ashr_i32 s21, s20, 31
	s_nop 0
	v_subbrev_co_u32_e32 v13, vcc, 0, v9, vcc
	s_movk_i32 s6, 0xfdf0
	v_lshl_add_u64 v[12:13], s[20:21], 4, v[12:13]
	s_mov_b32 s7, -1
	v_lshl_add_u64 v[12:13], v[12:13], 0, s[6:7]
	v_cmp_gt_i32_e32 vcc, s20, v4
	s_sub_i32 s8, s20, 32
	v_cmp_le_i32_e64 s[6:7], s8, v14
	v_cndmask_b32_e32 v13, v13, v11, vcc
	v_cndmask_b32_e32 v12, v12, v10, vcc
	v_add_lshl_u32 v7, v5, v4, 4
	s_and_saveexec_b64 s[10:11], s[6:7]
	s_xor_b64 s[6:7], exec, s[10:11]
	s_cbranch_execz .LBB122_70
; %bb.69:
	v_mov_b32_e32 v18, 0
	v_mov_b32_e32 v19, v18
	;; [unrolled: 1-line block ×4, first 2 shown]
	ds_write_b128 v7, v[18:21]
.LBB122_70:
	s_andn2_saveexec_b64 s[6:7], s[6:7]
	s_cbranch_execz .LBB122_72
; %bb.71:
	global_load_dwordx4 v[18:21], v[12:13], off
	s_waitcnt vmcnt(0)
	ds_write2_b64 v7, v[18:19], v[20:21] offset1:1
.LBB122_72:
	s_or_b64 exec, exec, s[6:7]
	v_add_u32_e32 v17, 8, v14
	v_cmp_le_i32_e64 s[6:7], s8, v17
	s_and_saveexec_b64 s[10:11], s[6:7]
	s_xor_b64 s[6:7], exec, s[10:11]
	s_cbranch_execz .LBB122_74
; %bb.73:
	v_mul_u32_u24_e32 v18, 33, v17
	v_add_lshl_u32 v22, v18, v4, 4
	v_mov_b32_e32 v18, 0
	v_mov_b32_e32 v19, v18
	;; [unrolled: 1-line block ×4, first 2 shown]
	ds_write_b128 v22, v[18:21]
.LBB122_74:
	s_andn2_saveexec_b64 s[6:7], s[6:7]
	s_cbranch_execz .LBB122_76
; %bb.75:
	s_lshl_b64 s[10:11], s[16:17], 7
	v_lshl_add_u64 v[18:19], v[12:13], 0, s[10:11]
	global_load_dwordx4 v[18:21], v[18:19], off
	v_add_u32_e32 v22, 0x1080, v7
	s_waitcnt vmcnt(0)
	ds_write2_b64 v22, v[18:19], v[20:21] offset1:1
.LBB122_76:
	s_or_b64 exec, exec, s[6:7]
	v_add_u32_e32 v18, 16, v14
	v_cmp_le_i32_e64 s[6:7], s8, v18
	s_and_saveexec_b64 s[10:11], s[6:7]
	s_xor_b64 s[6:7], exec, s[10:11]
	s_cbranch_execz .LBB122_78
; %bb.77:
	v_mov_b32_e32 v20, 0
	v_mov_b32_e32 v21, v20
	;; [unrolled: 1-line block ×4, first 2 shown]
	ds_write_b128 v7, v[20:23] offset:8448
.LBB122_78:
	s_andn2_saveexec_b64 s[6:7], s[6:7]
	s_cbranch_execz .LBB122_80
; %bb.79:
	s_lshl_b64 s[10:11], s[16:17], 8
	v_lshl_add_u64 v[20:21], v[12:13], 0, s[10:11]
	global_load_dwordx4 v[20:23], v[20:21], off
	v_add_u32_e32 v19, 0x2100, v7
	s_waitcnt vmcnt(0)
	ds_write2_b64 v19, v[20:21], v[22:23] offset1:1
.LBB122_80:
	s_or_b64 exec, exec, s[6:7]
	v_add_u32_e32 v19, 24, v14
	v_cmp_le_i32_e64 s[6:7], s8, v19
	s_and_saveexec_b64 s[8:9], s[6:7]
	s_xor_b64 s[6:7], exec, s[8:9]
	s_cbranch_execz .LBB122_82
; %bb.81:
	v_mov_b32_e32 v20, 0
	v_mov_b32_e32 v21, v20
	;; [unrolled: 1-line block ×4, first 2 shown]
	ds_write_b128 v7, v[20:23] offset:12672
                                        ; implicit-def: $vgpr7
.LBB122_82:
	s_andn2_saveexec_b64 s[6:7], s[6:7]
	s_cbranch_execz .LBB122_84
; %bb.83:
	v_mov_b32_e32 v20, 0x180
	v_mad_u64_u32 v[20:21], s[8:9], s16, v20, v[12:13]
	v_add_u32_e32 v21, s33, v21
	global_load_dwordx4 v[20:23], v[20:21], off
	v_add_u32_e32 v7, 0x3180, v7
	s_waitcnt vmcnt(0)
	ds_write2_b64 v7, v[20:21], v[22:23] offset1:1
.LBB122_84:
	s_or_b64 exec, exec, s[6:7]
	v_mov_b32_e32 v7, 0
	v_lshl_add_u64 v[6:7], v[12:13], 0, v[6:7]
	s_lshl_b64 s[6:7], s[20:21], 4
	v_mov_b32_e32 v12, s7
	v_subrev_co_u32_e64 v6, s[6:7], s6, v6
	s_nop 1
	v_subb_co_u32_e64 v7, s[6:7], v7, v12, s[6:7]
	v_lshl_add_u64 v[6:7], v[6:7], 0, 16
	v_cndmask_b32_e32 v41, v7, v11, vcc
	v_cndmask_b32_e32 v40, v6, v10, vcc
	s_branch .LBB122_90
.LBB122_85:
	ds_read_b128 v[10:13], v24
	s_waitcnt lgkmcnt(0)
	ds_write_b128 v17, v[10:13]
	s_or_b64 exec, exec, s[14:15]
	s_and_saveexec_b64 s[4:5], s[6:7]
	s_cbranch_execz .LBB122_62
.LBB122_86:
	ds_read_b128 v[10:13], v25
	s_waitcnt lgkmcnt(0)
	ds_write_b128 v17, v[10:13] offset:16
	s_or_b64 exec, exec, s[4:5]
	s_and_saveexec_b64 s[4:5], s[8:9]
	s_cbranch_execz .LBB122_63
.LBB122_87:
	v_add_u32_e32 v7, 0x210, v25
	ds_read_b128 v[10:13], v7
	s_waitcnt lgkmcnt(0)
	ds_write_b128 v17, v[10:13] offset:32
	s_or_b64 exec, exec, s[4:5]
	v_add_u32_e32 v26, 0x4700, v18
	s_and_saveexec_b64 s[4:5], s[10:11]
	s_cbranch_execnz .LBB122_64
	s_branch .LBB122_65
.LBB122_88:
                                        ; implicit-def: $vgpr40_vgpr41
                                        ; implicit-def: $vgpr17
                                        ; implicit-def: $vgpr18
                                        ; implicit-def: $vgpr19
	s_cbranch_execz .LBB122_90
; %bb.89:
	s_lshl_b64 s[6:7], s[16:17], 7
	v_lshl_add_u64 v[6:7], v[8:9], 0, s[6:7]
	global_load_dwordx4 v[20:23], v[10:11], off
	global_load_dwordx4 v[28:31], v[6:7], off offset:-512
	v_lshl_add_u64 v[12:13], v[6:7], 0, s[6:7]
	v_mov_b32_e32 v6, 0x180
	v_mad_u64_u32 v[18:19], s[6:7], s16, v6, v[8:9]
	v_add_u32_e32 v19, s33, v19
	global_load_dwordx4 v[6:9], v[12:13], off offset:-512
	global_load_dwordx4 v[32:35], v[18:19], off offset:-512
	v_add_lshl_u32 v4, v5, v4, 4
	v_add_u32_e32 v17, 8, v14
	v_add_u32_e32 v18, 16, v14
	;; [unrolled: 1-line block ×3, first 2 shown]
	v_mov_b64_e32 v[40:41], v[10:11]
	v_add_u32_e32 v5, 0x1080, v4
	v_add_u32_e32 v12, 0x2100, v4
	;; [unrolled: 1-line block ×3, first 2 shown]
	s_waitcnt vmcnt(3)
	ds_write2_b64 v4, v[20:21], v[22:23] offset1:1
	s_waitcnt vmcnt(2)
	ds_write2_b64 v5, v[28:29], v[30:31] offset1:1
	;; [unrolled: 2-line block ×4, first 2 shown]
.LBB122_90:
	v_lshlrev_b32_e32 v4, 4, v14
	s_waitcnt lgkmcnt(0)
	s_barrier
	ds_read_b128 v[46:49], v44
	ds_read_b128 v[50:53], v4 offset:18176
	v_add_lshl_u32 v4, v17, v15, 4
	v_lshlrev_b32_e32 v10, 4, v17
	ds_read_b128 v[54:57], v4
	ds_read_b128 v[4:7], v25 offset:528
	ds_read_b128 v[58:61], v10 offset:18176
	s_waitcnt lgkmcnt(3)
	v_mul_f64 v[8:9], v[48:49], v[52:53]
	v_add_lshl_u32 v10, v18, v15, 4
	v_lshlrev_b32_e32 v12, 4, v18
	v_fma_f64 v[8:9], v[46:47], v[50:51], -v[8:9]
	ds_read_b128 v[62:65], v10
	ds_read_b128 v[66:69], v12 offset:18176
	s_waitcnt lgkmcnt(2)
	v_mul_f64 v[10:11], v[56:57], v[60:61]
	v_add_f64 v[8:9], v[8:9], 0
	v_fma_f64 v[10:11], v[54:55], v[58:59], -v[10:11]
	v_add_f64 v[8:9], v[8:9], v[10:11]
	v_add_lshl_u32 v10, v19, v15, 4
	v_lshlrev_b32_e32 v12, 4, v19
	v_mul_f64 v[74:75], v[46:47], v[52:53]
	v_mul_f64 v[60:61], v[54:55], v[60:61]
	ds_read_b128 v[52:55], v10
	ds_read_b128 v[70:73], v12 offset:18176
	s_waitcnt lgkmcnt(2)
	v_mul_f64 v[10:11], v[64:65], v[68:69]
	v_fma_f64 v[10:11], v[62:63], v[66:67], -v[10:11]
	v_add_f64 v[12:13], v[8:9], v[10:11]
	ds_read_b128 v[8:11], v16
	s_waitcnt lgkmcnt(1)
	v_mul_f64 v[14:15], v[54:55], v[72:73]
	v_fma_f64 v[14:15], v[52:53], v[70:71], -v[14:15]
	v_add_f64 v[46:47], v[12:13], v[14:15]
	ds_read_b128 v[20:23], v26 offset:528
	ds_read_b128 v[16:19], v26 offset:544
	;; [unrolled: 1-line block ×3, first 2 shown]
	ds_read_b128 v[32:35], v24
	ds_read_b128 v[12:15], v26 offset:560
	ds_read_b128 v[24:27], v25
	v_fmac_f64_e32 v[74:75], v[48:49], v[50:51]
	v_mul_f64 v[62:63], v[62:63], v[68:69]
	v_add_f64 v[48:49], v[74:75], 0
	v_fmac_f64_e32 v[60:61], v[56:57], v[58:59]
	v_mul_f64 v[52:53], v[52:53], v[72:73]
	v_add_f64 v[48:49], v[48:49], v[60:61]
	v_fmac_f64_e32 v[62:63], v[64:65], v[66:67]
	v_add_f64 v[48:49], v[48:49], v[62:63]
	v_fmac_f64_e32 v[52:53], v[54:55], v[70:71]
	v_add_f64 v[48:49], v[48:49], v[52:53]
	s_waitcnt lgkmcnt(0)
	s_barrier
	ds_write_b128 v44, v[46:49]
	s_waitcnt lgkmcnt(0)
	s_barrier
	s_and_saveexec_b64 s[6:7], s[4:5]
	s_cbranch_execz .LBB122_92
; %bb.91:
	ds_read_b128 v[46:49], v43
	ds_read_b128 v[50:53], v43 offset:16
	ds_read_b128 v[54:57], v43 offset:32
	;; [unrolled: 1-line block ×3, first 2 shown]
	s_waitcnt lgkmcnt(3)
	v_add_f64 v[0:1], v[0:1], v[46:47]
	v_add_f64 v[2:3], v[2:3], v[48:49]
	s_waitcnt lgkmcnt(2)
	v_add_f64 v[0:1], v[0:1], v[50:51]
	v_add_f64 v[46:47], v[2:3], v[52:53]
	s_waitcnt lgkmcnt(1)
	v_add_f64 v[48:49], v[0:1], v[54:55]
	ds_read_b128 v[0:3], v43 offset:64
	v_add_f64 v[46:47], v[46:47], v[56:57]
	s_waitcnt lgkmcnt(1)
	v_add_f64 v[50:51], v[48:49], v[58:59]
	v_add_f64 v[54:55], v[46:47], v[60:61]
	ds_read_b128 v[46:49], v43 offset:80
	s_waitcnt lgkmcnt(1)
	v_add_f64 v[56:57], v[50:51], v[0:1]
	ds_read_b128 v[50:53], v43 offset:96
	v_add_f64 v[54:55], v[54:55], v[2:3]
	ds_read_b128 v[0:3], v43 offset:112
	s_waitcnt lgkmcnt(2)
	v_add_f64 v[46:47], v[56:57], v[46:47]
	v_add_f64 v[48:49], v[54:55], v[48:49]
	s_waitcnt lgkmcnt(1)
	v_add_f64 v[46:47], v[46:47], v[50:51]
	v_add_f64 v[48:49], v[48:49], v[52:53]
	;; [unrolled: 3-line block ×3, first 2 shown]
.LBB122_92:
	s_or_b64 exec, exec, s[6:7]
	v_mul_f64 v[46:47], v[30:31], v[34:35]
	v_fma_f64 v[46:47], v[28:29], v[32:33], -v[46:47]
	v_mul_f64 v[28:29], v[28:29], v[34:35]
	v_fmac_f64_e32 v[28:29], v[30:31], v[32:33]
	v_mul_f64 v[32:33], v[22:23], v[26:27]
	v_fma_f64 v[32:33], v[20:21], v[24:25], -v[32:33]
	v_mul_f64 v[20:21], v[20:21], v[26:27]
	v_add_f64 v[30:31], v[46:47], 0
	v_add_f64 v[28:29], v[28:29], 0
	v_fmac_f64_e32 v[20:21], v[22:23], v[24:25]
	v_mul_f64 v[24:25], v[18:19], v[6:7]
	v_mul_f64 v[6:7], v[16:17], v[6:7]
	v_add_f64 v[22:23], v[30:31], v[32:33]
	v_add_f64 v[20:21], v[28:29], v[20:21]
	v_fma_f64 v[24:25], v[16:17], v[4:5], -v[24:25]
	v_fmac_f64_e32 v[6:7], v[18:19], v[4:5]
	v_mul_f64 v[16:17], v[14:15], v[10:11]
	v_mul_f64 v[10:11], v[12:13], v[10:11]
	v_add_f64 v[4:5], v[22:23], v[24:25]
	v_add_f64 v[6:7], v[20:21], v[6:7]
	v_fma_f64 v[16:17], v[12:13], v[8:9], -v[16:17]
	v_fmac_f64_e32 v[10:11], v[14:15], v[8:9]
	v_add_f64 v[4:5], v[4:5], v[16:17]
	v_add_f64 v[6:7], v[6:7], v[10:11]
	s_barrier
	ds_write_b128 v44, v[4:7]
	s_waitcnt lgkmcnt(0)
	s_barrier
	s_and_saveexec_b64 s[4:5], s[12:13]
	s_cbranch_execz .LBB122_94
; %bb.93:
	ds_read_b128 v[4:7], v43
	ds_read_b128 v[8:11], v43 offset:16
	ds_read_b128 v[12:15], v43 offset:32
	;; [unrolled: 1-line block ×3, first 2 shown]
	s_waitcnt lgkmcnt(3)
	v_add_f64 v[0:1], v[0:1], v[4:5]
	v_add_f64 v[2:3], v[2:3], v[6:7]
	s_waitcnt lgkmcnt(2)
	v_add_f64 v[0:1], v[0:1], v[8:9]
	v_add_f64 v[4:5], v[2:3], v[10:11]
	s_waitcnt lgkmcnt(1)
	v_add_f64 v[6:7], v[0:1], v[12:13]
	ds_read_b128 v[0:3], v43 offset:64
	v_add_f64 v[4:5], v[4:5], v[14:15]
	s_waitcnt lgkmcnt(1)
	v_add_f64 v[8:9], v[6:7], v[16:17]
	v_add_f64 v[12:13], v[4:5], v[18:19]
	ds_read_b128 v[4:7], v43 offset:80
	s_waitcnt lgkmcnt(1)
	v_add_f64 v[14:15], v[8:9], v[0:1]
	ds_read_b128 v[8:11], v43 offset:96
	v_add_f64 v[12:13], v[12:13], v[2:3]
	ds_read_b128 v[0:3], v43 offset:112
	s_waitcnt lgkmcnt(2)
	v_add_f64 v[4:5], v[14:15], v[4:5]
	v_add_f64 v[6:7], v[12:13], v[6:7]
	s_waitcnt lgkmcnt(1)
	v_add_f64 v[4:5], v[4:5], v[8:9]
	v_add_f64 v[6:7], v[6:7], v[10:11]
	s_waitcnt lgkmcnt(0)
	v_add_f64 v[0:1], v[4:5], v[0:1]
	v_add_f64 v[2:3], v[6:7], v[2:3]
.LBB122_94:
	s_or_b64 exec, exec, s[4:5]
	s_mul_hi_u32 s4, s30, s3
	s_mul_i32 s31, s31, s3
	s_add_i32 s4, s4, s31
	s_mul_i32 s3, s30, s3
	s_mul_i32 s4, s4, s28
	s_mul_hi_u32 s5, s3, s28
	s_add_i32 s5, s5, s4
	s_mul_i32 s4, s3, s28
	s_lshl_b64 s[4:5], s[4:5], 4
	s_add_u32 s3, s34, s4
	s_addc_u32 s6, s35, s5
	s_mul_hi_i32 s5, s30, s2
	s_mul_i32 s4, s30, s2
	s_lshl_b64 s[4:5], s[4:5], 4
	s_add_u32 s8, s3, s4
	s_addc_u32 s9, s6, s5
	s_add_i32 s3, s2, 1
	s_cmp_ge_u32 s3, s28
	v_lshlrev_b32_e32 v168, 4, v204
	s_barrier
	s_cbranch_scc1 .LBB122_152
; %bb.95:
	s_mul_i32 s3, s22, s25
	s_mul_hi_u32 s4, s22, s24
	s_add_i32 s3, s4, s3
	s_mul_i32 s4, s23, s24
	s_add_i32 s5, s3, s4
	s_mul_i32 s4, s22, s24
	s_lshl_b64 s[4:5], s[4:5], 4
	v_mov_b32_e32 v4, s5
	v_subrev_co_u32_e32 v170, vcc, s4, v36
	v_and_b32_e32 v6, 48, v204
	s_nop 0
	v_subb_co_u32_e32 v171, vcc, v37, v4, vcc
	v_and_b32_e32 v4, 15, v204
	v_lshlrev_b32_e32 v7, 4, v6
	s_movk_i32 s4, 0x430
	v_lshrrev_b32_e32 v5, 4, v42
	v_mad_u32_u24 v209, v4, s4, v7
	v_or_b32_e32 v7, 0xf0, v168
	v_mad_u32_u24 v210, v4, s4, v7
	v_lshlrev_b32_e32 v7, 6, v5
	v_lshlrev_b32_e32 v12, 6, v205
	v_mad_u32_u24 v211, v4, s4, v7
	s_movk_i32 s4, 0x10c0
	v_mul_i32_i24_e32 v13, 0xffffffd0, v5
	v_add_u32_e32 v5, 0x200, v12
	v_mad_u32_u24 v216, v205, s4, v168
	v_or_b32_e32 v229, v6, v4
	v_mad_u64_u32 v[6:7], s[4:5], s16, v5, 0
	v_mov_b32_e32 v8, v7
	v_mad_u64_u32 v[8:9], s[4:5], s17, v5, v[8:9]
	v_mov_b32_e32 v5, v8
	v_lshlrev_b64 v[8:9], 4, v[38:39]
	v_sub_co_u32_e32 v6, vcc, v6, v8
	v_lshlrev_b32_e32 v206, 2, v205
	s_nop 0
	v_subb_co_u32_e32 v7, vcc, v5, v9, vcc
	v_lshl_add_u64 v[6:7], v[40:41], 0, v[6:7]
	v_add_u32_e32 v5, 0x530, v12
	v_lshl_add_u64 v[172:173], v[6:7], 0, 8
	v_mad_u64_u32 v[6:7], s[4:5], s16, v5, 0
	v_mov_b32_e32 v10, v7
	v_mad_u64_u32 v[10:11], s[4:5], s17, v5, v[10:11]
	v_mov_b32_e32 v5, v10
	v_sub_co_u32_e32 v6, vcc, v6, v8
	v_mov_b32_e32 v4, 0
	s_nop 0
	v_subb_co_u32_e32 v7, vcc, v5, v9, vcc
	v_add_u32_e32 v5, 0x220, v12
	v_lshl_add_u64 v[174:175], v[40:41], 0, v[6:7]
	v_mad_u64_u32 v[6:7], s[4:5], s16, v5, 0
	v_mov_b32_e32 v10, v7
	v_mad_u64_u32 v[10:11], s[4:5], s17, v5, v[10:11]
	v_mov_b32_e32 v5, v10
	v_sub_co_u32_e32 v6, vcc, v6, v8
	s_add_i32 s3, s28, -2
	s_nop 0
	v_subb_co_u32_e32 v7, vcc, v5, v9, vcc
	v_add_u32_e32 v5, 0x520, v12
	v_lshl_add_u64 v[176:177], v[40:41], 0, v[6:7]
	v_mad_u64_u32 v[6:7], s[4:5], s16, v5, 0
	v_mov_b32_e32 v10, v7
	v_mad_u64_u32 v[10:11], s[4:5], s17, v5, v[10:11]
	v_mov_b32_e32 v5, v10
	v_sub_co_u32_e32 v6, vcc, v6, v8
	v_add_u32_e32 v207, 0x4300, v168
	s_nop 0
	v_subb_co_u32_e32 v7, vcc, v5, v9, vcc
	v_add_u32_e32 v5, 0x210, v12
	v_lshl_add_u64 v[178:179], v[40:41], 0, v[6:7]
	v_mad_u64_u32 v[6:7], s[4:5], s16, v5, 0
	v_mov_b32_e32 v10, v7
	v_mad_u64_u32 v[10:11], s[4:5], s17, v5, v[10:11]
	v_mov_b32_e32 v5, v10
	v_sub_co_u32_e32 v6, vcc, v6, v8
	v_add_u32_e32 v208, 0x4700, v168
	s_nop 0
	v_subb_co_u32_e32 v7, vcc, v5, v9, vcc
	v_lshl_add_u64 v[6:7], v[40:41], 0, v[6:7]
	v_add_u32_e32 v5, 0x510, v12
	v_lshl_add_u64 v[180:181], v[6:7], 0, 8
	v_mad_u64_u32 v[6:7], s[4:5], s16, v5, 0
	v_mov_b32_e32 v10, v7
	v_mad_u64_u32 v[10:11], s[4:5], s17, v5, v[10:11]
	v_mov_b32_e32 v5, v10
	v_sub_co_u32_e32 v6, vcc, v6, v8
	v_cmp_gt_u32_e64 s[6:7], 64, v42
	s_nop 0
	v_subb_co_u32_e32 v7, vcc, v5, v9, vcc
	v_add_u32_e32 v5, 0x230, v12
	v_lshl_add_u64 v[182:183], v[40:41], 0, v[6:7]
	v_mad_u64_u32 v[6:7], s[4:5], s16, v5, 0
	v_mov_b32_e32 v10, v7
	v_mad_u64_u32 v[10:11], s[4:5], s17, v5, v[10:11]
	v_mov_b32_e32 v5, v10
	v_sub_co_u32_e32 v6, vcc, v6, v8
	v_or_b32_e32 v212, 1, v206
	s_nop 0
	v_subb_co_u32_e32 v7, vcc, v5, v9, vcc
	v_lshl_add_u64 v[6:7], v[40:41], 0, v[6:7]
	v_add_u32_e32 v5, 0x500, v12
	v_lshl_add_u64 v[184:185], v[6:7], 0, 8
	v_mad_u64_u32 v[6:7], s[4:5], s16, v5, 0
	v_mov_b32_e32 v10, v7
	v_mad_u64_u32 v[10:11], s[4:5], s17, v5, v[10:11]
	v_mov_b32_e32 v5, v10
	v_sub_co_u32_e32 v6, vcc, v6, v8
	v_or_b32_e32 v213, 2, v206
	s_nop 0
	v_subb_co_u32_e32 v7, vcc, v5, v9, vcc
	v_add_u32_e32 v5, 0x300, v12
	v_lshl_add_u64 v[186:187], v[40:41], 0, v[6:7]
	v_mad_u64_u32 v[6:7], s[4:5], s16, v5, 0
	v_mov_b32_e32 v10, v7
	v_mad_u64_u32 v[10:11], s[4:5], s17, v5, v[10:11]
	v_mov_b32_e32 v5, v10
	v_sub_co_u32_e32 v6, vcc, v6, v8
	v_or_b32_e32 v214, 3, v206
	s_nop 0
	v_subb_co_u32_e32 v7, vcc, v5, v9, vcc
	v_lshl_add_u64 v[6:7], v[40:41], 0, v[6:7]
	v_add_u32_e32 v5, 0x430, v12
	v_lshl_add_u64 v[188:189], v[6:7], 0, 8
	v_mad_u64_u32 v[6:7], s[4:5], s16, v5, 0
	v_mov_b32_e32 v10, v7
	v_mad_u64_u32 v[10:11], s[4:5], s17, v5, v[10:11]
	v_mov_b32_e32 v5, v10
	v_sub_co_u32_e32 v6, vcc, v6, v8
	v_add_u32_e32 v215, 0x4300, v12
	s_nop 0
	v_subb_co_u32_e32 v7, vcc, v5, v9, vcc
	v_add_u32_e32 v5, 0x310, v12
	v_lshl_add_u64 v[190:191], v[40:41], 0, v[6:7]
	v_mad_u64_u32 v[6:7], s[4:5], s16, v5, 0
	v_mov_b32_e32 v10, v7
	v_mad_u64_u32 v[10:11], s[4:5], s17, v5, v[10:11]
	v_mov_b32_e32 v5, v10
	v_sub_co_u32_e32 v6, vcc, v6, v8
	v_add_u32_e32 v217, 16, v206
	s_nop 0
	v_subb_co_u32_e32 v7, vcc, v5, v9, vcc
	v_lshl_add_u64 v[6:7], v[40:41], 0, v[6:7]
	v_add_u32_e32 v5, 0x420, v12
	v_lshl_add_u64 v[192:193], v[6:7], 0, 8
	v_mad_u64_u32 v[6:7], s[4:5], s16, v5, 0
	v_mov_b32_e32 v10, v7
	v_mad_u64_u32 v[10:11], s[4:5], s17, v5, v[10:11]
	v_mov_b32_e32 v5, v10
	v_sub_co_u32_e32 v6, vcc, v6, v8
	v_add_u32_e32 v218, 17, v206
	s_nop 0
	v_subb_co_u32_e32 v7, vcc, v5, v9, vcc
	v_add_u32_e32 v5, 0x320, v12
	v_lshl_add_u64 v[194:195], v[40:41], 0, v[6:7]
	v_mad_u64_u32 v[6:7], s[4:5], s16, v5, 0
	v_mov_b32_e32 v10, v7
	v_mad_u64_u32 v[10:11], s[4:5], s17, v5, v[10:11]
	v_mov_b32_e32 v5, v10
	v_sub_co_u32_e32 v6, vcc, v6, v8
	v_add_u32_e32 v219, 18, v206
	;; [unrolled: 21-line block ×3, first 2 shown]
	s_nop 0
	v_subb_co_u32_e32 v7, vcc, v5, v9, vcc
	v_lshl_add_u64 v[6:7], v[40:41], 0, v[6:7]
	v_add_u32_e32 v5, 0x400, v12
	v_lshl_add_u64 v[200:201], v[6:7], 0, 8
	v_mad_u64_u32 v[6:7], s[4:5], s16, v5, 0
	v_mov_b32_e32 v10, v7
	v_mad_u64_u32 v[10:11], s[4:5], s17, v5, v[10:11]
	v_mov_b32_e32 v5, v10
	v_sub_co_u32_e32 v6, vcc, v6, v8
	v_add_u32_e32 v222, 33, v206
	s_nop 0
	v_subb_co_u32_e32 v7, vcc, v5, v9, vcc
	v_lshl_add_u64 v[6:7], v[40:41], 0, v[6:7]
	v_add_u32_e32 v223, 34, v206
	v_add_u32_e32 v224, 35, v206
	;; [unrolled: 1-line block ×6, first 2 shown]
	s_add_i32 s21, s22, 64
	v_mov_b32_e32 v169, v4
	s_lshl_b64 s[10:11], s[16:17], 10
	v_lshl_add_u64 v[202:203], v[6:7], 0, 8
	v_add_u32_e32 v230, v211, v13
	s_cmp_eq_u32 s3, s2
	s_cselect_b32 s26, s29, 0
	s_and_saveexec_b64 s[4:5], s[0:1]
	s_cbranch_execz .LBB122_100
.LBB122_96:
	s_cmp_lg_u32 s26, 0
	s_cselect_b64 s[12:13], -1, 0
	v_cmp_le_i32_e32 vcc, s26, v204
	s_and_b64 s[12:13], s[12:13], vcc
	s_and_saveexec_b64 s[14:15], s[12:13]
	s_xor_b64 s[12:13], exec, s[14:15]
	s_cbranch_execz .LBB122_98
; %bb.97:
	v_mov_b32_e32 v5, v4
	v_mov_b32_e32 v6, v4
	;; [unrolled: 1-line block ×3, first 2 shown]
	ds_write_b128 v207, v[4:7]
.LBB122_98:
	s_andn2_saveexec_b64 s[12:13], s[12:13]
	s_cbranch_execz .LBB122_100
; %bb.99:
	s_ashr_i32 s12, s21, 31
	s_mul_i32 s13, s21, s25
	s_mul_hi_u32 s14, s21, s24
	s_add_i32 s13, s14, s13
	s_mul_i32 s12, s12, s24
	s_add_i32 s13, s13, s12
	s_mul_i32 s12, s21, s24
	v_lshl_add_u64 v[6:7], s[12:13], 4, v[170:171]
	global_load_dwordx4 v[6:9], v[6:7], off
	s_waitcnt vmcnt(0)
	ds_write2_b64 v207, v[6:7], v[8:9] offset1:1
.LBB122_100:                            ; =>This Inner Loop Header: Depth=1
	s_or_b64 exec, exec, s[4:5]
	s_cmp_eq_u32 s26, 0
	s_cselect_b64 s[12:13], -1, 0
	s_cmp_lg_u32 s26, 0
	s_cselect_b64 s[14:15], -1, 0
	v_lshl_add_u64 v[18:19], v[172:173], 0, v[168:169]
	s_and_b64 vcc, exec, s[14:15]
	s_waitcnt lgkmcnt(0)
	s_barrier
	s_cbranch_vccz .LBB122_108
; %bb.101:                              ;   in Loop: Header=BB122_100 Depth=1
	v_mov_b64_e32 v[10:11], 0
	v_cmp_gt_i32_e32 vcc, s26, v206
	v_mov_b64_e32 v[6:7], v[10:11]
	v_mov_b64_e32 v[8:9], v[10:11]
	s_and_saveexec_b64 s[4:5], vcc
	s_cbranch_execz .LBB122_103
; %bb.102:                              ;   in Loop: Header=BB122_100 Depth=1
	global_load_dwordx4 v[6:9], v[18:19], off offset:-8
.LBB122_103:                            ;   in Loop: Header=BB122_100 Depth=1
	s_or_b64 exec, exec, s[4:5]
	v_cmp_gt_i32_e32 vcc, s26, v212
	v_mov_b64_e32 v[12:13], v[10:11]
	s_and_saveexec_b64 s[4:5], vcc
	s_cbranch_execz .LBB122_105
; %bb.104:                              ;   in Loop: Header=BB122_100 Depth=1
	v_lshl_add_u64 v[10:11], v[180:181], 0, v[168:169]
	global_load_dwordx4 v[10:13], v[10:11], off offset:-8
.LBB122_105:                            ;   in Loop: Header=BB122_100 Depth=1
	s_or_b64 exec, exec, s[4:5]
	v_mov_b64_e32 v[14:15], 0
	v_cmp_gt_i32_e32 vcc, s26, v213
	s_mov_b64 s[22:23], 0
	v_mov_b64_e32 v[16:17], v[14:15]
	s_and_saveexec_b64 s[4:5], vcc
	s_cbranch_execz .LBB122_107
; %bb.106:                              ;   in Loop: Header=BB122_100 Depth=1
	v_lshl_add_u64 v[14:15], v[176:177], 0, v[168:169]
	global_load_dwordx4 v[14:17], v[14:15], off
.LBB122_107:                            ;   in Loop: Header=BB122_100 Depth=1
	s_or_b64 exec, exec, s[4:5]
	v_cmp_gt_i32_e64 s[4:5], s26, v214
	s_mov_b64 s[16:17], 0
	s_and_b64 vcc, exec, s[22:23]
	s_cbranch_vccnz .LBB122_109
	s_branch .LBB122_110
.LBB122_108:                            ;   in Loop: Header=BB122_100 Depth=1
	s_mov_b64 s[4:5], 0
                                        ; implicit-def: $sgpr16_sgpr17
                                        ; implicit-def: $vgpr16_vgpr17
                                        ; implicit-def: $vgpr12_vgpr13
                                        ; implicit-def: $vgpr8_vgpr9
	s_cbranch_execz .LBB122_110
.LBB122_109:                            ;   in Loop: Header=BB122_100 Depth=1
	s_waitcnt vmcnt(0)
	v_lshl_add_u64 v[10:11], v[180:181], 0, v[168:169]
	v_lshl_add_u64 v[14:15], v[176:177], 0, v[168:169]
	global_load_dwordx4 v[6:9], v[18:19], off offset:-8
	s_or_b64 s[4:5], s[4:5], exec
	global_load_dwordx4 v[10:13], v[10:11], off offset:-8
                                        ; implicit-def: $sgpr16_sgpr17
	s_nop 0
	global_load_dwordx4 v[14:17], v[14:15], off
.LBB122_110:                            ;   in Loop: Header=BB122_100 Depth=1
	v_mov_b64_e32 v[18:19], s[16:17]
	v_mov_b64_e32 v[20:21], s[16:17]
	s_and_saveexec_b64 s[16:17], s[4:5]
	s_cbranch_execz .LBB122_112
; %bb.111:                              ;   in Loop: Header=BB122_100 Depth=1
	v_lshl_add_u64 v[18:19], v[184:185], 0, v[168:169]
	global_load_dwordx4 v[18:21], v[18:19], off offset:-8
.LBB122_112:                            ;   in Loop: Header=BB122_100 Depth=1
	s_or_b64 exec, exec, s[16:17]
	ds_read_b128 v[34:37], v208
	ds_read_b128 v[22:25], v215
	v_cndmask_b32_e64 v5, 0, 1, s[14:15]
	v_cmp_ne_u32_e64 s[4:5], 1, v5
	s_andn2_b64 vcc, exec, s[14:15]
	s_waitcnt vmcnt(0) lgkmcnt(1)
	v_mul_f64 v[26:27], v[8:9], v[36:37]
	v_mul_f64 v[28:29], v[6:7], v[36:37]
	;; [unrolled: 1-line block ×3, first 2 shown]
	v_fma_f64 v[26:27], v[6:7], v[34:35], -v[26:27]
	v_fmac_f64_e32 v[28:29], v[8:9], v[34:35]
	v_mul_f64 v[32:33], v[10:11], v[36:37]
	ds_write_b128 v216, v[26:29]
	v_fma_f64 v[30:31], v[10:11], v[34:35], -v[30:31]
	v_fmac_f64_e32 v[32:33], v[12:13], v[34:35]
	v_mul_f64 v[38:39], v[16:17], v[36:37]
	v_mul_f64 v[40:41], v[14:15], v[36:37]
	ds_read_b128 v[26:29], v215 offset:16
	ds_write_b128 v216, v[30:33] offset:1072
	v_fma_f64 v[38:39], v[14:15], v[34:35], -v[38:39]
	v_fmac_f64_e32 v[40:41], v[16:17], v[34:35]
	v_mul_f64 v[42:43], v[20:21], v[36:37]
	v_mul_f64 v[44:45], v[18:19], v[36:37]
	ds_read_b128 v[30:33], v215 offset:32
	ds_write_b128 v216, v[38:41] offset:2144
	v_fma_f64 v[42:43], v[18:19], v[34:35], -v[42:43]
	v_fmac_f64_e32 v[44:45], v[20:21], v[34:35]
	ds_read_b128 v[38:41], v215 offset:48
	ds_write_b128 v216, v[42:45] offset:3216
	s_waitcnt lgkmcnt(0)
	s_barrier
	ds_read_b128 v[98:101], v211
	ds_read_b128 v[94:97], v211 offset:16
	ds_read_b128 v[86:89], v211 offset:32
	;; [unrolled: 1-line block ×3, first 2 shown]
	v_lshl_add_u64 v[50:51], v[188:189], 0, v[168:169]
	s_waitcnt lgkmcnt(0)
	s_barrier
	s_cbranch_vccnz .LBB122_120
; %bb.113:                              ;   in Loop: Header=BB122_100 Depth=1
	v_mov_b64_e32 v[42:43], 0
	v_cmp_gt_i32_e32 vcc, s26, v217
	v_mov_b64_e32 v[34:35], v[42:43]
	v_mov_b64_e32 v[36:37], v[42:43]
	s_and_saveexec_b64 s[14:15], vcc
	s_cbranch_execz .LBB122_115
; %bb.114:                              ;   in Loop: Header=BB122_100 Depth=1
	global_load_dwordx4 v[34:37], v[50:51], off offset:-8
.LBB122_115:                            ;   in Loop: Header=BB122_100 Depth=1
	s_or_b64 exec, exec, s[14:15]
	v_cmp_gt_i32_e32 vcc, s26, v218
	v_mov_b64_e32 v[44:45], v[42:43]
	s_and_saveexec_b64 s[14:15], vcc
	s_cbranch_execz .LBB122_117
; %bb.116:                              ;   in Loop: Header=BB122_100 Depth=1
	v_lshl_add_u64 v[42:43], v[192:193], 0, v[168:169]
	global_load_dwordx4 v[42:45], v[42:43], off offset:-8
.LBB122_117:                            ;   in Loop: Header=BB122_100 Depth=1
	s_or_b64 exec, exec, s[14:15]
	v_mov_b64_e32 v[46:47], 0
	v_cmp_gt_i32_e32 vcc, s26, v219
	s_mov_b64 s[22:23], 0
	v_mov_b64_e32 v[48:49], v[46:47]
	s_and_saveexec_b64 s[14:15], vcc
	s_cbranch_execz .LBB122_119
; %bb.118:                              ;   in Loop: Header=BB122_100 Depth=1
	v_lshl_add_u64 v[46:47], v[196:197], 0, v[168:169]
	global_load_dwordx4 v[46:49], v[46:47], off offset:-8
.LBB122_119:                            ;   in Loop: Header=BB122_100 Depth=1
	s_or_b64 exec, exec, s[14:15]
	v_cmp_gt_i32_e64 s[14:15], s26, v220
	s_mov_b64 s[16:17], 0
	s_and_b64 vcc, exec, s[22:23]
	s_cbranch_vccnz .LBB122_121
	s_branch .LBB122_122
.LBB122_120:                            ;   in Loop: Header=BB122_100 Depth=1
	s_mov_b64 s[14:15], 0
                                        ; implicit-def: $sgpr16_sgpr17
                                        ; implicit-def: $vgpr48_vgpr49
                                        ; implicit-def: $vgpr44_vgpr45
                                        ; implicit-def: $vgpr36_vgpr37
	s_cbranch_execz .LBB122_122
.LBB122_121:                            ;   in Loop: Header=BB122_100 Depth=1
	s_waitcnt vmcnt(0)
	v_lshl_add_u64 v[42:43], v[192:193], 0, v[168:169]
	v_lshl_add_u64 v[46:47], v[196:197], 0, v[168:169]
	global_load_dwordx4 v[34:37], v[50:51], off offset:-8
	s_or_b64 s[14:15], s[14:15], exec
	global_load_dwordx4 v[42:45], v[42:43], off offset:-8
                                        ; implicit-def: $sgpr16_sgpr17
	s_nop 0
	global_load_dwordx4 v[46:49], v[46:47], off offset:-8
.LBB122_122:                            ;   in Loop: Header=BB122_100 Depth=1
	v_mov_b64_e32 v[50:51], s[16:17]
	v_mov_b64_e32 v[52:53], s[16:17]
	s_and_saveexec_b64 s[16:17], s[14:15]
	s_cbranch_execz .LBB122_124
; %bb.123:                              ;   in Loop: Header=BB122_100 Depth=1
	v_lshl_add_u64 v[50:51], v[200:201], 0, v[168:169]
	global_load_dwordx4 v[50:53], v[50:51], off offset:-8
.LBB122_124:                            ;   in Loop: Header=BB122_100 Depth=1
	s_or_b64 exec, exec, s[16:17]
	ds_read_b128 v[66:69], v208
	ds_read_b128 v[54:57], v215 offset:256
	s_and_b64 vcc, exec, s[4:5]
	v_lshl_add_u64 v[90:91], v[202:203], 0, v[168:169]
	s_waitcnt vmcnt(0) lgkmcnt(1)
	v_mul_f64 v[58:59], v[36:37], v[68:69]
	v_mul_f64 v[60:61], v[34:35], v[68:69]
	;; [unrolled: 1-line block ×3, first 2 shown]
	v_fma_f64 v[58:59], v[34:35], v[66:67], -v[58:59]
	v_fmac_f64_e32 v[60:61], v[36:37], v[66:67]
	v_mul_f64 v[64:65], v[42:43], v[68:69]
	ds_write_b128 v216, v[58:61]
	v_fma_f64 v[62:63], v[42:43], v[66:67], -v[62:63]
	v_fmac_f64_e32 v[64:65], v[44:45], v[66:67]
	v_mul_f64 v[70:71], v[48:49], v[68:69]
	v_mul_f64 v[72:73], v[46:47], v[68:69]
	ds_read_b128 v[58:61], v215 offset:272
	ds_write_b128 v216, v[62:65] offset:1072
	v_fma_f64 v[70:71], v[46:47], v[66:67], -v[70:71]
	v_fmac_f64_e32 v[72:73], v[48:49], v[66:67]
	ds_read_b128 v[62:65], v215 offset:288
	ds_write_b128 v216, v[70:73] offset:2144
	v_mul_f64 v[70:71], v[52:53], v[68:69]
	v_mul_f64 v[72:73], v[50:51], v[68:69]
	v_fma_f64 v[70:71], v[50:51], v[66:67], -v[70:71]
	v_fmac_f64_e32 v[72:73], v[52:53], v[66:67]
	ds_read_b128 v[74:77], v215 offset:304
	ds_write_b128 v216, v[70:73] offset:3216
	s_waitcnt lgkmcnt(0)
	s_barrier
	ds_read_b128 v[146:149], v211
	ds_read_b128 v[142:145], v211 offset:16
	ds_read_b128 v[138:141], v211 offset:32
	;; [unrolled: 1-line block ×3, first 2 shown]
	s_waitcnt lgkmcnt(0)
	s_barrier
	s_cbranch_vccnz .LBB122_132
; %bb.125:                              ;   in Loop: Header=BB122_100 Depth=1
	v_mov_b64_e32 v[70:71], 0
	v_cmp_gt_i32_e32 vcc, s26, v221
	v_mov_b64_e32 v[66:67], v[70:71]
	v_mov_b64_e32 v[68:69], v[70:71]
	s_and_saveexec_b64 s[14:15], vcc
	s_cbranch_execz .LBB122_127
; %bb.126:                              ;   in Loop: Header=BB122_100 Depth=1
	global_load_dwordx4 v[66:69], v[90:91], off offset:-8
.LBB122_127:                            ;   in Loop: Header=BB122_100 Depth=1
	s_or_b64 exec, exec, s[14:15]
	v_cmp_gt_i32_e32 vcc, s26, v222
	v_mov_b64_e32 v[72:73], v[70:71]
	s_and_saveexec_b64 s[14:15], vcc
	s_cbranch_execz .LBB122_129
; %bb.128:                              ;   in Loop: Header=BB122_100 Depth=1
	v_lshl_add_u64 v[70:71], v[198:199], 0, v[168:169]
	global_load_dwordx4 v[70:73], v[70:71], off
.LBB122_129:                            ;   in Loop: Header=BB122_100 Depth=1
	s_or_b64 exec, exec, s[14:15]
	v_mov_b64_e32 v[78:79], 0
	v_cmp_gt_i32_e32 vcc, s26, v223
	s_mov_b64 s[22:23], 0
	v_mov_b64_e32 v[80:81], v[78:79]
	s_and_saveexec_b64 s[14:15], vcc
	s_cbranch_execz .LBB122_131
; %bb.130:                              ;   in Loop: Header=BB122_100 Depth=1
	v_lshl_add_u64 v[78:79], v[194:195], 0, v[168:169]
	global_load_dwordx4 v[78:81], v[78:79], off
.LBB122_131:                            ;   in Loop: Header=BB122_100 Depth=1
	s_or_b64 exec, exec, s[14:15]
	v_cmp_gt_i32_e64 s[14:15], s26, v224
	s_mov_b64 s[16:17], 0
	s_and_b64 vcc, exec, s[22:23]
	s_cbranch_vccnz .LBB122_133
	s_branch .LBB122_134
.LBB122_132:                            ;   in Loop: Header=BB122_100 Depth=1
	s_mov_b64 s[14:15], 0
                                        ; implicit-def: $sgpr16_sgpr17
                                        ; implicit-def: $vgpr80_vgpr81
                                        ; implicit-def: $vgpr72_vgpr73
                                        ; implicit-def: $vgpr68_vgpr69
	s_cbranch_execz .LBB122_134
.LBB122_133:                            ;   in Loop: Header=BB122_100 Depth=1
	s_waitcnt vmcnt(0)
	v_lshl_add_u64 v[70:71], v[198:199], 0, v[168:169]
	v_lshl_add_u64 v[78:79], v[194:195], 0, v[168:169]
	global_load_dwordx4 v[66:69], v[90:91], off offset:-8
	s_or_b64 s[14:15], s[14:15], exec
	global_load_dwordx4 v[70:73], v[70:71], off
                                        ; implicit-def: $sgpr16_sgpr17
	s_nop 0
	global_load_dwordx4 v[78:81], v[78:79], off
.LBB122_134:                            ;   in Loop: Header=BB122_100 Depth=1
	v_mov_b64_e32 v[90:91], s[16:17]
	v_mov_b64_e32 v[92:93], s[16:17]
	s_and_saveexec_b64 s[16:17], s[14:15]
	s_cbranch_execz .LBB122_136
; %bb.135:                              ;   in Loop: Header=BB122_100 Depth=1
	v_lshl_add_u64 v[90:91], v[190:191], 0, v[168:169]
	global_load_dwordx4 v[90:93], v[90:91], off
.LBB122_136:                            ;   in Loop: Header=BB122_100 Depth=1
	s_or_b64 exec, exec, s[16:17]
	ds_read_b128 v[114:117], v208
	ds_read_b128 v[102:105], v215 offset:512
	s_and_b64 vcc, exec, s[4:5]
	v_lshl_add_u64 v[130:131], v[186:187], 0, v[168:169]
	s_waitcnt vmcnt(0) lgkmcnt(1)
	v_mul_f64 v[106:107], v[68:69], v[116:117]
	v_mul_f64 v[108:109], v[66:67], v[116:117]
	;; [unrolled: 1-line block ×3, first 2 shown]
	v_fma_f64 v[106:107], v[66:67], v[114:115], -v[106:107]
	v_fmac_f64_e32 v[108:109], v[68:69], v[114:115]
	v_mul_f64 v[112:113], v[70:71], v[116:117]
	ds_write_b128 v216, v[106:109]
	v_fma_f64 v[110:111], v[70:71], v[114:115], -v[110:111]
	v_fmac_f64_e32 v[112:113], v[72:73], v[114:115]
	v_mul_f64 v[118:119], v[80:81], v[116:117]
	v_mul_f64 v[120:121], v[78:79], v[116:117]
	ds_read_b128 v[106:109], v215 offset:528
	ds_write_b128 v216, v[110:113] offset:1072
	v_fma_f64 v[118:119], v[78:79], v[114:115], -v[118:119]
	v_fmac_f64_e32 v[120:121], v[80:81], v[114:115]
	v_mul_f64 v[122:123], v[92:93], v[116:117]
	v_mul_f64 v[124:125], v[90:91], v[116:117]
	ds_read_b128 v[110:113], v215 offset:544
	ds_write_b128 v216, v[118:121] offset:2144
	v_fma_f64 v[122:123], v[90:91], v[114:115], -v[122:123]
	v_fmac_f64_e32 v[124:125], v[92:93], v[114:115]
	ds_read_b128 v[118:121], v215 offset:560
	ds_write_b128 v216, v[122:125] offset:3216
	s_waitcnt lgkmcnt(0)
	s_barrier
	ds_read_b128 v[162:165], v211
	ds_read_b128 v[158:161], v211 offset:16
	ds_read_b128 v[154:157], v211 offset:32
	;; [unrolled: 1-line block ×3, first 2 shown]
	s_waitcnt lgkmcnt(0)
	s_barrier
	s_cbranch_vccnz .LBB122_144
; %bb.137:                              ;   in Loop: Header=BB122_100 Depth=1
	v_mov_b64_e32 v[122:123], 0
	v_cmp_gt_i32_e32 vcc, s26, v225
	v_mov_b64_e32 v[114:115], v[122:123]
	v_mov_b64_e32 v[116:117], v[122:123]
	s_and_saveexec_b64 s[4:5], vcc
	s_cbranch_execz .LBB122_139
; %bb.138:                              ;   in Loop: Header=BB122_100 Depth=1
	global_load_dwordx4 v[114:117], v[130:131], off
.LBB122_139:                            ;   in Loop: Header=BB122_100 Depth=1
	s_or_b64 exec, exec, s[4:5]
	v_cmp_gt_i32_e32 vcc, s26, v226
	v_mov_b64_e32 v[124:125], v[122:123]
	s_and_saveexec_b64 s[4:5], vcc
	s_cbranch_execz .LBB122_141
; %bb.140:                              ;   in Loop: Header=BB122_100 Depth=1
	v_lshl_add_u64 v[122:123], v[182:183], 0, v[168:169]
	global_load_dwordx4 v[122:125], v[122:123], off
.LBB122_141:                            ;   in Loop: Header=BB122_100 Depth=1
	s_or_b64 exec, exec, s[4:5]
	v_mov_b64_e32 v[126:127], 0
	v_cmp_gt_i32_e32 vcc, s26, v227
	s_mov_b64 s[16:17], 0
	v_mov_b64_e32 v[128:129], v[126:127]
	s_and_saveexec_b64 s[4:5], vcc
	s_cbranch_execz .LBB122_143
; %bb.142:                              ;   in Loop: Header=BB122_100 Depth=1
	v_lshl_add_u64 v[126:127], v[178:179], 0, v[168:169]
	global_load_dwordx4 v[126:129], v[126:127], off
.LBB122_143:                            ;   in Loop: Header=BB122_100 Depth=1
	s_or_b64 exec, exec, s[4:5]
	v_cmp_gt_i32_e64 s[4:5], s26, v228
	s_mov_b64 s[14:15], 0
	s_and_b64 vcc, exec, s[16:17]
	s_cbranch_vccnz .LBB122_145
	s_branch .LBB122_146
.LBB122_144:                            ;   in Loop: Header=BB122_100 Depth=1
	s_mov_b64 s[4:5], 0
                                        ; implicit-def: $sgpr14_sgpr15
                                        ; implicit-def: $vgpr128_vgpr129
                                        ; implicit-def: $vgpr124_vgpr125
                                        ; implicit-def: $vgpr116_vgpr117
	s_cbranch_execz .LBB122_146
.LBB122_145:                            ;   in Loop: Header=BB122_100 Depth=1
	s_waitcnt vmcnt(0)
	v_lshl_add_u64 v[122:123], v[182:183], 0, v[168:169]
	v_lshl_add_u64 v[126:127], v[178:179], 0, v[168:169]
	global_load_dwordx4 v[114:117], v[130:131], off
	s_or_b64 s[4:5], s[4:5], exec
	global_load_dwordx4 v[122:125], v[122:123], off
                                        ; implicit-def: $sgpr14_sgpr15
	s_nop 0
	global_load_dwordx4 v[126:129], v[126:127], off
.LBB122_146:                            ;   in Loop: Header=BB122_100 Depth=1
	v_mov_b64_e32 v[130:131], s[14:15]
	v_mov_b64_e32 v[132:133], s[14:15]
	s_and_saveexec_b64 s[14:15], s[4:5]
	s_cbranch_execz .LBB122_148
; %bb.147:                              ;   in Loop: Header=BB122_100 Depth=1
	v_lshl_add_u64 v[130:131], v[174:175], 0, v[168:169]
	global_load_dwordx4 v[130:133], v[130:131], off
.LBB122_148:                            ;   in Loop: Header=BB122_100 Depth=1
	s_or_b64 exec, exec, s[14:15]
	v_add_f64 v[146:147], v[146:147], 0
	v_add_f64 v[148:149], v[148:149], 0
	;; [unrolled: 1-line block ×6, first 2 shown]
	ds_read_b128 v[142:145], v208
	v_add_f64 v[162:163], v[162:163], 0
	v_add_f64 v[98:99], v[98:99], 0
	;; [unrolled: 1-line block ×11, first 2 shown]
	ds_read_b128 v[86:89], v215 offset:768
	s_waitcnt vmcnt(0) lgkmcnt(1)
	v_mul_f64 v[94:95], v[116:117], v[144:145]
	v_mul_f64 v[96:97], v[114:115], v[144:145]
	v_fma_f64 v[94:95], v[114:115], v[142:143], -v[94:95]
	v_fmac_f64_e32 v[96:97], v[116:117], v[142:143]
	v_mul_f64 v[98:99], v[124:125], v[144:145]
	v_mul_f64 v[100:101], v[122:123], v[144:145]
	v_add_f64 v[138:139], v[138:139], v[134:135]
	v_add_f64 v[140:141], v[140:141], v[136:137]
	ds_write_b128 v216, v[94:97]
	v_fma_f64 v[98:99], v[122:123], v[142:143], -v[98:99]
	v_fmac_f64_e32 v[100:101], v[124:125], v[142:143]
	v_mul_f64 v[134:135], v[128:129], v[144:145]
	v_mul_f64 v[136:137], v[126:127], v[144:145]
	ds_read_b128 v[94:97], v215 offset:784
	ds_write_b128 v216, v[98:101] offset:1072
	v_fma_f64 v[134:135], v[126:127], v[142:143], -v[134:135]
	v_fmac_f64_e32 v[136:137], v[128:129], v[142:143]
	v_mul_f64 v[146:147], v[132:133], v[144:145]
	v_mul_f64 v[148:149], v[130:131], v[144:145]
	ds_read_b128 v[98:101], v215 offset:800
	ds_write_b128 v216, v[134:137] offset:2144
	v_fma_f64 v[146:147], v[130:131], v[142:143], -v[146:147]
	v_fmac_f64_e32 v[148:149], v[132:133], v[142:143]
	v_add_f64 v[164:165], v[164:165], 0
	ds_read_b128 v[134:137], v215 offset:816
	ds_write_b128 v216, v[146:149] offset:3216
	s_waitcnt lgkmcnt(0)
	s_barrier
	ds_read_b128 v[142:145], v211
	v_add_f64 v[160:161], v[164:165], v[160:161]
	v_add_f64 v[156:157], v[160:161], v[156:157]
	;; [unrolled: 1-line block ×4, first 2 shown]
	ds_read_b128 v[146:149], v211 offset:16
	ds_read_b128 v[154:157], v211 offset:32
	;; [unrolled: 1-line block ×3, first 2 shown]
	s_waitcnt lgkmcnt(3)
	v_add_f64 v[142:143], v[142:143], 0
	v_add_f64 v[144:145], v[144:145], 0
	v_cmp_gt_i32_e32 vcc, s26, v204
	s_waitcnt lgkmcnt(2)
	v_add_f64 v[142:143], v[142:143], v[146:147]
	v_add_f64 v[144:145], v[144:145], v[148:149]
	s_or_b64 s[4:5], s[12:13], vcc
	s_waitcnt lgkmcnt(1)
	v_add_f64 v[142:143], v[142:143], v[154:155]
	v_add_f64 v[144:145], v[144:145], v[156:157]
	s_and_b64 s[12:13], s[6:7], s[4:5]
	s_waitcnt lgkmcnt(0)
	v_add_f64 v[142:143], v[142:143], v[158:159]
	v_add_f64 v[144:145], v[144:145], v[160:161]
	s_barrier
	ds_write_b128 v230, v[82:85]
	ds_write_b128 v230, v[138:141] offset:256
	ds_write_b128 v230, v[150:153] offset:512
	ds_write_b128 v230, v[142:145] offset:768
	s_waitcnt lgkmcnt(0)
	s_barrier
	s_and_saveexec_b64 s[4:5], s[12:13]
	s_cbranch_execz .LBB122_150
; %bb.149:                              ;   in Loop: Header=BB122_100 Depth=1
	ds_read_b128 v[82:85], v209
	ds_read_b128 v[138:141], v209 offset:16
	ds_read_b128 v[142:145], v209 offset:32
	;; [unrolled: 1-line block ×3, first 2 shown]
	s_waitcnt lgkmcnt(2)
	v_add_f64 v[82:83], v[138:139], v[82:83]
	v_add_f64 v[138:139], v[140:141], v[84:85]
	s_waitcnt lgkmcnt(1)
	v_add_f64 v[140:141], v[82:83], v[142:143]
	ds_read_b128 v[82:85], v209 offset:64
	v_add_f64 v[142:143], v[138:139], v[144:145]
	s_waitcnt lgkmcnt(1)
	v_add_f64 v[144:145], v[140:141], v[146:147]
	ds_read_b128 v[138:141], v209 offset:80
	;; [unrolled: 4-line block ×9, first 2 shown]
	v_add_f64 v[84:85], v[146:147], v[84:85]
	s_waitcnt lgkmcnt(1)
	v_add_f64 v[138:139], v[82:83], v[138:139]
	v_add_f64 v[146:147], v[84:85], v[140:141]
	ds_read_b128 v[82:85], v209 offset:208
	s_waitcnt lgkmcnt(1)
	v_add_f64 v[148:149], v[138:139], v[142:143]
	ds_read_b128 v[138:141], v209 offset:224
	v_add_f64 v[146:147], v[146:147], v[144:145]
	ds_read_b128 v[142:145], v210
	s_waitcnt lgkmcnt(2)
	v_add_f64 v[82:83], v[148:149], v[82:83]
	v_add_f64 v[84:85], v[146:147], v[84:85]
	s_waitcnt lgkmcnt(1)
	v_add_f64 v[82:83], v[82:83], v[138:139]
	v_add_u32_e32 v138, s21, v229
	v_add_f64 v[84:85], v[84:85], v[140:141]
	v_ashrrev_i32_e32 v139, 31, v138
	s_waitcnt lgkmcnt(0)
	v_add_f64 v[82:83], v[82:83], v[142:143]
	v_add_f64 v[84:85], v[84:85], v[144:145]
	v_lshl_add_u64 v[138:139], v[138:139], 4, s[8:9]
	global_store_dwordx4 v[138:139], v[82:85], off
.LBB122_150:                            ;   in Loop: Header=BB122_100 Depth=1
	s_or_b64 exec, exec, s[4:5]
	s_nop 0
	v_mul_f64 v[82:83], v[8:9], v[24:25]
	v_fma_f64 v[82:83], v[6:7], v[22:23], -v[82:83]
	v_mul_f64 v[6:7], v[6:7], v[24:25]
	v_mul_f64 v[24:25], v[12:13], v[28:29]
	v_add_f64 v[0:1], v[0:1], v[82:83]
	v_fma_f64 v[24:25], v[10:11], v[26:27], -v[24:25]
	v_add_f64 v[0:1], v[0:1], v[24:25]
	v_mul_f64 v[24:25], v[16:17], v[32:33]
	v_fma_f64 v[24:25], v[14:15], v[30:31], -v[24:25]
	v_add_f64 v[0:1], v[0:1], v[24:25]
	v_mul_f64 v[24:25], v[20:21], v[40:41]
	v_fmac_f64_e32 v[6:7], v[8:9], v[22:23]
	v_fma_f64 v[24:25], v[18:19], v[38:39], -v[24:25]
	v_add_f64 v[2:3], v[2:3], v[6:7]
	v_mul_f64 v[6:7], v[36:37], v[56:57]
	v_add_f64 v[0:1], v[0:1], v[24:25]
	v_fma_f64 v[6:7], v[34:35], v[54:55], -v[6:7]
	v_add_f64 v[0:1], v[0:1], v[6:7]
	v_mul_f64 v[6:7], v[44:45], v[60:61]
	v_fma_f64 v[6:7], v[42:43], v[58:59], -v[6:7]
	v_add_f64 v[0:1], v[0:1], v[6:7]
	v_mul_f64 v[6:7], v[48:49], v[64:65]
	;; [unrolled: 3-line block ×3, first 2 shown]
	v_fma_f64 v[6:7], v[50:51], v[74:75], -v[6:7]
	v_mul_f64 v[10:11], v[10:11], v[28:29]
	v_add_f64 v[0:1], v[0:1], v[6:7]
	v_mul_f64 v[6:7], v[68:69], v[104:105]
	v_mul_f64 v[14:15], v[14:15], v[32:33]
	v_fmac_f64_e32 v[10:11], v[12:13], v[26:27]
	v_fma_f64 v[6:7], v[66:67], v[102:103], -v[6:7]
	v_mul_f64 v[18:19], v[18:19], v[40:41]
	v_add_f64 v[2:3], v[2:3], v[10:11]
	v_fmac_f64_e32 v[14:15], v[16:17], v[30:31]
	v_add_f64 v[0:1], v[0:1], v[6:7]
	v_mul_f64 v[6:7], v[72:73], v[108:109]
	v_add_f64 v[2:3], v[2:3], v[14:15]
	v_fmac_f64_e32 v[18:19], v[20:21], v[38:39]
	v_mul_f64 v[8:9], v[34:35], v[56:57]
	v_fma_f64 v[6:7], v[70:71], v[106:107], -v[6:7]
	v_add_f64 v[2:3], v[2:3], v[18:19]
	v_mul_f64 v[10:11], v[42:43], v[60:61]
	v_fmac_f64_e32 v[8:9], v[36:37], v[54:55]
	v_add_f64 v[0:1], v[0:1], v[6:7]
	v_mul_f64 v[6:7], v[80:81], v[112:113]
	v_mul_f64 v[12:13], v[46:47], v[64:65]
	v_add_f64 v[2:3], v[2:3], v[8:9]
	v_fmac_f64_e32 v[10:11], v[44:45], v[58:59]
	v_fma_f64 v[6:7], v[78:79], v[110:111], -v[6:7]
	v_mul_f64 v[14:15], v[50:51], v[76:77]
	v_add_f64 v[2:3], v[2:3], v[10:11]
	v_fmac_f64_e32 v[12:13], v[48:49], v[62:63]
	v_add_f64 v[0:1], v[0:1], v[6:7]
	v_mul_f64 v[6:7], v[92:93], v[120:121]
	v_add_f64 v[2:3], v[2:3], v[12:13]
	v_fmac_f64_e32 v[14:15], v[52:53], v[74:75]
	v_mul_f64 v[8:9], v[66:67], v[104:105]
	v_fma_f64 v[6:7], v[90:91], v[118:119], -v[6:7]
	v_add_f64 v[2:3], v[2:3], v[14:15]
	v_mul_f64 v[10:11], v[70:71], v[108:109]
	v_add_f64 v[0:1], v[0:1], v[6:7]
	v_fmac_f64_e32 v[8:9], v[68:69], v[102:103]
	v_mul_f64 v[6:7], v[116:117], v[88:89]
	v_mul_f64 v[12:13], v[78:79], v[112:113]
	v_add_f64 v[2:3], v[2:3], v[8:9]
	v_fmac_f64_e32 v[10:11], v[72:73], v[106:107]
	v_fma_f64 v[6:7], v[114:115], v[86:87], -v[6:7]
	v_mul_f64 v[14:15], v[90:91], v[120:121]
	v_add_f64 v[2:3], v[2:3], v[10:11]
	v_fmac_f64_e32 v[12:13], v[80:81], v[110:111]
	v_add_f64 v[0:1], v[0:1], v[6:7]
	v_mul_f64 v[6:7], v[124:125], v[96:97]
	v_add_f64 v[2:3], v[2:3], v[12:13]
	v_fmac_f64_e32 v[14:15], v[92:93], v[118:119]
	v_mul_f64 v[8:9], v[114:115], v[88:89]
	v_fma_f64 v[6:7], v[122:123], v[94:95], -v[6:7]
	v_add_f64 v[2:3], v[2:3], v[14:15]
	v_mul_f64 v[10:11], v[122:123], v[96:97]
	v_add_f64 v[0:1], v[0:1], v[6:7]
	v_mul_f64 v[6:7], v[128:129], v[100:101]
	v_fmac_f64_e32 v[8:9], v[116:117], v[86:87]
	v_fma_f64 v[6:7], v[126:127], v[98:99], -v[6:7]
	v_mul_f64 v[12:13], v[126:127], v[100:101]
	v_fmac_f64_e32 v[10:11], v[124:125], v[94:95]
	v_add_f64 v[2:3], v[2:3], v[8:9]
	v_add_f64 v[0:1], v[0:1], v[6:7]
	v_mul_f64 v[6:7], v[132:133], v[136:137]
	v_mul_f64 v[14:15], v[130:131], v[136:137]
	v_fmac_f64_e32 v[12:13], v[128:129], v[98:99]
	v_add_f64 v[2:3], v[2:3], v[10:11]
	v_fma_f64 v[6:7], v[130:131], v[134:135], -v[6:7]
	v_fmac_f64_e32 v[14:15], v[132:133], v[134:135]
	v_add_f64 v[2:3], v[2:3], v[12:13]
	s_add_i32 s4, s2, 1
	s_add_i32 s21, s21, 64
	;; [unrolled: 1-line block ×3, first 2 shown]
	v_add_f64 v[0:1], v[0:1], v[6:7]
	v_add_f64 v[2:3], v[2:3], v[14:15]
	v_lshl_add_u64 v[172:173], v[172:173], 0, s[10:11]
	v_lshl_add_u64 v[174:175], v[174:175], 0, s[10:11]
	;; [unrolled: 1-line block ×15, first 2 shown]
	s_cmp_ge_u32 s2, s28
	v_lshl_add_u64 v[202:203], v[202:203], 0, s[10:11]
	s_barrier
	s_cbranch_scc1 .LBB122_152
; %bb.151:                              ;   in Loop: Header=BB122_100 Depth=1
	s_mov_b32 s2, s4
	s_cmp_eq_u32 s3, s2
	s_cselect_b32 s26, s29, 0
	s_and_saveexec_b64 s[4:5], s[0:1]
	s_cbranch_execnz .LBB122_96
	s_branch .LBB122_100
.LBB122_152:
	s_movk_i32 s2, 0x430
	v_cmp_gt_i32_e32 vcc, s20, v204
	v_mad_u32_u24 v4, v205, s2, v168
	s_or_b64 s[2:3], s[18:19], vcc
	s_and_b64 s[0:1], s[0:1], s[2:3]
	ds_write_b128 v4, v[0:3]
	s_waitcnt lgkmcnt(0)
	s_barrier
	s_and_saveexec_b64 s[2:3], s[0:1]
	s_cbranch_execz .LBB122_154
; %bb.153:
	ds_read_b128 v[0:3], v168 offset:1072
	ds_read_b128 v[4:7], v168
	ds_read_b128 v[8:11], v168 offset:2144
	ds_read_b128 v[12:15], v168 offset:3216
	s_waitcnt lgkmcnt(2)
	v_add_f64 v[0:1], v[0:1], v[4:5]
	v_add_f64 v[2:3], v[2:3], v[6:7]
	s_waitcnt lgkmcnt(1)
	v_add_f64 v[0:1], v[0:1], v[8:9]
	v_add_f64 v[2:3], v[2:3], v[10:11]
	s_waitcnt lgkmcnt(0)
	v_add_f64 v[0:1], v[0:1], v[12:13]
	v_add_f64 v[2:3], v[2:3], v[14:15]
	v_lshl_add_u64 v[4:5], v[166:167], 4, s[8:9]
	global_store_dwordx4 v[4:5], v[0:3], off
.LBB122_154:
	s_endpgm
	.section	.rodata,"a",@progbits
	.p2align	6, 0x0
	.amdhsa_kernel _ZL26rocblas_hemvn_kernel_upperILb0ELi64ELi4ELi33ELi32ELi16ElPK19rocblas_complex_numIdES3_PS1_EviT6_lT7_lT5_lS6_lS7_lS5_lT8_i
		.amdhsa_group_segment_fixed_size 19200
		.amdhsa_private_segment_fixed_size 0
		.amdhsa_kernarg_size 376
		.amdhsa_user_sgpr_count 2
		.amdhsa_user_sgpr_dispatch_ptr 0
		.amdhsa_user_sgpr_queue_ptr 0
		.amdhsa_user_sgpr_kernarg_segment_ptr 1
		.amdhsa_user_sgpr_dispatch_id 0
		.amdhsa_user_sgpr_kernarg_preload_length 0
		.amdhsa_user_sgpr_kernarg_preload_offset 0
		.amdhsa_user_sgpr_private_segment_size 0
		.amdhsa_uses_dynamic_stack 0
		.amdhsa_enable_private_segment 0
		.amdhsa_system_sgpr_workgroup_id_x 1
		.amdhsa_system_sgpr_workgroup_id_y 0
		.amdhsa_system_sgpr_workgroup_id_z 1
		.amdhsa_system_sgpr_workgroup_info 0
		.amdhsa_system_vgpr_workitem_id 1
		.amdhsa_next_free_vgpr 231
		.amdhsa_next_free_sgpr 40
		.amdhsa_accum_offset 232
		.amdhsa_reserve_vcc 1
		.amdhsa_float_round_mode_32 0
		.amdhsa_float_round_mode_16_64 0
		.amdhsa_float_denorm_mode_32 3
		.amdhsa_float_denorm_mode_16_64 3
		.amdhsa_dx10_clamp 1
		.amdhsa_ieee_mode 1
		.amdhsa_fp16_overflow 0
		.amdhsa_tg_split 0
		.amdhsa_exception_fp_ieee_invalid_op 0
		.amdhsa_exception_fp_denorm_src 0
		.amdhsa_exception_fp_ieee_div_zero 0
		.amdhsa_exception_fp_ieee_overflow 0
		.amdhsa_exception_fp_ieee_underflow 0
		.amdhsa_exception_fp_ieee_inexact 0
		.amdhsa_exception_int_div_zero 0
	.end_amdhsa_kernel
	.section	.text._ZL26rocblas_hemvn_kernel_upperILb0ELi64ELi4ELi33ELi32ELi16ElPK19rocblas_complex_numIdES3_PS1_EviT6_lT7_lT5_lS6_lS7_lS5_lT8_i,"axG",@progbits,_ZL26rocblas_hemvn_kernel_upperILb0ELi64ELi4ELi33ELi32ELi16ElPK19rocblas_complex_numIdES3_PS1_EviT6_lT7_lT5_lS6_lS7_lS5_lT8_i,comdat
.Lfunc_end122:
	.size	_ZL26rocblas_hemvn_kernel_upperILb0ELi64ELi4ELi33ELi32ELi16ElPK19rocblas_complex_numIdES3_PS1_EviT6_lT7_lT5_lS6_lS7_lS5_lT8_i, .Lfunc_end122-_ZL26rocblas_hemvn_kernel_upperILb0ELi64ELi4ELi33ELi32ELi16ElPK19rocblas_complex_numIdES3_PS1_EviT6_lT7_lT5_lS6_lS7_lS5_lT8_i
                                        ; -- End function
	.section	.AMDGPU.csdata,"",@progbits
; Kernel info:
; codeLenInByte = 10576
; NumSgprs: 46
; NumVgprs: 231
; NumAgprs: 0
; TotalNumVgprs: 231
; ScratchSize: 0
; MemoryBound: 1
; FloatMode: 240
; IeeeMode: 1
; LDSByteSize: 19200 bytes/workgroup (compile time only)
; SGPRBlocks: 5
; VGPRBlocks: 28
; NumSGPRsForWavesPerEU: 46
; NumVGPRsForWavesPerEU: 231
; AccumOffset: 232
; Occupancy: 2
; WaveLimiterHint : 0
; COMPUTE_PGM_RSRC2:SCRATCH_EN: 0
; COMPUTE_PGM_RSRC2:USER_SGPR: 2
; COMPUTE_PGM_RSRC2:TRAP_HANDLER: 0
; COMPUTE_PGM_RSRC2:TGID_X_EN: 1
; COMPUTE_PGM_RSRC2:TGID_Y_EN: 0
; COMPUTE_PGM_RSRC2:TGID_Z_EN: 1
; COMPUTE_PGM_RSRC2:TIDIG_COMP_CNT: 1
; COMPUTE_PGM_RSRC3_GFX90A:ACCUM_OFFSET: 57
; COMPUTE_PGM_RSRC3_GFX90A:TG_SPLIT: 0
	.section	.text._ZL26rocblas_hemvn_kernel_upperILb0ELi64ELi4ELi33ELi32ELi16EiPK19rocblas_complex_numIdES3_PS1_EviT6_lT7_lT5_lS6_lS7_lS5_lT8_i,"axG",@progbits,_ZL26rocblas_hemvn_kernel_upperILb0ELi64ELi4ELi33ELi32ELi16EiPK19rocblas_complex_numIdES3_PS1_EviT6_lT7_lT5_lS6_lS7_lS5_lT8_i,comdat
	.globl	_ZL26rocblas_hemvn_kernel_upperILb0ELi64ELi4ELi33ELi32ELi16EiPK19rocblas_complex_numIdES3_PS1_EviT6_lT7_lT5_lS6_lS7_lS5_lT8_i ; -- Begin function _ZL26rocblas_hemvn_kernel_upperILb0ELi64ELi4ELi33ELi32ELi16EiPK19rocblas_complex_numIdES3_PS1_EviT6_lT7_lT5_lS6_lS7_lS5_lT8_i
	.p2align	8
	.type	_ZL26rocblas_hemvn_kernel_upperILb0ELi64ELi4ELi33ELi32ELi16EiPK19rocblas_complex_numIdES3_PS1_EviT6_lT7_lT5_lS6_lS7_lS5_lT8_i,@function
_ZL26rocblas_hemvn_kernel_upperILb0ELi64ELi4ELi33ELi32ELi16EiPK19rocblas_complex_numIdES3_PS1_EviT6_lT7_lT5_lS6_lS7_lS5_lT8_i: ; @_ZL26rocblas_hemvn_kernel_upperILb0ELi64ELi4ELi33ELi32ELi16EiPK19rocblas_complex_numIdES3_PS1_EviT6_lT7_lT5_lS6_lS7_lS5_lT8_i
; %bb.0:
	s_load_dwordx2 s[4:5], s[0:1], 0x84
	s_add_u32 s20, s0, 0x78
	s_addc_u32 s21, s1, 0
	s_waitcnt lgkmcnt(0)
	s_lshr_b32 s6, s4, 16
	s_and_b32 s4, s4, 0xffff
	s_and_b32 s5, s5, 0xffff
	s_mul_i32 s4, s6, s4
	s_mul_i32 s4, s4, s5
	s_cmpk_lg_i32 s4, 0x100
	s_cbranch_scc1 .LBB123_154
; %bb.1:
	s_load_dwordx8 s[4:11], s[0:1], 0x8
	s_waitcnt lgkmcnt(0)
	s_mul_i32 s7, s3, s7
	s_mul_hi_u32 s12, s3, s6
	s_mul_i32 s6, s3, s6
	s_add_i32 s7, s12, s7
	s_lshl_b64 s[6:7], s[6:7], 4
	s_add_u32 s22, s4, s6
	s_addc_u32 s23, s5, s7
	s_load_dwordx4 s[4:7], s[22:23], 0x0
	s_load_dwordx8 s[12:19], s[0:1], 0x50
	s_waitcnt lgkmcnt(0)
	v_cmp_neq_f64_e64 s[4:5], s[4:5], 0
	v_cmp_neq_f64_e64 s[6:7], s[6:7], 0
	s_or_b64 s[4:5], s[4:5], s[6:7]
	s_mov_b64 s[6:7], -1
	s_and_b64 vcc, exec, s[4:5]
	s_cbranch_vccnz .LBB123_3
; %bb.2:
	s_mul_i32 s6, s3, s17
	s_mul_hi_u32 s7, s3, s16
	s_add_i32 s7, s7, s6
	s_mul_i32 s6, s3, s16
	s_lshl_b64 s[6:7], s[6:7], 4
	s_add_u32 s6, s14, s6
	s_addc_u32 s7, s15, s7
	s_load_dwordx4 s[24:27], s[6:7], 0x0
	s_waitcnt lgkmcnt(0)
	v_cmp_neq_f64_e64 s[6:7], s[24:25], 1.0
	v_cmp_neq_f64_e64 s[14:15], s[26:27], 0
	s_or_b64 s[6:7], s[6:7], s[14:15]
.LBB123_3:
	s_andn2_b64 vcc, exec, s[6:7]
	s_cbranch_vccnz .LBB123_154
; %bb.4:
	s_andn2_b64 vcc, exec, s[4:5]
	s_cbranch_vccnz .LBB123_154
; %bb.5:
	s_load_dword s30, s[20:21], 0x0
	s_load_dword s34, s[0:1], 0x0
	s_load_dwordx4 s[4:7], s[0:1], 0x30
	s_load_dwordx2 s[14:15], s[0:1], 0x40
	s_load_dword s33, s[0:1], 0x48
	s_mul_i32 s13, s3, s13
	s_mul_hi_u32 s16, s3, s12
	s_add_i32 s13, s16, s13
	s_mul_i32 s12, s3, s12
	s_lshl_b64 s[12:13], s[12:13], 4
	s_waitcnt lgkmcnt(0)
	s_add_u32 s12, s6, s12
	s_addc_u32 s13, s7, s13
	s_lshl_b64 s[6:7], s[14:15], 4
	s_add_u32 s6, s12, s6
	s_addc_u32 s7, s13, s7
	s_ashr_i32 s35, s34, 31
	s_lshr_b32 s13, s35, 26
	v_and_b32_e32 v168, 0x3ff, v0
	s_lshl_b32 s22, s2, 6
	s_add_i32 s13, s34, s13
	s_andn2_b32 s13, s13, 63
	v_add_u32_e32 v166, s22, v168
	v_bfe_u32 v167, v0, 10, 10
	s_add_i32 s12, s30, -1
	s_sub_i32 s31, s34, s13
	v_mul_lo_u32 v0, v166, s33
	s_cmp_eq_u32 s2, s12
	v_ashrrev_i32_e32 v1, 31, v0
	s_cselect_b32 s16, s31, 0
	v_lshl_add_u64 v[36:37], v[0:1], 4, s[6:7]
	v_cmp_eq_u32_e64 s[12:13], 0, v167
	s_and_saveexec_b64 s[6:7], s[12:13]
	s_cbranch_execz .LBB123_10
; %bb.6:
	s_cmp_lg_u32 s16, 0
	s_cselect_b64 s[14:15], -1, 0
	v_cmp_le_i32_e32 vcc, s16, v168
	v_mov_b32_e32 v0, 0x4700
	s_and_b64 s[14:15], s[14:15], vcc
	v_lshl_add_u32 v0, v168, 4, v0
	s_and_saveexec_b64 s[20:21], s[14:15]
	s_xor_b64 s[14:15], exec, s[20:21]
	s_cbranch_execz .LBB123_8
; %bb.7:
	v_mov_b32_e32 v2, 0
	v_mov_b32_e32 v3, v2
	v_mov_b32_e32 v4, v2
	v_mov_b32_e32 v5, v2
	ds_write_b128 v0, v[2:5]
                                        ; implicit-def: $vgpr0
.LBB123_8:
	s_andn2_saveexec_b64 s[14:15], s[14:15]
	s_cbranch_execz .LBB123_10
; %bb.9:
	global_load_dwordx4 v[2:5], v[36:37], off
	s_waitcnt vmcnt(0)
	ds_write2_b64 v0, v[2:3], v[4:5] offset1:1
.LBB123_10:
	s_or_b64 exec, exec, s[6:7]
	s_mul_i32 s5, s3, s5
	s_mul_hi_u32 s6, s3, s4
	s_add_i32 s5, s6, s5
	s_mul_i32 s4, s3, s4
	s_lshl_b64 s[4:5], s[4:5], 4
	s_add_u32 s6, s8, s4
	s_addc_u32 s7, s9, s5
	s_lshl_b64 s[4:5], s[10:11], 4
	s_load_dword s24, s[0:1], 0x28
	s_add_u32 s4, s6, s4
	s_addc_u32 s5, s7, s5
	s_ashr_i32 s23, s22, 31
	v_lshl_add_u32 v42, v167, 6, v168
	s_lshl_b64 s[0:1], s[22:23], 4
	v_and_b32_e32 v4, 31, v168
	v_lshrrev_b32_e32 v5, 5, v42
	s_add_u32 s4, s4, s0
	s_addc_u32 s5, s5, s1
	s_waitcnt lgkmcnt(0)
	v_mad_u64_u32 v[38:39], s[0:1], v5, s24, v[4:5]
	s_mul_i32 s0, s22, s24
	s_ashr_i32 s1, s0, 31
	s_lshl_b64 s[0:1], s[0:1], 4
	s_add_u32 s0, s0, s4
	s_addc_u32 s1, s1, s5
	s_cmp_eq_u32 s16, 0
	s_cselect_b64 s[20:21], -1, 0
	s_cmp_lg_u32 s16, 0
	v_ashrrev_i32_e32 v39, 31, v38
	s_cselect_b64 s[28:29], -1, 0
	v_lshl_add_u64 v[0:1], v[38:39], 4, s[0:1]
	s_and_b64 vcc, exec, s[28:29]
	v_cmp_gt_i32_e64 s[0:1], s16, v4
	v_lshlrev_b32_e32 v6, 4, v4
	v_mul_u32_u24_e32 v14, 33, v5
	s_cbranch_vccz .LBB123_28
; %bb.11:
	v_sub_co_u32_e32 v2, vcc, v0, v6
	s_ashr_i32 s17, s16, 31
	s_nop 0
	v_subbrev_co_u32_e32 v3, vcc, 0, v1, vcc
	v_lshl_add_u64 v[2:3], s[16:17], 4, v[2:3]
	v_lshl_add_u64 v[2:3], v[2:3], 0, -16
	v_cndmask_b32_e64 v3, v3, v1, s[0:1]
	v_cndmask_b32_e64 v2, v2, v0, s[0:1]
	v_cmp_le_i32_e32 vcc, s16, v5
	v_add_lshl_u32 v7, v14, v4, 4
	s_and_saveexec_b64 s[4:5], vcc
	s_xor_b64 s[4:5], exec, s[4:5]
	s_cbranch_execz .LBB123_13
; %bb.12:
	v_mov_b32_e32 v8, 0
	v_mov_b32_e32 v9, v8
	;; [unrolled: 1-line block ×4, first 2 shown]
	ds_write_b128 v7, v[8:11]
.LBB123_13:
	s_andn2_saveexec_b64 s[4:5], s[4:5]
	s_cbranch_execz .LBB123_15
; %bb.14:
	global_load_dwordx4 v[8:11], v[2:3], off
	s_waitcnt vmcnt(0)
	ds_write2_b64 v7, v[8:9], v[10:11] offset1:1
.LBB123_15:
	s_or_b64 exec, exec, s[4:5]
	v_add_u32_e32 v8, 8, v5
	v_cmp_le_i32_e32 vcc, s16, v8
	s_and_saveexec_b64 s[4:5], vcc
	s_xor_b64 s[4:5], exec, s[4:5]
	s_cbranch_execz .LBB123_17
; %bb.16:
	v_mul_u32_u24_e32 v8, 33, v8
	v_add_lshl_u32 v12, v8, v4, 4
	v_mov_b32_e32 v8, 0
	v_mov_b32_e32 v9, v8
	;; [unrolled: 1-line block ×4, first 2 shown]
	ds_write_b128 v12, v[8:11]
.LBB123_17:
	s_andn2_saveexec_b64 s[4:5], s[4:5]
	s_cbranch_execz .LBB123_19
; %bb.18:
	s_lshl_b32 s6, s24, 3
	s_ashr_i32 s7, s6, 31
	v_lshl_add_u64 v[8:9], s[6:7], 4, v[2:3]
	global_load_dwordx4 v[8:11], v[8:9], off
	v_add_u32_e32 v12, 0x1080, v7
	s_waitcnt vmcnt(0)
	ds_write2_b64 v12, v[8:9], v[10:11] offset1:1
.LBB123_19:
	s_or_b64 exec, exec, s[4:5]
	v_add_u32_e32 v8, 16, v5
	v_cmp_le_i32_e32 vcc, s16, v8
	s_and_saveexec_b64 s[4:5], vcc
	s_xor_b64 s[4:5], exec, s[4:5]
	s_cbranch_execz .LBB123_21
; %bb.20:
	v_mul_u32_u24_e32 v8, 33, v8
	v_add_lshl_u32 v12, v8, v4, 4
	v_mov_b32_e32 v8, 0
	v_mov_b32_e32 v9, v8
	;; [unrolled: 1-line block ×4, first 2 shown]
	ds_write_b128 v12, v[8:11]
.LBB123_21:
	s_andn2_saveexec_b64 s[4:5], s[4:5]
	s_cbranch_execz .LBB123_23
; %bb.22:
	s_lshl_b32 s6, s24, 4
	s_ashr_i32 s7, s6, 31
	v_lshl_add_u64 v[8:9], s[6:7], 4, v[2:3]
	global_load_dwordx4 v[8:11], v[8:9], off
	v_add_u32_e32 v12, 0x2100, v7
	s_waitcnt vmcnt(0)
	ds_write2_b64 v12, v[8:9], v[10:11] offset1:1
.LBB123_23:
	s_or_b64 exec, exec, s[4:5]
	v_add_u32_e32 v8, 24, v5
	v_cmp_le_i32_e32 vcc, s16, v8
	s_and_saveexec_b64 s[4:5], vcc
	s_xor_b64 s[4:5], exec, s[4:5]
	s_cbranch_execz .LBB123_25
; %bb.24:
	v_mov_b32_e32 v8, 0
	v_mov_b32_e32 v9, v8
	;; [unrolled: 1-line block ×4, first 2 shown]
	ds_write_b128 v7, v[8:11] offset:12672
                                        ; implicit-def: $vgpr7
.LBB123_25:
	s_andn2_saveexec_b64 s[4:5], s[4:5]
	s_cbranch_execz .LBB123_27
; %bb.26:
	s_mul_i32 s6, s24, 24
	s_ashr_i32 s7, s6, 31
	v_lshl_add_u64 v[8:9], s[6:7], 4, v[2:3]
	global_load_dwordx4 v[8:11], v[8:9], off
	v_add_u32_e32 v7, 0x3180, v7
	s_waitcnt vmcnt(0)
	ds_write2_b64 v7, v[8:9], v[10:11] offset1:1
.LBB123_27:
	s_or_b64 exec, exec, s[4:5]
	v_mov_b32_e32 v7, 0
	v_lshl_add_u64 v[2:3], v[2:3], 0, v[6:7]
	s_lshl_b64 s[4:5], s[16:17], 4
	v_mov_b32_e32 v7, s5
	v_subrev_co_u32_e32 v2, vcc, s4, v2
	s_nop 1
	v_subb_co_u32_e32 v3, vcc, v3, v7, vcc
	v_lshl_add_u64 v[2:3], v[2:3], 0, 16
	v_cndmask_b32_e64 v9, v3, v1, s[0:1]
	v_cndmask_b32_e64 v8, v2, v0, s[0:1]
	s_branch .LBB123_30
.LBB123_28:
                                        ; implicit-def: $vgpr8_vgpr9
	s_cbranch_execz .LBB123_30
; %bb.29:
	s_lshl_b32 s0, s24, 3
	s_ashr_i32 s1, s0, 31
	s_ashr_i32 s25, s24, 31
	v_lshl_add_u64 v[2:3], s[0:1], 4, v[0:1]
	global_load_dwordx4 v[8:11], v[0:1], off
	global_load_dwordx4 v[16:19], v[2:3], off
	s_lshl_b64 s[0:1], s[24:25], 7
	v_lshl_add_u64 v[2:3], v[2:3], 0, s[0:1]
	global_load_dwordx4 v[20:23], v[2:3], off
	v_lshl_add_u64 v[2:3], v[2:3], 0, s[0:1]
	global_load_dwordx4 v[24:27], v[2:3], off
	v_add_lshl_u32 v2, v14, v4, 4
	v_add_u32_e32 v3, 0x1080, v2
	v_add_u32_e32 v7, 0x2100, v2
	;; [unrolled: 1-line block ×3, first 2 shown]
	s_waitcnt vmcnt(3)
	ds_write2_b64 v2, v[8:9], v[10:11] offset1:1
	s_waitcnt vmcnt(2)
	ds_write2_b64 v3, v[16:17], v[18:19] offset1:1
	;; [unrolled: 2-line block ×4, first 2 shown]
	v_mov_b64_e32 v[8:9], v[0:1]
.LBB123_30:
	v_lshlrev_b32_e32 v0, 2, v5
	v_mul_u32_u24_e32 v15, 33, v4
	v_cmp_gt_u32_e64 s[4:5], v0, v4
	v_add_lshl_u32 v17, v0, v15, 4
	s_waitcnt lgkmcnt(0)
	s_barrier
	s_and_saveexec_b64 s[0:1], s[4:5]
	s_cbranch_execz .LBB123_32
; %bb.31:
	v_mul_u32_u24_e32 v1, 0x84, v5
	v_add_lshl_u32 v1, v1, v4, 4
	ds_read_b128 v[10:13], v1
	s_waitcnt lgkmcnt(0)
	ds_write_b128 v17, v[10:13]
.LBB123_32:
	s_or_b64 exec, exec, s[0:1]
	v_cmp_ge_u32_e64 s[6:7], v0, v4
	s_and_saveexec_b64 s[0:1], s[6:7]
	s_cbranch_execz .LBB123_34
; %bb.33:
	v_or_b32_e32 v1, 1, v0
	v_mul_u32_u24_e32 v1, 33, v1
	v_add_lshl_u32 v1, v1, v4, 4
	ds_read_b128 v[10:13], v1
	s_waitcnt lgkmcnt(0)
	ds_write_b128 v17, v[10:13] offset:16
.LBB123_34:
	s_or_b64 exec, exec, s[0:1]
	v_or_b32_e32 v1, 2, v0
	v_cmp_gt_u32_e64 s[8:9], v1, v4
	s_and_saveexec_b64 s[0:1], s[8:9]
	s_cbranch_execz .LBB123_36
; %bb.35:
	v_mul_u32_u24_e32 v1, 33, v1
	v_add_lshl_u32 v1, v1, v4, 4
	ds_read_b128 v[10:13], v1
	s_waitcnt lgkmcnt(0)
	ds_write_b128 v17, v[10:13] offset:32
.LBB123_36:
	s_or_b64 exec, exec, s[0:1]
	v_or_b32_e32 v1, 3, v0
	v_cmp_gt_u32_e64 s[10:11], v1, v4
	v_mad_u32_u24 v1, v1, 33, v4
	v_lshlrev_b32_e32 v16, 4, v1
	s_and_saveexec_b64 s[0:1], s[10:11]
	s_cbranch_execz .LBB123_38
; %bb.37:
	ds_read_b128 v[10:13], v16
	s_waitcnt lgkmcnt(0)
	ds_write_b128 v17, v[10:13] offset:48
.LBB123_38:
	s_or_b64 exec, exec, s[0:1]
	v_mul_u32_u24_e32 v1, 0x84, v5
	v_lshlrev_b32_e32 v18, 4, v0
	s_waitcnt lgkmcnt(0)
	s_barrier
	v_add_lshl_u32 v24, v1, v4, 4
	ds_read_b128 v[0:3], v18 offset:18176
	ds_read_b128 v[10:13], v24
	ds_read_b128 v[20:23], v18 offset:18192
	ds_read_b128 v[26:29], v18 offset:18208
	v_add_u32_e32 v25, 0xfffffbe0, v16
	ds_read_b128 v[30:33], v25
	ds_read_b128 v[44:47], v25 offset:528
	s_waitcnt lgkmcnt(4)
	v_mul_f64 v[34:35], v[2:3], v[12:13]
	v_fma_f64 v[34:35], v[0:1], v[10:11], -v[34:35]
	v_mul_f64 v[0:1], v[0:1], v[12:13]
	v_fmac_f64_e32 v[0:1], v[2:3], v[10:11]
	s_waitcnt lgkmcnt(1)
	v_mul_f64 v[12:13], v[20:21], v[32:33]
	v_add_f64 v[0:1], v[0:1], 0
	v_mul_f64 v[10:11], v[22:23], v[32:33]
	v_fmac_f64_e32 v[12:13], v[22:23], v[30:31]
	v_add_f64 v[2:3], v[34:35], 0
	v_fma_f64 v[10:11], v[20:21], v[30:31], -v[10:11]
	v_add_f64 v[22:23], v[0:1], v[12:13]
	s_waitcnt lgkmcnt(0)
	v_mul_f64 v[0:1], v[28:29], v[46:47]
	v_add_f64 v[20:21], v[2:3], v[10:11]
	v_fma_f64 v[30:31], v[26:27], v[44:45], -v[0:1]
	ds_read_b128 v[0:3], v18 offset:18224
	ds_read_b128 v[10:13], v16
	v_mul_f64 v[26:27], v[26:27], v[46:47]
	v_fmac_f64_e32 v[26:27], v[28:29], v[44:45]
	v_add_f64 v[22:23], v[22:23], v[26:27]
	v_add_f64 v[20:21], v[20:21], v[30:31]
	s_waitcnt lgkmcnt(0)
	v_mul_f64 v[26:27], v[2:3], v[12:13]
	v_mul_f64 v[12:13], v[0:1], v[12:13]
	v_fma_f64 v[26:27], v[0:1], v[10:11], -v[26:27]
	v_fmac_f64_e32 v[12:13], v[2:3], v[10:11]
	v_add_f64 v[0:1], v[20:21], v[26:27]
	v_add_f64 v[2:3], v[22:23], v[12:13]
	v_add_lshl_u32 v44, v5, v15, 4
	s_barrier
	ds_write_b128 v44, v[0:3]
	v_mov_b64_e32 v[0:1], 0
	v_cmp_gt_u32_e64 s[0:1], 32, v42
	v_lshlrev_b32_e32 v43, 4, v15
	v_mov_b64_e32 v[2:3], v[0:1]
	s_waitcnt lgkmcnt(0)
	s_barrier
	s_and_saveexec_b64 s[14:15], s[0:1]
	s_cbranch_execz .LBB123_40
; %bb.39:
	ds_read_b128 v[0:3], v43
	ds_read_b128 v[10:13], v43 offset:16
	ds_read_b128 v[20:23], v43 offset:32
	;; [unrolled: 1-line block ×3, first 2 shown]
	s_waitcnt lgkmcnt(2)
	v_add_f64 v[0:1], v[10:11], v[0:1]
	v_add_f64 v[10:11], v[12:13], v[2:3]
	s_waitcnt lgkmcnt(1)
	v_add_f64 v[12:13], v[0:1], v[20:21]
	ds_read_b128 v[0:3], v43 offset:64
	v_add_f64 v[10:11], v[10:11], v[22:23]
	s_waitcnt lgkmcnt(1)
	v_add_f64 v[20:21], v[12:13], v[26:27]
	v_add_f64 v[26:27], v[10:11], v[28:29]
	ds_read_b128 v[10:13], v43 offset:80
	s_waitcnt lgkmcnt(1)
	v_add_f64 v[28:29], v[20:21], v[0:1]
	ds_read_b128 v[20:23], v43 offset:96
	v_add_f64 v[26:27], v[26:27], v[2:3]
	ds_read_b128 v[0:3], v43 offset:112
	s_waitcnt lgkmcnt(2)
	v_add_f64 v[10:11], v[28:29], v[10:11]
	v_add_f64 v[12:13], v[26:27], v[12:13]
	s_waitcnt lgkmcnt(1)
	v_add_f64 v[10:11], v[10:11], v[20:21]
	v_add_f64 v[12:13], v[12:13], v[22:23]
	;; [unrolled: 3-line block ×3, first 2 shown]
.LBB123_40:
	s_or_b64 exec, exec, s[14:15]
	s_lshl_b32 s26, s24, 5
	s_ashr_i32 s27, s26, 31
	v_lshl_add_u64 v[12:13], s[26:27], 4, v[8:9]
	s_mov_b64 s[14:15], 0x200
	v_lshl_add_u64 v[10:11], v[12:13], 0, s[14:15]
	s_and_b64 vcc, exec, s[28:29]
	s_barrier
	s_cbranch_vccz .LBB123_58
; %bb.41:
	v_sub_co_u32_e32 v8, vcc, v10, v6
	s_ashr_i32 s17, s16, 31
	s_nop 0
	v_subbrev_co_u32_e32 v9, vcc, 0, v11, vcc
	s_movk_i32 s14, 0xfdf0
	v_or_b32_e32 v7, 32, v4
	v_lshl_add_u64 v[8:9], s[16:17], 4, v[8:9]
	s_mov_b32 s15, -1
	v_lshl_add_u64 v[8:9], v[8:9], 0, s[14:15]
	v_cmp_gt_i32_e32 vcc, s16, v7
	s_sub_i32 s23, s16, 32
	v_cmp_le_i32_e64 s[14:15], s23, v5
	v_cndmask_b32_e32 v9, v9, v11, vcc
	v_cndmask_b32_e32 v8, v8, v10, vcc
	v_add_lshl_u32 v7, v14, v4, 4
	s_and_saveexec_b64 s[36:37], s[14:15]
	s_xor_b64 s[14:15], exec, s[36:37]
	s_cbranch_execz .LBB123_43
; %bb.42:
	v_mov_b32_e32 v20, 0
	v_mov_b32_e32 v21, v20
	;; [unrolled: 1-line block ×4, first 2 shown]
	ds_write_b128 v7, v[20:23]
.LBB123_43:
	s_andn2_saveexec_b64 s[14:15], s[14:15]
	s_cbranch_execz .LBB123_45
; %bb.44:
	global_load_dwordx4 v[20:23], v[8:9], off
	s_waitcnt vmcnt(0)
	ds_write2_b64 v7, v[20:21], v[22:23] offset1:1
.LBB123_45:
	s_or_b64 exec, exec, s[14:15]
	v_add_u32_e32 v19, 8, v5
	v_cmp_le_i32_e64 s[14:15], s23, v19
	s_and_saveexec_b64 s[36:37], s[14:15]
	s_xor_b64 s[14:15], exec, s[36:37]
	s_cbranch_execz .LBB123_47
; %bb.46:
	v_mul_u32_u24_e32 v19, 33, v19
	v_mov_b32_e32 v20, 0
	v_add_lshl_u32 v19, v19, v4, 4
	v_mov_b32_e32 v21, v20
	v_mov_b32_e32 v22, v20
	;; [unrolled: 1-line block ×3, first 2 shown]
	ds_write_b128 v19, v[20:23]
.LBB123_47:
	s_andn2_saveexec_b64 s[14:15], s[14:15]
	s_cbranch_execz .LBB123_49
; %bb.48:
	s_lshl_b32 s36, s24, 3
	s_ashr_i32 s37, s36, 31
	v_lshl_add_u64 v[20:21], s[36:37], 4, v[8:9]
	global_load_dwordx4 v[20:23], v[20:21], off
	v_add_u32_e32 v19, 0x1080, v7
	s_waitcnt vmcnt(0)
	ds_write2_b64 v19, v[20:21], v[22:23] offset1:1
.LBB123_49:
	s_or_b64 exec, exec, s[14:15]
	v_add_u32_e32 v19, 16, v5
	v_cmp_le_i32_e64 s[14:15], s23, v19
	s_and_saveexec_b64 s[36:37], s[14:15]
	s_xor_b64 s[14:15], exec, s[36:37]
	s_cbranch_execz .LBB123_51
; %bb.50:
	v_mul_u32_u24_e32 v19, 33, v19
	v_mov_b32_e32 v20, 0
	v_add_lshl_u32 v19, v19, v4, 4
	v_mov_b32_e32 v21, v20
	v_mov_b32_e32 v22, v20
	;; [unrolled: 1-line block ×3, first 2 shown]
	ds_write_b128 v19, v[20:23]
.LBB123_51:
	s_andn2_saveexec_b64 s[14:15], s[14:15]
	s_cbranch_execz .LBB123_53
; %bb.52:
	s_lshl_b32 s36, s24, 4
	s_ashr_i32 s37, s36, 31
	v_lshl_add_u64 v[20:21], s[36:37], 4, v[8:9]
	global_load_dwordx4 v[20:23], v[20:21], off
	v_add_u32_e32 v19, 0x2100, v7
	s_waitcnt vmcnt(0)
	ds_write2_b64 v19, v[20:21], v[22:23] offset1:1
.LBB123_53:
	s_or_b64 exec, exec, s[14:15]
	v_add_u32_e32 v19, 24, v5
	v_cmp_le_i32_e64 s[14:15], s23, v19
	s_and_saveexec_b64 s[36:37], s[14:15]
	s_xor_b64 s[14:15], exec, s[36:37]
	s_cbranch_execz .LBB123_55
; %bb.54:
	v_mov_b32_e32 v20, 0
	v_mov_b32_e32 v21, v20
	;; [unrolled: 1-line block ×4, first 2 shown]
	ds_write_b128 v7, v[20:23] offset:12672
                                        ; implicit-def: $vgpr7
.LBB123_55:
	s_andn2_saveexec_b64 s[14:15], s[14:15]
	s_cbranch_execz .LBB123_57
; %bb.56:
	s_mul_i32 s36, s24, 24
	s_ashr_i32 s37, s36, 31
	v_lshl_add_u64 v[20:21], s[36:37], 4, v[8:9]
	global_load_dwordx4 v[20:23], v[20:21], off
	v_add_u32_e32 v7, 0x3180, v7
	s_waitcnt vmcnt(0)
	ds_write2_b64 v7, v[20:21], v[22:23] offset1:1
.LBB123_57:
	s_or_b64 exec, exec, s[14:15]
	v_mov_b32_e32 v7, 0
	v_lshl_add_u64 v[8:9], v[8:9], 0, v[6:7]
	s_lshl_b64 s[14:15], s[16:17], 4
	v_mov_b32_e32 v7, s15
	v_subrev_co_u32_e64 v8, s[14:15], s14, v8
	s_nop 1
	v_subb_co_u32_e64 v9, s[14:15], v9, v7, s[14:15]
	s_mov_b64 s[14:15], 0x210
	s_nop 0
	v_lshl_add_u64 v[8:9], v[8:9], 0, s[14:15]
	v_cndmask_b32_e32 v9, v9, v11, vcc
	v_cndmask_b32_e32 v8, v8, v10, vcc
	s_branch .LBB123_60
.LBB123_58:
                                        ; implicit-def: $vgpr8_vgpr9
	s_cbranch_execz .LBB123_60
; %bb.59:
	s_lshl_b32 s14, s24, 3
	s_ashr_i32 s15, s14, 31
	s_ashr_i32 s25, s24, 31
	v_lshl_add_u64 v[8:9], s[14:15], 4, v[12:13]
	s_lshl_b64 s[14:15], s[24:25], 7
	global_load_dwordx4 v[20:23], v[10:11], off
	global_load_dwordx4 v[26:29], v[8:9], off offset:512
	v_lshl_add_u64 v[8:9], v[8:9], 0, s[14:15]
	v_lshl_add_u64 v[12:13], v[8:9], 0, s[14:15]
	global_load_dwordx4 v[30:33], v[8:9], off offset:512
	global_load_dwordx4 v[46:49], v[12:13], off offset:512
	v_add_lshl_u32 v7, v14, v4, 4
	v_add_u32_e32 v8, 0x1080, v7
	v_add_u32_e32 v9, 0x2100, v7
	;; [unrolled: 1-line block ×3, first 2 shown]
	s_waitcnt vmcnt(3)
	ds_write2_b64 v7, v[20:21], v[22:23] offset1:1
	s_waitcnt vmcnt(2)
	ds_write2_b64 v8, v[26:27], v[28:29] offset1:1
	s_waitcnt vmcnt(1)
	ds_write2_b64 v9, v[30:31], v[32:33] offset1:1
	s_waitcnt vmcnt(0)
	ds_write2_b64 v12, v[46:47], v[48:49] offset1:1
	v_mov_b64_e32 v[8:9], v[10:11]
.LBB123_60:
	s_waitcnt lgkmcnt(0)
	s_barrier
	s_and_saveexec_b64 s[14:15], s[4:5]
	s_cbranch_execnz .LBB123_85
; %bb.61:
	s_or_b64 exec, exec, s[14:15]
	s_and_saveexec_b64 s[4:5], s[6:7]
	s_cbranch_execnz .LBB123_86
.LBB123_62:
	s_or_b64 exec, exec, s[4:5]
	s_and_saveexec_b64 s[4:5], s[8:9]
	s_cbranch_execnz .LBB123_87
.LBB123_63:
	s_or_b64 exec, exec, s[4:5]
	v_add_u32_e32 v26, 0x4700, v18
	s_and_saveexec_b64 s[4:5], s[10:11]
	s_cbranch_execz .LBB123_65
.LBB123_64:
	ds_read_b128 v[10:13], v16
	s_waitcnt lgkmcnt(0)
	ds_write_b128 v17, v[10:13] offset:48
.LBB123_65:
	s_or_b64 exec, exec, s[4:5]
	s_waitcnt lgkmcnt(0)
	s_barrier
	ds_read_b128 v[10:13], v26 offset:512
	ds_read_b128 v[18:21], v24
	ds_read_b128 v[28:31], v26 offset:528
	ds_read_b128 v[32:35], v26 offset:544
	;; [unrolled: 1-line block ×3, first 2 shown]
	ds_read_b128 v[50:53], v25
	v_cmp_eq_u32_e64 s[4:5], 1, v5
	s_waitcnt lgkmcnt(4)
	v_mul_f64 v[22:23], v[12:13], v[20:21]
	v_fma_f64 v[22:23], v[10:11], v[18:19], -v[22:23]
	v_mul_f64 v[10:11], v[10:11], v[20:21]
	v_fmac_f64_e32 v[10:11], v[12:13], v[18:19]
	v_add_f64 v[20:21], v[10:11], 0
	s_waitcnt lgkmcnt(0)
	v_mul_f64 v[10:11], v[30:31], v[52:53]
	v_add_f64 v[18:19], v[22:23], 0
	v_fma_f64 v[22:23], v[28:29], v[50:51], -v[10:11]
	v_mul_f64 v[28:29], v[28:29], v[52:53]
	ds_read_b128 v[10:13], v25 offset:528
	v_fmac_f64_e32 v[28:29], v[30:31], v[50:51]
	v_add_f64 v[22:23], v[18:19], v[22:23]
	v_add_f64 v[28:29], v[20:21], v[28:29]
	ds_read_b128 v[18:21], v16
	s_waitcnt lgkmcnt(1)
	v_mul_f64 v[30:31], v[34:35], v[12:13]
	v_fma_f64 v[30:31], v[32:33], v[10:11], -v[30:31]
	v_mul_f64 v[12:13], v[32:33], v[12:13]
	v_fmac_f64_e32 v[12:13], v[34:35], v[10:11]
	v_add_f64 v[10:11], v[22:23], v[30:31]
	s_waitcnt lgkmcnt(0)
	v_mul_f64 v[22:23], v[48:49], v[20:21]
	v_mul_f64 v[20:21], v[46:47], v[20:21]
	v_add_f64 v[12:13], v[28:29], v[12:13]
	v_fma_f64 v[22:23], v[46:47], v[18:19], -v[22:23]
	v_fmac_f64_e32 v[20:21], v[48:49], v[18:19]
	v_add_f64 v[10:11], v[10:11], v[22:23]
	v_add_f64 v[12:13], v[12:13], v[20:21]
	s_barrier
	ds_write_b128 v44, v[10:13]
	s_waitcnt lgkmcnt(0)
	s_barrier
	s_and_saveexec_b64 s[6:7], s[4:5]
	s_cbranch_execz .LBB123_67
; %bb.66:
	ds_read_b128 v[0:3], v43
	ds_read_b128 v[10:13], v43 offset:16
	ds_read_b128 v[18:21], v43 offset:32
	;; [unrolled: 1-line block ×3, first 2 shown]
	s_waitcnt lgkmcnt(2)
	v_add_f64 v[0:1], v[10:11], v[0:1]
	v_add_f64 v[10:11], v[12:13], v[2:3]
	s_waitcnt lgkmcnt(1)
	v_add_f64 v[12:13], v[0:1], v[18:19]
	ds_read_b128 v[0:3], v43 offset:64
	v_add_f64 v[10:11], v[10:11], v[20:21]
	s_waitcnt lgkmcnt(1)
	v_add_f64 v[18:19], v[12:13], v[28:29]
	v_add_f64 v[22:23], v[10:11], v[30:31]
	ds_read_b128 v[10:13], v43 offset:80
	s_waitcnt lgkmcnt(1)
	v_add_f64 v[28:29], v[18:19], v[0:1]
	ds_read_b128 v[18:21], v43 offset:96
	v_add_f64 v[22:23], v[22:23], v[2:3]
	ds_read_b128 v[0:3], v43 offset:112
	s_waitcnt lgkmcnt(2)
	v_add_f64 v[10:11], v[28:29], v[10:11]
	v_add_f64 v[12:13], v[22:23], v[12:13]
	s_waitcnt lgkmcnt(1)
	v_add_f64 v[10:11], v[10:11], v[18:19]
	v_add_f64 v[12:13], v[12:13], v[20:21]
	;; [unrolled: 3-line block ×3, first 2 shown]
.LBB123_67:
	s_or_b64 exec, exec, s[6:7]
	s_movk_i32 s6, 0xfe00
	s_mov_b32 s7, -1
	v_lshl_add_u64 v[10:11], v[8:9], 0, s[6:7]
	s_and_b64 vcc, exec, s[28:29]
	s_barrier
	s_cbranch_vccz .LBB123_88
; %bb.68:
	v_sub_co_u32_e32 v12, vcc, v8, v6
	s_ashr_i32 s17, s16, 31
	s_nop 0
	v_subbrev_co_u32_e32 v13, vcc, 0, v9, vcc
	s_movk_i32 s6, 0xfdf0
	v_lshl_add_u64 v[12:13], s[16:17], 4, v[12:13]
	s_mov_b32 s7, -1
	v_lshl_add_u64 v[12:13], v[12:13], 0, s[6:7]
	v_cmp_gt_i32_e32 vcc, s16, v4
	s_sub_i32 s8, s16, 32
	v_cmp_le_i32_e64 s[6:7], s8, v5
	v_cndmask_b32_e32 v13, v13, v11, vcc
	v_cndmask_b32_e32 v12, v12, v10, vcc
	v_add_lshl_u32 v7, v14, v4, 4
	s_and_saveexec_b64 s[10:11], s[6:7]
	s_xor_b64 s[6:7], exec, s[10:11]
	s_cbranch_execz .LBB123_70
; %bb.69:
	v_mov_b32_e32 v18, 0
	v_mov_b32_e32 v19, v18
	;; [unrolled: 1-line block ×4, first 2 shown]
	ds_write_b128 v7, v[18:21]
.LBB123_70:
	s_andn2_saveexec_b64 s[6:7], s[6:7]
	s_cbranch_execz .LBB123_72
; %bb.71:
	global_load_dwordx4 v[18:21], v[12:13], off
	s_waitcnt vmcnt(0)
	ds_write2_b64 v7, v[18:19], v[20:21] offset1:1
.LBB123_72:
	s_or_b64 exec, exec, s[6:7]
	v_add_u32_e32 v17, 8, v5
	v_cmp_le_i32_e64 s[6:7], s8, v17
	s_and_saveexec_b64 s[10:11], s[6:7]
	s_xor_b64 s[6:7], exec, s[10:11]
	s_cbranch_execz .LBB123_74
; %bb.73:
	v_mul_u32_u24_e32 v18, 33, v17
	v_add_lshl_u32 v22, v18, v4, 4
	v_mov_b32_e32 v18, 0
	v_mov_b32_e32 v19, v18
	;; [unrolled: 1-line block ×4, first 2 shown]
	ds_write_b128 v22, v[18:21]
.LBB123_74:
	s_andn2_saveexec_b64 s[6:7], s[6:7]
	s_cbranch_execz .LBB123_76
; %bb.75:
	s_lshl_b32 s10, s24, 3
	s_ashr_i32 s11, s10, 31
	v_lshl_add_u64 v[18:19], s[10:11], 4, v[12:13]
	global_load_dwordx4 v[18:21], v[18:19], off
	v_add_u32_e32 v22, 0x1080, v7
	s_waitcnt vmcnt(0)
	ds_write2_b64 v22, v[18:19], v[20:21] offset1:1
.LBB123_76:
	s_or_b64 exec, exec, s[6:7]
	v_add_u32_e32 v18, 16, v5
	v_cmp_le_i32_e64 s[6:7], s8, v18
	s_and_saveexec_b64 s[10:11], s[6:7]
	s_xor_b64 s[6:7], exec, s[10:11]
	s_cbranch_execz .LBB123_78
; %bb.77:
	v_mul_u32_u24_e32 v19, 33, v18
	v_mov_b32_e32 v20, 0
	v_add_lshl_u32 v19, v19, v4, 4
	v_mov_b32_e32 v21, v20
	v_mov_b32_e32 v22, v20
	;; [unrolled: 1-line block ×3, first 2 shown]
	ds_write_b128 v19, v[20:23]
.LBB123_78:
	s_andn2_saveexec_b64 s[6:7], s[6:7]
	s_cbranch_execz .LBB123_80
; %bb.79:
	s_lshl_b32 s10, s24, 4
	s_ashr_i32 s11, s10, 31
	v_lshl_add_u64 v[20:21], s[10:11], 4, v[12:13]
	global_load_dwordx4 v[20:23], v[20:21], off
	v_add_u32_e32 v19, 0x2100, v7
	s_waitcnt vmcnt(0)
	ds_write2_b64 v19, v[20:21], v[22:23] offset1:1
.LBB123_80:
	s_or_b64 exec, exec, s[6:7]
	v_add_u32_e32 v19, 24, v5
	v_cmp_le_i32_e64 s[6:7], s8, v19
	s_and_saveexec_b64 s[8:9], s[6:7]
	s_xor_b64 s[6:7], exec, s[8:9]
	s_cbranch_execz .LBB123_82
; %bb.81:
	v_mov_b32_e32 v20, 0
	v_mov_b32_e32 v21, v20
	;; [unrolled: 1-line block ×4, first 2 shown]
	ds_write_b128 v7, v[20:23] offset:12672
                                        ; implicit-def: $vgpr7
.LBB123_82:
	s_andn2_saveexec_b64 s[6:7], s[6:7]
	s_cbranch_execz .LBB123_84
; %bb.83:
	s_mul_i32 s8, s24, 24
	s_ashr_i32 s9, s8, 31
	v_lshl_add_u64 v[20:21], s[8:9], 4, v[12:13]
	global_load_dwordx4 v[20:23], v[20:21], off
	v_add_u32_e32 v7, 0x3180, v7
	s_waitcnt vmcnt(0)
	ds_write2_b64 v7, v[20:21], v[22:23] offset1:1
.LBB123_84:
	s_or_b64 exec, exec, s[6:7]
	v_mov_b32_e32 v7, 0
	v_lshl_add_u64 v[6:7], v[12:13], 0, v[6:7]
	s_lshl_b64 s[6:7], s[16:17], 4
	v_mov_b32_e32 v12, s7
	v_subrev_co_u32_e64 v6, s[6:7], s6, v6
	s_nop 1
	v_subb_co_u32_e64 v7, s[6:7], v7, v12, s[6:7]
	v_lshl_add_u64 v[6:7], v[6:7], 0, 16
	v_cndmask_b32_e32 v41, v7, v11, vcc
	v_cndmask_b32_e32 v40, v6, v10, vcc
	s_branch .LBB123_90
.LBB123_85:
	ds_read_b128 v[10:13], v24
	s_waitcnt lgkmcnt(0)
	ds_write_b128 v17, v[10:13]
	s_or_b64 exec, exec, s[14:15]
	s_and_saveexec_b64 s[4:5], s[6:7]
	s_cbranch_execz .LBB123_62
.LBB123_86:
	ds_read_b128 v[10:13], v25
	s_waitcnt lgkmcnt(0)
	ds_write_b128 v17, v[10:13] offset:16
	s_or_b64 exec, exec, s[4:5]
	s_and_saveexec_b64 s[4:5], s[8:9]
	s_cbranch_execz .LBB123_63
.LBB123_87:
	v_add_u32_e32 v7, 0x210, v25
	ds_read_b128 v[10:13], v7
	s_waitcnt lgkmcnt(0)
	ds_write_b128 v17, v[10:13] offset:32
	s_or_b64 exec, exec, s[4:5]
	v_add_u32_e32 v26, 0x4700, v18
	s_and_saveexec_b64 s[4:5], s[10:11]
	s_cbranch_execnz .LBB123_64
	s_branch .LBB123_65
.LBB123_88:
                                        ; implicit-def: $vgpr40_vgpr41
                                        ; implicit-def: $vgpr17
                                        ; implicit-def: $vgpr18
                                        ; implicit-def: $vgpr19
	s_cbranch_execz .LBB123_90
; %bb.89:
	s_lshl_b32 s6, s24, 3
	s_ashr_i32 s7, s6, 31
	s_ashr_i32 s25, s24, 31
	v_lshl_add_u64 v[12:13], s[6:7], 4, v[8:9]
	s_lshl_b64 s[6:7], s[24:25], 7
	global_load_dwordx4 v[6:9], v[10:11], off
	global_load_dwordx4 v[20:23], v[12:13], off offset:-512
	v_lshl_add_u64 v[12:13], v[12:13], 0, s[6:7]
	v_lshl_add_u64 v[18:19], v[12:13], 0, s[6:7]
	global_load_dwordx4 v[28:31], v[12:13], off offset:-512
	global_load_dwordx4 v[32:35], v[18:19], off offset:-512
	v_add_lshl_u32 v4, v14, v4, 4
	v_add_u32_e32 v17, 8, v5
	v_add_u32_e32 v18, 16, v5
	;; [unrolled: 1-line block ×3, first 2 shown]
	v_mov_b64_e32 v[40:41], v[10:11]
	v_add_u32_e32 v12, 0x1080, v4
	v_add_u32_e32 v13, 0x2100, v4
	;; [unrolled: 1-line block ×3, first 2 shown]
	s_waitcnt vmcnt(3)
	ds_write2_b64 v4, v[6:7], v[8:9] offset1:1
	s_waitcnt vmcnt(2)
	ds_write2_b64 v12, v[20:21], v[22:23] offset1:1
	;; [unrolled: 2-line block ×4, first 2 shown]
.LBB123_90:
	v_lshlrev_b32_e32 v4, 4, v5
	s_waitcnt lgkmcnt(0)
	s_barrier
	ds_read_b128 v[46:49], v44
	ds_read_b128 v[50:53], v4 offset:18176
	v_add_lshl_u32 v4, v17, v15, 4
	v_lshlrev_b32_e32 v10, 4, v17
	ds_read_b128 v[54:57], v4
	ds_read_b128 v[4:7], v25 offset:528
	ds_read_b128 v[58:61], v10 offset:18176
	s_waitcnt lgkmcnt(3)
	v_mul_f64 v[8:9], v[48:49], v[52:53]
	v_add_lshl_u32 v10, v18, v15, 4
	v_lshlrev_b32_e32 v12, 4, v18
	v_fma_f64 v[8:9], v[46:47], v[50:51], -v[8:9]
	ds_read_b128 v[62:65], v10
	ds_read_b128 v[66:69], v12 offset:18176
	s_waitcnt lgkmcnt(2)
	v_mul_f64 v[10:11], v[56:57], v[60:61]
	v_add_f64 v[8:9], v[8:9], 0
	v_fma_f64 v[10:11], v[54:55], v[58:59], -v[10:11]
	v_add_f64 v[8:9], v[8:9], v[10:11]
	v_add_lshl_u32 v10, v19, v15, 4
	v_lshlrev_b32_e32 v12, 4, v19
	v_mul_f64 v[74:75], v[46:47], v[52:53]
	v_mul_f64 v[60:61], v[54:55], v[60:61]
	ds_read_b128 v[52:55], v10
	ds_read_b128 v[70:73], v12 offset:18176
	s_waitcnt lgkmcnt(2)
	v_mul_f64 v[10:11], v[64:65], v[68:69]
	v_fma_f64 v[10:11], v[62:63], v[66:67], -v[10:11]
	v_add_f64 v[12:13], v[8:9], v[10:11]
	ds_read_b128 v[8:11], v16
	s_waitcnt lgkmcnt(1)
	v_mul_f64 v[14:15], v[54:55], v[72:73]
	v_fma_f64 v[14:15], v[52:53], v[70:71], -v[14:15]
	v_add_f64 v[46:47], v[12:13], v[14:15]
	ds_read_b128 v[20:23], v26 offset:528
	ds_read_b128 v[16:19], v26 offset:544
	;; [unrolled: 1-line block ×3, first 2 shown]
	ds_read_b128 v[32:35], v24
	ds_read_b128 v[12:15], v26 offset:560
	ds_read_b128 v[24:27], v25
	v_fmac_f64_e32 v[74:75], v[48:49], v[50:51]
	v_mul_f64 v[62:63], v[62:63], v[68:69]
	v_add_f64 v[48:49], v[74:75], 0
	v_fmac_f64_e32 v[60:61], v[56:57], v[58:59]
	v_mul_f64 v[52:53], v[52:53], v[72:73]
	v_add_f64 v[48:49], v[48:49], v[60:61]
	v_fmac_f64_e32 v[62:63], v[64:65], v[66:67]
	v_add_f64 v[48:49], v[48:49], v[62:63]
	v_fmac_f64_e32 v[52:53], v[54:55], v[70:71]
	v_add_f64 v[48:49], v[48:49], v[52:53]
	s_waitcnt lgkmcnt(0)
	s_barrier
	ds_write_b128 v44, v[46:49]
	s_waitcnt lgkmcnt(0)
	s_barrier
	s_and_saveexec_b64 s[6:7], s[4:5]
	s_cbranch_execz .LBB123_92
; %bb.91:
	ds_read_b128 v[46:49], v43
	ds_read_b128 v[50:53], v43 offset:16
	ds_read_b128 v[54:57], v43 offset:32
	;; [unrolled: 1-line block ×3, first 2 shown]
	s_waitcnt lgkmcnt(3)
	v_add_f64 v[0:1], v[0:1], v[46:47]
	v_add_f64 v[2:3], v[2:3], v[48:49]
	s_waitcnt lgkmcnt(2)
	v_add_f64 v[0:1], v[0:1], v[50:51]
	v_add_f64 v[46:47], v[2:3], v[52:53]
	s_waitcnt lgkmcnt(1)
	v_add_f64 v[48:49], v[0:1], v[54:55]
	ds_read_b128 v[0:3], v43 offset:64
	v_add_f64 v[46:47], v[46:47], v[56:57]
	s_waitcnt lgkmcnt(1)
	v_add_f64 v[50:51], v[48:49], v[58:59]
	v_add_f64 v[54:55], v[46:47], v[60:61]
	ds_read_b128 v[46:49], v43 offset:80
	s_waitcnt lgkmcnt(1)
	v_add_f64 v[56:57], v[50:51], v[0:1]
	ds_read_b128 v[50:53], v43 offset:96
	v_add_f64 v[54:55], v[54:55], v[2:3]
	ds_read_b128 v[0:3], v43 offset:112
	s_waitcnt lgkmcnt(2)
	v_add_f64 v[46:47], v[56:57], v[46:47]
	v_add_f64 v[48:49], v[54:55], v[48:49]
	s_waitcnt lgkmcnt(1)
	v_add_f64 v[46:47], v[46:47], v[50:51]
	v_add_f64 v[48:49], v[48:49], v[52:53]
	;; [unrolled: 3-line block ×3, first 2 shown]
.LBB123_92:
	s_or_b64 exec, exec, s[6:7]
	v_mul_f64 v[46:47], v[30:31], v[34:35]
	v_fma_f64 v[46:47], v[28:29], v[32:33], -v[46:47]
	v_mul_f64 v[28:29], v[28:29], v[34:35]
	v_fmac_f64_e32 v[28:29], v[30:31], v[32:33]
	v_mul_f64 v[32:33], v[22:23], v[26:27]
	v_fma_f64 v[32:33], v[20:21], v[24:25], -v[32:33]
	v_mul_f64 v[20:21], v[20:21], v[26:27]
	v_add_f64 v[30:31], v[46:47], 0
	v_add_f64 v[28:29], v[28:29], 0
	v_fmac_f64_e32 v[20:21], v[22:23], v[24:25]
	v_mul_f64 v[24:25], v[18:19], v[6:7]
	v_mul_f64 v[6:7], v[16:17], v[6:7]
	v_add_f64 v[22:23], v[30:31], v[32:33]
	v_add_f64 v[20:21], v[28:29], v[20:21]
	v_fma_f64 v[24:25], v[16:17], v[4:5], -v[24:25]
	v_fmac_f64_e32 v[6:7], v[18:19], v[4:5]
	v_mul_f64 v[16:17], v[14:15], v[10:11]
	v_mul_f64 v[10:11], v[12:13], v[10:11]
	v_add_f64 v[4:5], v[22:23], v[24:25]
	v_add_f64 v[6:7], v[20:21], v[6:7]
	v_fma_f64 v[16:17], v[12:13], v[8:9], -v[16:17]
	v_fmac_f64_e32 v[10:11], v[14:15], v[8:9]
	v_add_f64 v[4:5], v[4:5], v[16:17]
	v_add_f64 v[6:7], v[6:7], v[10:11]
	s_barrier
	ds_write_b128 v44, v[4:7]
	s_waitcnt lgkmcnt(0)
	s_barrier
	s_and_saveexec_b64 s[4:5], s[0:1]
	s_cbranch_execz .LBB123_94
; %bb.93:
	ds_read_b128 v[4:7], v43
	ds_read_b128 v[8:11], v43 offset:16
	ds_read_b128 v[12:15], v43 offset:32
	;; [unrolled: 1-line block ×3, first 2 shown]
	s_waitcnt lgkmcnt(3)
	v_add_f64 v[0:1], v[0:1], v[4:5]
	v_add_f64 v[2:3], v[2:3], v[6:7]
	s_waitcnt lgkmcnt(2)
	v_add_f64 v[0:1], v[0:1], v[8:9]
	v_add_f64 v[4:5], v[2:3], v[10:11]
	s_waitcnt lgkmcnt(1)
	v_add_f64 v[6:7], v[0:1], v[12:13]
	ds_read_b128 v[0:3], v43 offset:64
	v_add_f64 v[4:5], v[4:5], v[14:15]
	s_waitcnt lgkmcnt(1)
	v_add_f64 v[8:9], v[6:7], v[16:17]
	v_add_f64 v[12:13], v[4:5], v[18:19]
	ds_read_b128 v[4:7], v43 offset:80
	s_waitcnt lgkmcnt(1)
	v_add_f64 v[14:15], v[8:9], v[0:1]
	ds_read_b128 v[8:11], v43 offset:96
	v_add_f64 v[12:13], v[12:13], v[2:3]
	ds_read_b128 v[0:3], v43 offset:112
	s_waitcnt lgkmcnt(2)
	v_add_f64 v[4:5], v[14:15], v[4:5]
	v_add_f64 v[6:7], v[12:13], v[6:7]
	s_waitcnt lgkmcnt(1)
	v_add_f64 v[4:5], v[4:5], v[8:9]
	v_add_f64 v[6:7], v[6:7], v[10:11]
	s_waitcnt lgkmcnt(0)
	v_add_f64 v[0:1], v[4:5], v[0:1]
	v_add_f64 v[2:3], v[6:7], v[2:3]
.LBB123_94:
	s_or_b64 exec, exec, s[4:5]
	s_mul_hi_u32 s0, s34, s3
	s_mul_i32 s35, s35, s3
	s_add_i32 s0, s0, s35
	s_mul_i32 s3, s34, s3
	s_mul_i32 s0, s0, s30
	s_mul_hi_u32 s1, s3, s30
	s_add_i32 s1, s1, s0
	s_mul_i32 s0, s3, s30
	s_lshl_b64 s[0:1], s[0:1], 4
	s_add_u32 s3, s18, s0
	s_addc_u32 s4, s19, s1
	s_mul_hi_i32 s1, s34, s2
	s_mul_i32 s0, s34, s2
	s_lshl_b64 s[0:1], s[0:1], 4
	s_add_u32 s6, s3, s0
	s_addc_u32 s7, s4, s1
	s_add_i32 s8, s2, 1
	s_cmp_ge_u32 s8, s30
	v_lshlrev_b32_e32 v169, 4, v168
	s_barrier
	s_cbranch_scc1 .LBB123_152
; %bb.95:
	s_mul_i32 s0, s22, s33
	v_and_b32_e32 v8, 48, v168
	s_ashr_i32 s1, s0, 31
	v_and_b32_e32 v6, 15, v168
	v_lshlrev_b32_e32 v9, 4, v8
	s_movk_i32 s4, 0x430
	s_lshl_b64 s[0:1], s[0:1], 4
	v_lshrrev_b32_e32 v7, 4, v42
	v_mad_u32_u24 v219, v6, s4, v9
	v_or_b32_e32 v9, 0xf0, v169
	v_lshlrev_b32_e32 v216, 2, v167
	v_mov_b32_e32 v4, s1
	v_subrev_co_u32_e32 v170, vcc, s0, v36
	v_mad_u32_u24 v220, v6, s4, v9
	v_lshlrev_b32_e32 v9, 6, v7
	v_mul_i32_i24_e32 v12, 0xffffffd0, v7
	v_add_u32_e32 v7, s22, v8
	v_subb_co_u32_e32 v171, vcc, v37, v4, vcc
	v_mad_u64_u32 v[4:5], s[0:1], v216, s24, v[168:169]
	v_mad_u32_u24 v221, v6, s4, v9
	v_add3_u32 v172, v7, v6, 64
	v_lshlrev_b64 v[6:7], 4, v[38:39]
	v_ashrrev_i32_e32 v5, 31, v4
	v_sub_co_u32_e32 v174, vcc, 0, v6
	v_mov_b32_e32 v9, 0x4300
	s_nop 0
	v_subb_co_u32_e32 v175, vcc, 0, v7, vcc
	s_lshl_b64 s[22:23], s[26:27], 4
	v_lshlrev_b64 v[6:7], 4, v[4:5]
	s_lshl_b32 s14, s24, 4
	v_lshl_add_u32 v225, v167, 6, v9
	s_mul_i32 s18, s24, 3
	v_lshl_add_u64 v[8:9], s[22:23], 0, v[6:7]
	v_lshl_add_u64 v[4:5], s[26:27], 0, v[4:5]
	s_lshl_b32 s17, s33, 6
	s_ashr_i32 s15, s14, 31
	s_ashr_i32 s25, s24, 31
	s_lshl_b32 s28, s24, 1
	s_movk_i32 s4, 0x10c0
	s_ashr_i32 s19, s18, 31
	s_mul_i32 s33, s33, s8
	v_lshl_add_u64 v[8:9], v[8:9], 0, v[40:41]
	v_lshlrev_b64 v[4:5], 4, v[4:5]
	s_add_i32 s3, s30, -2
	s_ashr_i32 s29, s28, 31
	v_mad_u32_u24 v226, v167, s4, v169
	s_lshl_b64 s[4:5], s[24:25], 4
	s_lshl_b32 s8, s33, 6
	v_lshl_add_u64 v[176:177], v[8:9], 0, 8
	s_lshl_b64 s[10:11], s[14:15], 6
	s_mul_i32 s9, s24, 0x300
	v_mad_i64_i32 v[8:9], s[26:27], s14, 48, v[4:5]
	s_lshl_b64 s[18:19], s[18:19], 4
	s_lshl_b64 s[24:25], s[24:25], 5
	s_add_u32 s26, s24, s22
	s_addc_u32 s27, s25, s23
	s_mul_hi_i32 s33, s14, 48
	s_add_u32 s24, s9, s24
	s_addc_u32 s25, s33, s25
	v_lshl_add_u64 v[4:5], s[24:25], 0, v[4:5]
	s_add_u32 s24, s4, s22
	v_lshl_add_u64 v[4:5], v[4:5], 0, v[40:41]
	s_addc_u32 s25, s5, s23
	v_lshl_add_u64 v[182:183], v[4:5], 0, 8
	v_lshl_add_u64 v[4:5], s[24:25], 0, v[6:7]
	s_lshl_b64 s[28:29], s[28:29], 4
	v_lshl_add_u64 v[4:5], v[4:5], 0, v[40:41]
	s_add_u32 s34, s22, s28
	v_lshl_add_u64 v[184:185], v[4:5], 0, 8
	v_lshl_add_u64 v[4:5], v[8:9], 0, s[28:29]
	s_addc_u32 s35, s23, s29
	v_lshl_add_u64 v[186:187], v[40:41], 0, v[4:5]
	v_lshl_add_u64 v[4:5], s[34:35], 0, v[6:7]
	;; [unrolled: 1-line block ×3, first 2 shown]
	s_add_u32 s34, s22, s18
	v_lshl_add_u64 v[188:189], v[4:5], 0, 8
	v_lshl_add_u64 v[4:5], v[8:9], 0, s[4:5]
	s_addc_u32 s35, s23, s19
	v_lshl_add_u64 v[190:191], v[40:41], 0, v[4:5]
	v_lshl_add_u64 v[4:5], s[34:35], 0, v[6:7]
	s_lshl_b64 s[34:35], s[14:15], 4
	s_add_u32 s36, s22, s34
	s_addc_u32 s37, s23, s35
	s_lshl_b64 s[14:15], s[14:15], 5
	s_add_u32 s22, s14, s22
	s_addc_u32 s23, s15, s23
	v_lshl_add_u64 v[4:5], v[4:5], 0, v[40:41]
	s_add_u32 s38, s22, s18
	v_lshl_add_u64 v[192:193], v[4:5], 0, 8
	v_lshl_add_u64 v[4:5], s[36:37], 0, v[6:7]
	s_addc_u32 s39, s23, s19
	v_lshl_add_u64 v[4:5], v[4:5], 0, v[40:41]
	s_add_u32 s24, s24, s34
	v_lshl_add_u64 v[196:197], v[4:5], 0, 8
	v_lshl_add_u64 v[4:5], s[38:39], 0, v[6:7]
	s_addc_u32 s25, s25, s35
	v_lshl_add_u64 v[198:199], v[40:41], 0, v[4:5]
	v_lshl_add_u64 v[4:5], s[24:25], 0, v[6:7]
	s_add_u32 s14, s26, s14
	v_lshl_add_u64 v[4:5], v[4:5], 0, v[40:41]
	s_addc_u32 s15, s27, s15
	v_lshl_add_u64 v[200:201], v[4:5], 0, 8
	v_lshl_add_u64 v[4:5], s[14:15], 0, v[6:7]
	s_add_u32 s14, s36, s28
	;; [unrolled: 5-line block ×4, first 2 shown]
	s_addc_u32 s15, s27, s35
	s_add_u32 s4, s22, s4
	v_lshl_add_u64 v[206:207], v[40:41], 0, v[4:5]
	v_lshl_add_u64 v[4:5], s[14:15], 0, v[6:7]
	s_addc_u32 s5, s23, s5
	v_lshl_add_u64 v[208:209], v[40:41], 0, v[4:5]
	v_lshl_add_u64 v[4:5], s[4:5], 0, v[6:7]
	s_add_u32 s4, s36, s18
	s_addc_u32 s5, s37, s19
	v_lshl_add_u64 v[210:211], v[40:41], 0, v[4:5]
	v_lshl_add_u64 v[4:5], s[4:5], 0, v[6:7]
	;; [unrolled: 1-line block ×9, first 2 shown]
	v_add_u32_e32 v217, 0x4300, v169
	v_add_u32_e32 v218, 0x4700, v169
	v_cmp_gt_u32_e64 s[0:1], 64, v42
	v_or_b32_e32 v222, 1, v216
	v_or_b32_e32 v223, 2, v216
	;; [unrolled: 1-line block ×3, first 2 shown]
	v_add_u32_e32 v227, 16, v216
	v_add_u32_e32 v228, 17, v216
	;; [unrolled: 1-line block ×12, first 2 shown]
	v_lshl_add_u64 v[180:181], v[40:41], 0, v[10:11]
	v_lshl_add_u64 v[194:195], v[40:41], 0, v[8:9]
	;; [unrolled: 1-line block ×3, first 2 shown]
	v_add_u32_e32 v239, v221, v12
	v_mov_b32_e32 v4, 0
	s_cmp_eq_u32 s3, s2
	s_cselect_b32 s26, s31, 0
	s_and_saveexec_b64 s[4:5], s[12:13]
	s_cbranch_execz .LBB123_100
.LBB123_96:
	s_cmp_lg_u32 s26, 0
	s_cselect_b64 s[14:15], -1, 0
	v_cmp_le_i32_e32 vcc, s26, v168
	s_and_b64 s[14:15], s[14:15], vcc
	s_and_saveexec_b64 s[18:19], s[14:15]
	s_xor_b64 s[14:15], exec, s[18:19]
	s_cbranch_execz .LBB123_98
; %bb.97:
	v_mov_b32_e32 v5, v4
	v_mov_b32_e32 v6, v4
	;; [unrolled: 1-line block ×3, first 2 shown]
	ds_write_b128 v217, v[4:7]
.LBB123_98:
	s_andn2_saveexec_b64 s[14:15], s[14:15]
	s_cbranch_execz .LBB123_100
; %bb.99:
	s_ashr_i32 s9, s8, 31
	v_lshl_add_u64 v[6:7], s[8:9], 4, v[170:171]
	global_load_dwordx4 v[6:9], v[6:7], off
	s_waitcnt vmcnt(0)
	ds_write2_b64 v217, v[6:7], v[8:9] offset1:1
.LBB123_100:                            ; =>This Inner Loop Header: Depth=1
	s_or_b64 exec, exec, s[4:5]
	s_cmp_eq_u32 s26, 0
	s_cselect_b64 s[14:15], -1, 0
	s_cmp_lg_u32 s26, 0
	s_cselect_b64 s[18:19], -1, 0
	v_lshl_add_u64 v[18:19], v[176:177], 0, v[174:175]
	s_and_b64 vcc, exec, s[18:19]
	s_waitcnt lgkmcnt(0)
	s_barrier
	s_cbranch_vccz .LBB123_108
; %bb.101:                              ;   in Loop: Header=BB123_100 Depth=1
	v_mov_b64_e32 v[10:11], 0
	v_cmp_gt_i32_e32 vcc, s26, v216
	v_mov_b64_e32 v[6:7], v[10:11]
	v_mov_b64_e32 v[8:9], v[10:11]
	s_and_saveexec_b64 s[4:5], vcc
	s_cbranch_execz .LBB123_103
; %bb.102:                              ;   in Loop: Header=BB123_100 Depth=1
	global_load_dwordx4 v[6:9], v[18:19], off offset:-8
.LBB123_103:                            ;   in Loop: Header=BB123_100 Depth=1
	s_or_b64 exec, exec, s[4:5]
	v_cmp_gt_i32_e32 vcc, s26, v222
	v_mov_b64_e32 v[12:13], v[10:11]
	s_and_saveexec_b64 s[4:5], vcc
	s_cbranch_execz .LBB123_105
; %bb.104:                              ;   in Loop: Header=BB123_100 Depth=1
	v_lshl_add_u64 v[10:11], v[184:185], 0, v[174:175]
	global_load_dwordx4 v[10:13], v[10:11], off offset:-8
.LBB123_105:                            ;   in Loop: Header=BB123_100 Depth=1
	s_or_b64 exec, exec, s[4:5]
	v_mov_b64_e32 v[14:15], 0
	v_cmp_gt_i32_e32 vcc, s26, v223
	s_mov_b64 s[24:25], 0
	v_mov_b64_e32 v[16:17], v[14:15]
	s_and_saveexec_b64 s[4:5], vcc
	s_cbranch_execz .LBB123_107
; %bb.106:                              ;   in Loop: Header=BB123_100 Depth=1
	v_lshl_add_u64 v[14:15], v[188:189], 0, v[174:175]
	global_load_dwordx4 v[14:17], v[14:15], off offset:-8
.LBB123_107:                            ;   in Loop: Header=BB123_100 Depth=1
	s_or_b64 exec, exec, s[4:5]
	v_cmp_gt_i32_e64 s[4:5], s26, v224
	s_mov_b64 s[22:23], 0
	s_and_b64 vcc, exec, s[24:25]
	s_cbranch_vccnz .LBB123_109
	s_branch .LBB123_110
.LBB123_108:                            ;   in Loop: Header=BB123_100 Depth=1
	s_mov_b64 s[4:5], 0
                                        ; implicit-def: $sgpr22_sgpr23
                                        ; implicit-def: $vgpr16_vgpr17
                                        ; implicit-def: $vgpr12_vgpr13
                                        ; implicit-def: $vgpr8_vgpr9
	s_cbranch_execz .LBB123_110
.LBB123_109:                            ;   in Loop: Header=BB123_100 Depth=1
	s_waitcnt vmcnt(0)
	v_lshl_add_u64 v[10:11], v[184:185], 0, v[174:175]
	v_lshl_add_u64 v[14:15], v[180:181], 0, v[174:175]
	global_load_dwordx4 v[6:9], v[18:19], off offset:-8
	s_or_b64 s[4:5], s[4:5], exec
	global_load_dwordx4 v[10:13], v[10:11], off offset:-8
                                        ; implicit-def: $sgpr22_sgpr23
	s_nop 0
	global_load_dwordx4 v[14:17], v[14:15], off
.LBB123_110:                            ;   in Loop: Header=BB123_100 Depth=1
	v_mov_b64_e32 v[18:19], s[22:23]
	v_mov_b64_e32 v[20:21], s[22:23]
	s_and_saveexec_b64 s[22:23], s[4:5]
	s_cbranch_execz .LBB123_112
; %bb.111:                              ;   in Loop: Header=BB123_100 Depth=1
	v_lshl_add_u64 v[18:19], v[192:193], 0, v[174:175]
	global_load_dwordx4 v[18:21], v[18:19], off offset:-8
.LBB123_112:                            ;   in Loop: Header=BB123_100 Depth=1
	s_or_b64 exec, exec, s[22:23]
	ds_read_b128 v[34:37], v218
	ds_read_b128 v[22:25], v225
	v_cndmask_b32_e64 v5, 0, 1, s[18:19]
	v_cmp_ne_u32_e64 s[4:5], 1, v5
	s_andn2_b64 vcc, exec, s[18:19]
	s_waitcnt vmcnt(0) lgkmcnt(1)
	v_mul_f64 v[26:27], v[8:9], v[36:37]
	v_mul_f64 v[28:29], v[6:7], v[36:37]
	;; [unrolled: 1-line block ×3, first 2 shown]
	v_fma_f64 v[26:27], v[6:7], v[34:35], -v[26:27]
	v_fmac_f64_e32 v[28:29], v[8:9], v[34:35]
	v_mul_f64 v[32:33], v[10:11], v[36:37]
	ds_write_b128 v226, v[26:29]
	v_fma_f64 v[30:31], v[10:11], v[34:35], -v[30:31]
	v_fmac_f64_e32 v[32:33], v[12:13], v[34:35]
	v_mul_f64 v[38:39], v[16:17], v[36:37]
	v_mul_f64 v[40:41], v[14:15], v[36:37]
	ds_read_b128 v[26:29], v225 offset:16
	ds_write_b128 v226, v[30:33] offset:1072
	v_fma_f64 v[38:39], v[14:15], v[34:35], -v[38:39]
	v_fmac_f64_e32 v[40:41], v[16:17], v[34:35]
	v_mul_f64 v[42:43], v[20:21], v[36:37]
	v_mul_f64 v[44:45], v[18:19], v[36:37]
	ds_read_b128 v[30:33], v225 offset:32
	ds_write_b128 v226, v[38:41] offset:2144
	v_fma_f64 v[42:43], v[18:19], v[34:35], -v[42:43]
	v_fmac_f64_e32 v[44:45], v[20:21], v[34:35]
	ds_read_b128 v[38:41], v225 offset:48
	ds_write_b128 v226, v[42:45] offset:3216
	s_waitcnt lgkmcnt(0)
	s_barrier
	ds_read_b128 v[98:101], v221
	ds_read_b128 v[94:97], v221 offset:16
	ds_read_b128 v[86:89], v221 offset:32
	;; [unrolled: 1-line block ×3, first 2 shown]
	v_lshl_add_u64 v[50:51], v[196:197], 0, v[174:175]
	s_waitcnt lgkmcnt(0)
	s_barrier
	s_cbranch_vccnz .LBB123_120
; %bb.113:                              ;   in Loop: Header=BB123_100 Depth=1
	v_mov_b64_e32 v[42:43], 0
	v_cmp_gt_i32_e32 vcc, s26, v227
	v_mov_b64_e32 v[34:35], v[42:43]
	v_mov_b64_e32 v[36:37], v[42:43]
	s_and_saveexec_b64 s[18:19], vcc
	s_cbranch_execz .LBB123_115
; %bb.114:                              ;   in Loop: Header=BB123_100 Depth=1
	global_load_dwordx4 v[34:37], v[50:51], off offset:-8
.LBB123_115:                            ;   in Loop: Header=BB123_100 Depth=1
	s_or_b64 exec, exec, s[18:19]
	v_cmp_gt_i32_e32 vcc, s26, v228
	v_mov_b64_e32 v[44:45], v[42:43]
	s_and_saveexec_b64 s[18:19], vcc
	s_cbranch_execz .LBB123_117
; %bb.116:                              ;   in Loop: Header=BB123_100 Depth=1
	v_lshl_add_u64 v[42:43], v[200:201], 0, v[174:175]
	global_load_dwordx4 v[42:45], v[42:43], off offset:-8
.LBB123_117:                            ;   in Loop: Header=BB123_100 Depth=1
	s_or_b64 exec, exec, s[18:19]
	v_mov_b64_e32 v[46:47], 0
	v_cmp_gt_i32_e32 vcc, s26, v229
	s_mov_b64 s[24:25], 0
	v_mov_b64_e32 v[48:49], v[46:47]
	s_and_saveexec_b64 s[18:19], vcc
	s_cbranch_execz .LBB123_119
; %bb.118:                              ;   in Loop: Header=BB123_100 Depth=1
	v_lshl_add_u64 v[46:47], v[204:205], 0, v[174:175]
	global_load_dwordx4 v[46:49], v[46:47], off offset:-8
.LBB123_119:                            ;   in Loop: Header=BB123_100 Depth=1
	s_or_b64 exec, exec, s[18:19]
	v_cmp_gt_i32_e64 s[18:19], s26, v230
	s_mov_b64 s[22:23], 0
	s_and_b64 vcc, exec, s[24:25]
	s_cbranch_vccnz .LBB123_121
	s_branch .LBB123_122
.LBB123_120:                            ;   in Loop: Header=BB123_100 Depth=1
	s_mov_b64 s[18:19], 0
                                        ; implicit-def: $sgpr22_sgpr23
                                        ; implicit-def: $vgpr48_vgpr49
                                        ; implicit-def: $vgpr44_vgpr45
                                        ; implicit-def: $vgpr36_vgpr37
	s_cbranch_execz .LBB123_122
.LBB123_121:                            ;   in Loop: Header=BB123_100 Depth=1
	s_waitcnt vmcnt(0)
	v_lshl_add_u64 v[42:43], v[200:201], 0, v[174:175]
	v_lshl_add_u64 v[46:47], v[208:209], 0, v[174:175]
	global_load_dwordx4 v[34:37], v[50:51], off offset:-8
	s_or_b64 s[18:19], s[18:19], exec
	global_load_dwordx4 v[42:45], v[42:43], off offset:-8
                                        ; implicit-def: $sgpr22_sgpr23
	s_nop 0
	global_load_dwordx4 v[46:49], v[46:47], off
.LBB123_122:                            ;   in Loop: Header=BB123_100 Depth=1
	v_mov_b64_e32 v[50:51], s[22:23]
	v_mov_b64_e32 v[52:53], s[22:23]
	s_and_saveexec_b64 s[22:23], s[18:19]
	s_cbranch_execz .LBB123_124
; %bb.123:                              ;   in Loop: Header=BB123_100 Depth=1
	v_lshl_add_u64 v[50:51], v[212:213], 0, v[174:175]
	global_load_dwordx4 v[50:53], v[50:51], off offset:-8
.LBB123_124:                            ;   in Loop: Header=BB123_100 Depth=1
	s_or_b64 exec, exec, s[22:23]
	ds_read_b128 v[66:69], v218
	ds_read_b128 v[54:57], v225 offset:256
	s_and_b64 vcc, exec, s[4:5]
	v_lshl_add_u64 v[90:91], v[214:215], 0, v[174:175]
	s_waitcnt vmcnt(0) lgkmcnt(1)
	v_mul_f64 v[58:59], v[36:37], v[68:69]
	v_mul_f64 v[60:61], v[34:35], v[68:69]
	v_mul_f64 v[62:63], v[44:45], v[68:69]
	v_fma_f64 v[58:59], v[34:35], v[66:67], -v[58:59]
	v_fmac_f64_e32 v[60:61], v[36:37], v[66:67]
	v_mul_f64 v[64:65], v[42:43], v[68:69]
	ds_write_b128 v226, v[58:61]
	v_fma_f64 v[62:63], v[42:43], v[66:67], -v[62:63]
	v_fmac_f64_e32 v[64:65], v[44:45], v[66:67]
	v_mul_f64 v[70:71], v[48:49], v[68:69]
	v_mul_f64 v[72:73], v[46:47], v[68:69]
	ds_read_b128 v[58:61], v225 offset:272
	ds_write_b128 v226, v[62:65] offset:1072
	v_fma_f64 v[70:71], v[46:47], v[66:67], -v[70:71]
	v_fmac_f64_e32 v[72:73], v[48:49], v[66:67]
	ds_read_b128 v[62:65], v225 offset:288
	ds_write_b128 v226, v[70:73] offset:2144
	v_mul_f64 v[70:71], v[52:53], v[68:69]
	v_mul_f64 v[72:73], v[50:51], v[68:69]
	v_fma_f64 v[70:71], v[50:51], v[66:67], -v[70:71]
	v_fmac_f64_e32 v[72:73], v[52:53], v[66:67]
	ds_read_b128 v[74:77], v225 offset:304
	ds_write_b128 v226, v[70:73] offset:3216
	s_waitcnt lgkmcnt(0)
	s_barrier
	ds_read_b128 v[146:149], v221
	ds_read_b128 v[142:145], v221 offset:16
	ds_read_b128 v[138:141], v221 offset:32
	ds_read_b128 v[134:137], v221 offset:48
	s_waitcnt lgkmcnt(0)
	s_barrier
	s_cbranch_vccnz .LBB123_132
; %bb.125:                              ;   in Loop: Header=BB123_100 Depth=1
	v_mov_b64_e32 v[70:71], 0
	v_cmp_gt_i32_e32 vcc, s26, v231
	v_mov_b64_e32 v[66:67], v[70:71]
	v_mov_b64_e32 v[68:69], v[70:71]
	s_and_saveexec_b64 s[18:19], vcc
	s_cbranch_execz .LBB123_127
; %bb.126:                              ;   in Loop: Header=BB123_100 Depth=1
	global_load_dwordx4 v[66:69], v[90:91], off offset:-8
.LBB123_127:                            ;   in Loop: Header=BB123_100 Depth=1
	s_or_b64 exec, exec, s[18:19]
	v_cmp_gt_i32_e32 vcc, s26, v232
	v_mov_b64_e32 v[72:73], v[70:71]
	s_and_saveexec_b64 s[18:19], vcc
	s_cbranch_execz .LBB123_129
; %bb.128:                              ;   in Loop: Header=BB123_100 Depth=1
	v_lshl_add_u64 v[70:71], v[210:211], 0, v[174:175]
	global_load_dwordx4 v[70:73], v[70:71], off
.LBB123_129:                            ;   in Loop: Header=BB123_100 Depth=1
	s_or_b64 exec, exec, s[18:19]
	v_mov_b64_e32 v[78:79], 0
	v_cmp_gt_i32_e32 vcc, s26, v233
	s_mov_b64 s[24:25], 0
	v_mov_b64_e32 v[80:81], v[78:79]
	s_and_saveexec_b64 s[18:19], vcc
	s_cbranch_execz .LBB123_131
; %bb.130:                              ;   in Loop: Header=BB123_100 Depth=1
	v_lshl_add_u64 v[78:79], v[206:207], 0, v[174:175]
	global_load_dwordx4 v[78:81], v[78:79], off
.LBB123_131:                            ;   in Loop: Header=BB123_100 Depth=1
	s_or_b64 exec, exec, s[18:19]
	v_cmp_gt_i32_e64 s[18:19], s26, v234
	s_mov_b64 s[22:23], 0
	s_and_b64 vcc, exec, s[24:25]
	s_cbranch_vccnz .LBB123_133
	s_branch .LBB123_134
.LBB123_132:                            ;   in Loop: Header=BB123_100 Depth=1
	s_mov_b64 s[18:19], 0
                                        ; implicit-def: $sgpr22_sgpr23
                                        ; implicit-def: $vgpr80_vgpr81
                                        ; implicit-def: $vgpr72_vgpr73
                                        ; implicit-def: $vgpr68_vgpr69
	s_cbranch_execz .LBB123_134
.LBB123_133:                            ;   in Loop: Header=BB123_100 Depth=1
	s_waitcnt vmcnt(0)
	v_lshl_add_u64 v[70:71], v[210:211], 0, v[174:175]
	v_lshl_add_u64 v[78:79], v[202:203], 0, v[174:175]
	global_load_dwordx4 v[66:69], v[90:91], off offset:-8
	s_or_b64 s[18:19], s[18:19], exec
	global_load_dwordx4 v[70:73], v[70:71], off
                                        ; implicit-def: $sgpr22_sgpr23
	s_nop 0
	global_load_dwordx4 v[78:81], v[78:79], off offset:-8
.LBB123_134:                            ;   in Loop: Header=BB123_100 Depth=1
	v_mov_b64_e32 v[90:91], s[22:23]
	v_mov_b64_e32 v[92:93], s[22:23]
	s_and_saveexec_b64 s[22:23], s[18:19]
	s_cbranch_execz .LBB123_136
; %bb.135:                              ;   in Loop: Header=BB123_100 Depth=1
	v_lshl_add_u64 v[90:91], v[198:199], 0, v[174:175]
	global_load_dwordx4 v[90:93], v[90:91], off
.LBB123_136:                            ;   in Loop: Header=BB123_100 Depth=1
	s_or_b64 exec, exec, s[22:23]
	ds_read_b128 v[114:117], v218
	ds_read_b128 v[102:105], v225 offset:512
	s_and_b64 vcc, exec, s[4:5]
	v_lshl_add_u64 v[130:131], v[194:195], 0, v[174:175]
	s_waitcnt vmcnt(0) lgkmcnt(1)
	v_mul_f64 v[106:107], v[68:69], v[116:117]
	v_mul_f64 v[108:109], v[66:67], v[116:117]
	;; [unrolled: 1-line block ×3, first 2 shown]
	v_fma_f64 v[106:107], v[66:67], v[114:115], -v[106:107]
	v_fmac_f64_e32 v[108:109], v[68:69], v[114:115]
	v_mul_f64 v[112:113], v[70:71], v[116:117]
	ds_write_b128 v226, v[106:109]
	v_fma_f64 v[110:111], v[70:71], v[114:115], -v[110:111]
	v_fmac_f64_e32 v[112:113], v[72:73], v[114:115]
	v_mul_f64 v[118:119], v[80:81], v[116:117]
	v_mul_f64 v[120:121], v[78:79], v[116:117]
	ds_read_b128 v[106:109], v225 offset:528
	ds_write_b128 v226, v[110:113] offset:1072
	v_fma_f64 v[118:119], v[78:79], v[114:115], -v[118:119]
	v_fmac_f64_e32 v[120:121], v[80:81], v[114:115]
	v_mul_f64 v[122:123], v[92:93], v[116:117]
	v_mul_f64 v[124:125], v[90:91], v[116:117]
	ds_read_b128 v[110:113], v225 offset:544
	ds_write_b128 v226, v[118:121] offset:2144
	v_fma_f64 v[122:123], v[90:91], v[114:115], -v[122:123]
	v_fmac_f64_e32 v[124:125], v[92:93], v[114:115]
	ds_read_b128 v[118:121], v225 offset:560
	ds_write_b128 v226, v[122:125] offset:3216
	s_waitcnt lgkmcnt(0)
	s_barrier
	ds_read_b128 v[162:165], v221
	ds_read_b128 v[158:161], v221 offset:16
	ds_read_b128 v[154:157], v221 offset:32
	;; [unrolled: 1-line block ×3, first 2 shown]
	s_waitcnt lgkmcnt(0)
	s_barrier
	s_cbranch_vccnz .LBB123_144
; %bb.137:                              ;   in Loop: Header=BB123_100 Depth=1
	v_mov_b64_e32 v[122:123], 0
	v_cmp_gt_i32_e32 vcc, s26, v235
	v_mov_b64_e32 v[114:115], v[122:123]
	v_mov_b64_e32 v[116:117], v[122:123]
	s_and_saveexec_b64 s[4:5], vcc
	s_cbranch_execz .LBB123_139
; %bb.138:                              ;   in Loop: Header=BB123_100 Depth=1
	global_load_dwordx4 v[114:117], v[130:131], off
.LBB123_139:                            ;   in Loop: Header=BB123_100 Depth=1
	s_or_b64 exec, exec, s[4:5]
	v_cmp_gt_i32_e32 vcc, s26, v236
	v_mov_b64_e32 v[124:125], v[122:123]
	s_and_saveexec_b64 s[4:5], vcc
	s_cbranch_execz .LBB123_141
; %bb.140:                              ;   in Loop: Header=BB123_100 Depth=1
	v_lshl_add_u64 v[122:123], v[190:191], 0, v[174:175]
	global_load_dwordx4 v[122:125], v[122:123], off
.LBB123_141:                            ;   in Loop: Header=BB123_100 Depth=1
	s_or_b64 exec, exec, s[4:5]
	v_mov_b64_e32 v[126:127], 0
	v_cmp_gt_i32_e32 vcc, s26, v237
	s_mov_b64 s[22:23], 0
	v_mov_b64_e32 v[128:129], v[126:127]
	s_and_saveexec_b64 s[4:5], vcc
	s_cbranch_execz .LBB123_143
; %bb.142:                              ;   in Loop: Header=BB123_100 Depth=1
	v_lshl_add_u64 v[126:127], v[186:187], 0, v[174:175]
	global_load_dwordx4 v[126:129], v[126:127], off
.LBB123_143:                            ;   in Loop: Header=BB123_100 Depth=1
	s_or_b64 exec, exec, s[4:5]
	v_cmp_gt_i32_e64 s[4:5], s26, v238
	s_mov_b64 s[18:19], 0
	s_and_b64 vcc, exec, s[22:23]
	s_cbranch_vccnz .LBB123_145
	s_branch .LBB123_146
.LBB123_144:                            ;   in Loop: Header=BB123_100 Depth=1
	s_mov_b64 s[4:5], 0
                                        ; implicit-def: $sgpr18_sgpr19
                                        ; implicit-def: $vgpr128_vgpr129
                                        ; implicit-def: $vgpr124_vgpr125
                                        ; implicit-def: $vgpr116_vgpr117
	s_cbranch_execz .LBB123_146
.LBB123_145:                            ;   in Loop: Header=BB123_100 Depth=1
	s_waitcnt vmcnt(0)
	v_lshl_add_u64 v[122:123], v[190:191], 0, v[174:175]
	v_lshl_add_u64 v[126:127], v[182:183], 0, v[174:175]
	global_load_dwordx4 v[114:117], v[130:131], off
	s_or_b64 s[4:5], s[4:5], exec
	global_load_dwordx4 v[122:125], v[122:123], off
                                        ; implicit-def: $sgpr18_sgpr19
	s_nop 0
	global_load_dwordx4 v[126:129], v[126:127], off offset:-8
.LBB123_146:                            ;   in Loop: Header=BB123_100 Depth=1
	v_mov_b64_e32 v[130:131], s[18:19]
	v_mov_b64_e32 v[132:133], s[18:19]
	s_and_saveexec_b64 s[18:19], s[4:5]
	s_cbranch_execz .LBB123_148
; %bb.147:                              ;   in Loop: Header=BB123_100 Depth=1
	v_lshl_add_u64 v[130:131], v[178:179], 0, v[174:175]
	global_load_dwordx4 v[130:133], v[130:131], off
.LBB123_148:                            ;   in Loop: Header=BB123_100 Depth=1
	s_or_b64 exec, exec, s[18:19]
	v_add_f64 v[146:147], v[146:147], 0
	v_add_f64 v[148:149], v[148:149], 0
	;; [unrolled: 1-line block ×6, first 2 shown]
	ds_read_b128 v[142:145], v218
	v_add_f64 v[162:163], v[162:163], 0
	v_add_f64 v[98:99], v[98:99], 0
	;; [unrolled: 1-line block ×11, first 2 shown]
	ds_read_b128 v[86:89], v225 offset:768
	s_waitcnt vmcnt(0) lgkmcnt(1)
	v_mul_f64 v[94:95], v[116:117], v[144:145]
	v_mul_f64 v[96:97], v[114:115], v[144:145]
	v_fma_f64 v[94:95], v[114:115], v[142:143], -v[94:95]
	v_fmac_f64_e32 v[96:97], v[116:117], v[142:143]
	v_mul_f64 v[98:99], v[124:125], v[144:145]
	v_mul_f64 v[100:101], v[122:123], v[144:145]
	v_add_f64 v[138:139], v[138:139], v[134:135]
	v_add_f64 v[140:141], v[140:141], v[136:137]
	ds_write_b128 v226, v[94:97]
	v_fma_f64 v[98:99], v[122:123], v[142:143], -v[98:99]
	v_fmac_f64_e32 v[100:101], v[124:125], v[142:143]
	v_mul_f64 v[134:135], v[128:129], v[144:145]
	v_mul_f64 v[136:137], v[126:127], v[144:145]
	ds_read_b128 v[94:97], v225 offset:784
	ds_write_b128 v226, v[98:101] offset:1072
	v_fma_f64 v[134:135], v[126:127], v[142:143], -v[134:135]
	v_fmac_f64_e32 v[136:137], v[128:129], v[142:143]
	v_mul_f64 v[146:147], v[132:133], v[144:145]
	v_mul_f64 v[148:149], v[130:131], v[144:145]
	ds_read_b128 v[98:101], v225 offset:800
	ds_write_b128 v226, v[134:137] offset:2144
	v_fma_f64 v[146:147], v[130:131], v[142:143], -v[146:147]
	v_fmac_f64_e32 v[148:149], v[132:133], v[142:143]
	v_add_f64 v[164:165], v[164:165], 0
	ds_read_b128 v[134:137], v225 offset:816
	ds_write_b128 v226, v[146:149] offset:3216
	s_waitcnt lgkmcnt(0)
	s_barrier
	ds_read_b128 v[142:145], v221
	v_add_f64 v[160:161], v[164:165], v[160:161]
	v_add_f64 v[156:157], v[160:161], v[156:157]
	;; [unrolled: 1-line block ×4, first 2 shown]
	ds_read_b128 v[146:149], v221 offset:16
	ds_read_b128 v[154:157], v221 offset:32
	;; [unrolled: 1-line block ×3, first 2 shown]
	s_waitcnt lgkmcnt(3)
	v_add_f64 v[142:143], v[142:143], 0
	v_add_f64 v[144:145], v[144:145], 0
	v_cmp_gt_i32_e32 vcc, s26, v168
	s_waitcnt lgkmcnt(2)
	v_add_f64 v[142:143], v[142:143], v[146:147]
	v_add_f64 v[144:145], v[144:145], v[148:149]
	s_or_b64 s[4:5], s[14:15], vcc
	s_waitcnt lgkmcnt(1)
	v_add_f64 v[142:143], v[142:143], v[154:155]
	v_add_f64 v[144:145], v[144:145], v[156:157]
	s_and_b64 s[14:15], s[0:1], s[4:5]
	s_waitcnt lgkmcnt(0)
	v_add_f64 v[142:143], v[142:143], v[158:159]
	v_add_f64 v[144:145], v[144:145], v[160:161]
	s_barrier
	ds_write_b128 v239, v[82:85]
	ds_write_b128 v239, v[138:141] offset:256
	ds_write_b128 v239, v[150:153] offset:512
	;; [unrolled: 1-line block ×3, first 2 shown]
	s_waitcnt lgkmcnt(0)
	s_barrier
	s_and_saveexec_b64 s[4:5], s[14:15]
	s_cbranch_execz .LBB123_150
; %bb.149:                              ;   in Loop: Header=BB123_100 Depth=1
	ds_read_b128 v[82:85], v219
	ds_read_b128 v[138:141], v219 offset:16
	ds_read_b128 v[142:145], v219 offset:32
	;; [unrolled: 1-line block ×3, first 2 shown]
	v_ashrrev_i32_e32 v173, 31, v172
	s_waitcnt lgkmcnt(2)
	v_add_f64 v[82:83], v[138:139], v[82:83]
	v_add_f64 v[138:139], v[140:141], v[84:85]
	s_waitcnt lgkmcnt(1)
	v_add_f64 v[140:141], v[82:83], v[142:143]
	ds_read_b128 v[82:85], v219 offset:64
	v_add_f64 v[142:143], v[138:139], v[144:145]
	s_waitcnt lgkmcnt(1)
	v_add_f64 v[144:145], v[140:141], v[146:147]
	ds_read_b128 v[138:141], v219 offset:80
	;; [unrolled: 4-line block ×9, first 2 shown]
	v_add_f64 v[84:85], v[146:147], v[84:85]
	s_waitcnt lgkmcnt(1)
	v_add_f64 v[138:139], v[82:83], v[138:139]
	v_add_f64 v[146:147], v[84:85], v[140:141]
	ds_read_b128 v[82:85], v219 offset:208
	s_waitcnt lgkmcnt(1)
	v_add_f64 v[148:149], v[138:139], v[142:143]
	ds_read_b128 v[138:141], v219 offset:224
	v_add_f64 v[146:147], v[146:147], v[144:145]
	ds_read_b128 v[142:145], v220
	s_waitcnt lgkmcnt(2)
	v_add_f64 v[82:83], v[148:149], v[82:83]
	v_add_f64 v[84:85], v[146:147], v[84:85]
	s_waitcnt lgkmcnt(1)
	v_add_f64 v[82:83], v[82:83], v[138:139]
	v_add_f64 v[84:85], v[84:85], v[140:141]
	;; [unrolled: 3-line block ×3, first 2 shown]
	v_lshl_add_u64 v[138:139], v[172:173], 4, s[6:7]
	global_store_dwordx4 v[138:139], v[82:85], off
.LBB123_150:                            ;   in Loop: Header=BB123_100 Depth=1
	s_or_b64 exec, exec, s[4:5]
	s_nop 0
	v_mul_f64 v[82:83], v[8:9], v[24:25]
	v_fma_f64 v[82:83], v[6:7], v[22:23], -v[82:83]
	v_mul_f64 v[6:7], v[6:7], v[24:25]
	v_mul_f64 v[24:25], v[12:13], v[28:29]
	v_add_f64 v[0:1], v[0:1], v[82:83]
	v_fma_f64 v[24:25], v[10:11], v[26:27], -v[24:25]
	v_add_f64 v[0:1], v[0:1], v[24:25]
	v_mul_f64 v[24:25], v[16:17], v[32:33]
	v_fma_f64 v[24:25], v[14:15], v[30:31], -v[24:25]
	v_add_f64 v[0:1], v[0:1], v[24:25]
	v_mul_f64 v[24:25], v[20:21], v[40:41]
	v_fmac_f64_e32 v[6:7], v[8:9], v[22:23]
	v_fma_f64 v[24:25], v[18:19], v[38:39], -v[24:25]
	v_add_f64 v[2:3], v[2:3], v[6:7]
	v_mul_f64 v[6:7], v[36:37], v[56:57]
	v_add_f64 v[0:1], v[0:1], v[24:25]
	v_fma_f64 v[6:7], v[34:35], v[54:55], -v[6:7]
	v_add_f64 v[0:1], v[0:1], v[6:7]
	v_mul_f64 v[6:7], v[44:45], v[60:61]
	v_fma_f64 v[6:7], v[42:43], v[58:59], -v[6:7]
	v_add_f64 v[0:1], v[0:1], v[6:7]
	v_mul_f64 v[6:7], v[48:49], v[64:65]
	;; [unrolled: 3-line block ×3, first 2 shown]
	v_fma_f64 v[6:7], v[50:51], v[74:75], -v[6:7]
	v_mul_f64 v[10:11], v[10:11], v[28:29]
	v_add_f64 v[0:1], v[0:1], v[6:7]
	v_mul_f64 v[6:7], v[68:69], v[104:105]
	v_mul_f64 v[14:15], v[14:15], v[32:33]
	v_fmac_f64_e32 v[10:11], v[12:13], v[26:27]
	v_fma_f64 v[6:7], v[66:67], v[102:103], -v[6:7]
	v_mul_f64 v[18:19], v[18:19], v[40:41]
	v_add_f64 v[2:3], v[2:3], v[10:11]
	v_fmac_f64_e32 v[14:15], v[16:17], v[30:31]
	v_add_f64 v[0:1], v[0:1], v[6:7]
	v_mul_f64 v[6:7], v[72:73], v[108:109]
	v_add_f64 v[2:3], v[2:3], v[14:15]
	v_fmac_f64_e32 v[18:19], v[20:21], v[38:39]
	v_mul_f64 v[8:9], v[34:35], v[56:57]
	v_fma_f64 v[6:7], v[70:71], v[106:107], -v[6:7]
	v_add_f64 v[2:3], v[2:3], v[18:19]
	v_mul_f64 v[10:11], v[42:43], v[60:61]
	v_fmac_f64_e32 v[8:9], v[36:37], v[54:55]
	v_add_f64 v[0:1], v[0:1], v[6:7]
	v_mul_f64 v[6:7], v[80:81], v[112:113]
	v_mul_f64 v[12:13], v[46:47], v[64:65]
	v_add_f64 v[2:3], v[2:3], v[8:9]
	v_fmac_f64_e32 v[10:11], v[44:45], v[58:59]
	v_fma_f64 v[6:7], v[78:79], v[110:111], -v[6:7]
	v_mul_f64 v[14:15], v[50:51], v[76:77]
	v_add_f64 v[2:3], v[2:3], v[10:11]
	v_fmac_f64_e32 v[12:13], v[48:49], v[62:63]
	v_add_f64 v[0:1], v[0:1], v[6:7]
	v_mul_f64 v[6:7], v[92:93], v[120:121]
	v_add_f64 v[2:3], v[2:3], v[12:13]
	v_fmac_f64_e32 v[14:15], v[52:53], v[74:75]
	v_mul_f64 v[8:9], v[66:67], v[104:105]
	v_fma_f64 v[6:7], v[90:91], v[118:119], -v[6:7]
	v_add_f64 v[2:3], v[2:3], v[14:15]
	v_mul_f64 v[10:11], v[70:71], v[108:109]
	v_add_f64 v[0:1], v[0:1], v[6:7]
	v_fmac_f64_e32 v[8:9], v[68:69], v[102:103]
	v_mul_f64 v[6:7], v[116:117], v[88:89]
	v_mul_f64 v[12:13], v[78:79], v[112:113]
	v_add_f64 v[2:3], v[2:3], v[8:9]
	v_fmac_f64_e32 v[10:11], v[72:73], v[106:107]
	v_fma_f64 v[6:7], v[114:115], v[86:87], -v[6:7]
	v_mul_f64 v[14:15], v[90:91], v[120:121]
	v_add_f64 v[2:3], v[2:3], v[10:11]
	v_fmac_f64_e32 v[12:13], v[80:81], v[110:111]
	v_add_f64 v[0:1], v[0:1], v[6:7]
	v_mul_f64 v[6:7], v[124:125], v[96:97]
	v_add_f64 v[2:3], v[2:3], v[12:13]
	v_fmac_f64_e32 v[14:15], v[92:93], v[118:119]
	v_mul_f64 v[8:9], v[114:115], v[88:89]
	v_fma_f64 v[6:7], v[122:123], v[94:95], -v[6:7]
	v_add_f64 v[2:3], v[2:3], v[14:15]
	v_mul_f64 v[10:11], v[122:123], v[96:97]
	v_add_f64 v[0:1], v[0:1], v[6:7]
	v_mul_f64 v[6:7], v[128:129], v[100:101]
	v_fmac_f64_e32 v[8:9], v[116:117], v[86:87]
	v_fma_f64 v[6:7], v[126:127], v[98:99], -v[6:7]
	v_mul_f64 v[12:13], v[126:127], v[100:101]
	v_fmac_f64_e32 v[10:11], v[124:125], v[94:95]
	v_add_f64 v[2:3], v[2:3], v[8:9]
	v_add_f64 v[0:1], v[0:1], v[6:7]
	v_mul_f64 v[6:7], v[132:133], v[136:137]
	v_mul_f64 v[14:15], v[130:131], v[136:137]
	v_fmac_f64_e32 v[12:13], v[128:129], v[98:99]
	v_add_f64 v[2:3], v[2:3], v[10:11]
	v_fma_f64 v[6:7], v[130:131], v[134:135], -v[6:7]
	v_fmac_f64_e32 v[14:15], v[132:133], v[134:135]
	v_add_f64 v[2:3], v[2:3], v[12:13]
	s_add_i32 s4, s2, 1
	s_add_i32 s8, s8, s17
	;; [unrolled: 1-line block ×3, first 2 shown]
	v_add_f64 v[0:1], v[0:1], v[6:7]
	v_add_f64 v[2:3], v[2:3], v[14:15]
	v_add_u32_e32 v172, 64, v172
	v_lshl_add_u64 v[176:177], v[176:177], 0, s[10:11]
	v_lshl_add_u64 v[178:179], v[178:179], 0, s[10:11]
	;; [unrolled: 1-line block ×19, first 2 shown]
	s_cmp_ge_u32 s2, s30
	v_lshl_add_u64 v[214:215], v[214:215], 0, s[10:11]
	s_barrier
	s_cbranch_scc1 .LBB123_152
; %bb.151:                              ;   in Loop: Header=BB123_100 Depth=1
	s_mov_b32 s2, s4
	s_cmp_eq_u32 s3, s2
	s_cselect_b32 s26, s31, 0
	s_and_saveexec_b64 s[4:5], s[12:13]
	s_cbranch_execnz .LBB123_96
	s_branch .LBB123_100
.LBB123_152:
	s_movk_i32 s0, 0x430
	v_cmp_gt_i32_e32 vcc, s16, v168
	v_mad_u32_u24 v4, v167, s0, v169
	s_or_b64 s[0:1], s[20:21], vcc
	s_and_b64 s[0:1], s[12:13], s[0:1]
	ds_write_b128 v4, v[0:3]
	s_waitcnt lgkmcnt(0)
	s_barrier
	s_and_saveexec_b64 s[2:3], s[0:1]
	s_cbranch_execz .LBB123_154
; %bb.153:
	ds_read_b128 v[0:3], v169 offset:1072
	ds_read_b128 v[4:7], v169
	ds_read_b128 v[8:11], v169 offset:2144
	ds_read_b128 v[12:15], v169 offset:3216
	v_ashrrev_i32_e32 v167, 31, v166
	s_waitcnt lgkmcnt(2)
	v_add_f64 v[0:1], v[0:1], v[4:5]
	v_add_f64 v[2:3], v[2:3], v[6:7]
	s_waitcnt lgkmcnt(1)
	v_add_f64 v[0:1], v[0:1], v[8:9]
	v_add_f64 v[2:3], v[2:3], v[10:11]
	;; [unrolled: 3-line block ×3, first 2 shown]
	v_lshl_add_u64 v[4:5], v[166:167], 4, s[6:7]
	global_store_dwordx4 v[4:5], v[0:3], off
.LBB123_154:
	s_endpgm
	.section	.rodata,"a",@progbits
	.p2align	6, 0x0
	.amdhsa_kernel _ZL26rocblas_hemvn_kernel_upperILb0ELi64ELi4ELi33ELi32ELi16EiPK19rocblas_complex_numIdES3_PS1_EviT6_lT7_lT5_lS6_lS7_lS5_lT8_i
		.amdhsa_group_segment_fixed_size 19200
		.amdhsa_private_segment_fixed_size 0
		.amdhsa_kernarg_size 376
		.amdhsa_user_sgpr_count 2
		.amdhsa_user_sgpr_dispatch_ptr 0
		.amdhsa_user_sgpr_queue_ptr 0
		.amdhsa_user_sgpr_kernarg_segment_ptr 1
		.amdhsa_user_sgpr_dispatch_id 0
		.amdhsa_user_sgpr_kernarg_preload_length 0
		.amdhsa_user_sgpr_kernarg_preload_offset 0
		.amdhsa_user_sgpr_private_segment_size 0
		.amdhsa_uses_dynamic_stack 0
		.amdhsa_enable_private_segment 0
		.amdhsa_system_sgpr_workgroup_id_x 1
		.amdhsa_system_sgpr_workgroup_id_y 0
		.amdhsa_system_sgpr_workgroup_id_z 1
		.amdhsa_system_sgpr_workgroup_info 0
		.amdhsa_system_vgpr_workitem_id 1
		.amdhsa_next_free_vgpr 240
		.amdhsa_next_free_sgpr 40
		.amdhsa_accum_offset 240
		.amdhsa_reserve_vcc 1
		.amdhsa_float_round_mode_32 0
		.amdhsa_float_round_mode_16_64 0
		.amdhsa_float_denorm_mode_32 3
		.amdhsa_float_denorm_mode_16_64 3
		.amdhsa_dx10_clamp 1
		.amdhsa_ieee_mode 1
		.amdhsa_fp16_overflow 0
		.amdhsa_tg_split 0
		.amdhsa_exception_fp_ieee_invalid_op 0
		.amdhsa_exception_fp_denorm_src 0
		.amdhsa_exception_fp_ieee_div_zero 0
		.amdhsa_exception_fp_ieee_overflow 0
		.amdhsa_exception_fp_ieee_underflow 0
		.amdhsa_exception_fp_ieee_inexact 0
		.amdhsa_exception_int_div_zero 0
	.end_amdhsa_kernel
	.section	.text._ZL26rocblas_hemvn_kernel_upperILb0ELi64ELi4ELi33ELi32ELi16EiPK19rocblas_complex_numIdES3_PS1_EviT6_lT7_lT5_lS6_lS7_lS5_lT8_i,"axG",@progbits,_ZL26rocblas_hemvn_kernel_upperILb0ELi64ELi4ELi33ELi32ELi16EiPK19rocblas_complex_numIdES3_PS1_EviT6_lT7_lT5_lS6_lS7_lS5_lT8_i,comdat
.Lfunc_end123:
	.size	_ZL26rocblas_hemvn_kernel_upperILb0ELi64ELi4ELi33ELi32ELi16EiPK19rocblas_complex_numIdES3_PS1_EviT6_lT7_lT5_lS6_lS7_lS5_lT8_i, .Lfunc_end123-_ZL26rocblas_hemvn_kernel_upperILb0ELi64ELi4ELi33ELi32ELi16EiPK19rocblas_complex_numIdES3_PS1_EviT6_lT7_lT5_lS6_lS7_lS5_lT8_i
                                        ; -- End function
	.section	.AMDGPU.csdata,"",@progbits
; Kernel info:
; codeLenInByte = 10348
; NumSgprs: 46
; NumVgprs: 240
; NumAgprs: 0
; TotalNumVgprs: 240
; ScratchSize: 0
; MemoryBound: 1
; FloatMode: 240
; IeeeMode: 1
; LDSByteSize: 19200 bytes/workgroup (compile time only)
; SGPRBlocks: 5
; VGPRBlocks: 29
; NumSGPRsForWavesPerEU: 46
; NumVGPRsForWavesPerEU: 240
; AccumOffset: 240
; Occupancy: 2
; WaveLimiterHint : 1
; COMPUTE_PGM_RSRC2:SCRATCH_EN: 0
; COMPUTE_PGM_RSRC2:USER_SGPR: 2
; COMPUTE_PGM_RSRC2:TRAP_HANDLER: 0
; COMPUTE_PGM_RSRC2:TGID_X_EN: 1
; COMPUTE_PGM_RSRC2:TGID_Y_EN: 0
; COMPUTE_PGM_RSRC2:TGID_Z_EN: 1
; COMPUTE_PGM_RSRC2:TIDIG_COMP_CNT: 1
; COMPUTE_PGM_RSRC3_GFX90A:ACCUM_OFFSET: 59
; COMPUTE_PGM_RSRC3_GFX90A:TG_SPLIT: 0
	.section	.text._ZL26rocblas_hemvn_kernel_upperILb0ELi64ELi4ELi33ELi32ELi16El19rocblas_complex_numIdEPKS1_PS1_EviT6_lT7_lT5_lS6_lS7_lS5_lT8_i,"axG",@progbits,_ZL26rocblas_hemvn_kernel_upperILb0ELi64ELi4ELi33ELi32ELi16El19rocblas_complex_numIdEPKS1_PS1_EviT6_lT7_lT5_lS6_lS7_lS5_lT8_i,comdat
	.globl	_ZL26rocblas_hemvn_kernel_upperILb0ELi64ELi4ELi33ELi32ELi16El19rocblas_complex_numIdEPKS1_PS1_EviT6_lT7_lT5_lS6_lS7_lS5_lT8_i ; -- Begin function _ZL26rocblas_hemvn_kernel_upperILb0ELi64ELi4ELi33ELi32ELi16El19rocblas_complex_numIdEPKS1_PS1_EviT6_lT7_lT5_lS6_lS7_lS5_lT8_i
	.p2align	8
	.type	_ZL26rocblas_hemvn_kernel_upperILb0ELi64ELi4ELi33ELi32ELi16El19rocblas_complex_numIdEPKS1_PS1_EviT6_lT7_lT5_lS6_lS7_lS5_lT8_i,@function
_ZL26rocblas_hemvn_kernel_upperILb0ELi64ELi4ELi33ELi32ELi16El19rocblas_complex_numIdEPKS1_PS1_EviT6_lT7_lT5_lS6_lS7_lS5_lT8_i: ; @_ZL26rocblas_hemvn_kernel_upperILb0ELi64ELi4ELi33ELi32ELi16El19rocblas_complex_numIdEPKS1_PS1_EviT6_lT7_lT5_lS6_lS7_lS5_lT8_i
; %bb.0:
	s_load_dwordx2 s[6:7], s[0:1], 0x94
	s_add_u32 s4, s0, 0x88
	s_addc_u32 s5, s1, 0
	s_waitcnt lgkmcnt(0)
	s_lshr_b32 s8, s6, 16
	s_and_b32 s6, s6, 0xffff
	s_and_b32 s7, s7, 0xffff
	s_mul_i32 s6, s8, s6
	s_mul_i32 s6, s6, s7
	s_cmpk_lg_i32 s6, 0x100
	s_cbranch_scc1 .LBB124_154
; %bb.1:
	s_load_dwordx4 s[8:11], s[0:1], 0x8
	s_waitcnt lgkmcnt(0)
	v_cmp_neq_f64_e64 s[6:7], s[8:9], 0
	v_cmp_neq_f64_e64 s[8:9], s[10:11], 0
	s_or_b64 s[6:7], s[6:7], s[8:9]
	s_mov_b64 s[8:9], -1
	s_and_b64 vcc, exec, s[6:7]
	s_cbranch_vccnz .LBB124_3
; %bb.2:
	s_load_dwordx4 s[8:11], s[0:1], 0x60
	s_waitcnt lgkmcnt(0)
	v_cmp_neq_f64_e64 s[8:9], s[8:9], 1.0
	v_cmp_neq_f64_e64 s[10:11], s[10:11], 0
	s_or_b64 s[8:9], s[8:9], s[10:11]
.LBB124_3:
	s_andn2_b64 vcc, exec, s[8:9]
	s_cbranch_vccnz .LBB124_154
; %bb.4:
	s_andn2_b64 vcc, exec, s[6:7]
	s_cbranch_vccnz .LBB124_154
; %bb.5:
	s_load_dwordx16 s[16:31], s[0:1], 0x20
	s_load_dword s33, s[4:5], 0x0
	s_load_dword s34, s[0:1], 0x0
	v_and_b32_e32 v204, 0x3ff, v0
	v_bfe_u32 v205, v0, 10, 10
	s_waitcnt lgkmcnt(0)
	s_mul_i32 s5, s3, s31
	s_mul_hi_u32 s6, s3, s30
	s_mul_i32 s4, s3, s30
	s_add_i32 s5, s6, s5
	s_lshl_b64 s[4:5], s[4:5], 4
	s_add_u32 s6, s24, s4
	s_addc_u32 s7, s25, s5
	s_lshl_b64 s[4:5], s[26:27], 4
	s_add_u32 s4, s6, s4
	s_addc_u32 s5, s7, s5
	s_ashr_i32 s31, s34, 31
	s_lshr_b32 s7, s31, 26
	s_lshl_b32 s26, s2, 6
	s_add_i32 s7, s34, s7
	s_andn2_b32 s7, s7, 63
	v_add_u32_e32 v166, s26, v204
	s_add_i32 s6, s33, -1
	s_sub_i32 s30, s34, s7
	v_ashrrev_i32_e32 v167, 31, v166
	s_cmp_eq_u32 s2, s6
	v_mul_lo_u32 v2, v167, s28
	v_mul_lo_u32 v3, v166, s29
	v_mad_u64_u32 v[0:1], s[6:7], v166, s28, 0
	v_add3_u32 v1, v1, v3, v2
	s_cselect_b32 s24, s30, 0
	v_lshl_add_u64 v[36:37], v[0:1], 4, s[4:5]
	v_cmp_eq_u32_e64 s[4:5], 0, v205
	s_and_saveexec_b64 s[6:7], s[4:5]
	s_cbranch_execz .LBB124_10
; %bb.6:
	s_cmp_lg_u32 s24, 0
	s_cselect_b64 s[8:9], -1, 0
	v_cmp_le_i32_e32 vcc, s24, v204
	v_mov_b32_e32 v0, 0x4700
	s_and_b64 s[8:9], s[8:9], vcc
	v_lshl_add_u32 v0, v204, 4, v0
	s_and_saveexec_b64 s[10:11], s[8:9]
	s_xor_b64 s[8:9], exec, s[10:11]
	s_cbranch_execz .LBB124_8
; %bb.7:
	v_mov_b32_e32 v2, 0
	v_mov_b32_e32 v3, v2
	;; [unrolled: 1-line block ×4, first 2 shown]
	ds_write_b128 v0, v[2:5]
                                        ; implicit-def: $vgpr0
.LBB124_8:
	s_andn2_saveexec_b64 s[8:9], s[8:9]
	s_cbranch_execz .LBB124_10
; %bb.9:
	global_load_dwordx4 v[2:5], v[36:37], off
	s_waitcnt vmcnt(0)
	ds_write2_b64 v0, v[2:3], v[4:5] offset1:1
.LBB124_10:
	s_or_b64 exec, exec, s[6:7]
	s_mul_i32 s6, s3, s23
	s_mul_hi_u32 s7, s3, s22
	s_add_i32 s7, s7, s6
	s_mul_i32 s6, s3, s22
	s_lshl_b64 s[6:7], s[6:7], 4
	s_add_u32 s8, s16, s6
	s_addc_u32 s9, s17, s7
	s_lshl_b64 s[6:7], s[18:19], 4
	s_add_u32 s8, s8, s6
	s_addc_u32 s9, s9, s7
	s_ashr_i32 s27, s26, 31
	v_lshl_add_u32 v42, v205, 6, v204
	s_lshl_b64 s[6:7], s[26:27], 4
	v_and_b32_e32 v4, 31, v204
	v_lshrrev_b32_e32 v14, 5, v42
	s_add_u32 s8, s8, s6
	v_mov_b32_e32 v5, 0
	s_addc_u32 s9, s9, s7
	v_mad_u64_u32 v[38:39], s[6:7], v14, s20, v[4:5]
	v_mov_b32_e32 v0, v39
	v_mad_u64_u32 v[0:1], s[6:7], v14, s21, v[0:1]
	s_mul_i32 s6, s26, s21
	s_mul_hi_u32 s7, s26, s20
	s_add_i32 s6, s7, s6
	s_mul_i32 s7, s27, s20
	s_add_i32 s7, s6, s7
	s_mul_i32 s6, s26, s20
	s_lshl_b64 s[6:7], s[6:7], 4
	s_add_u32 s6, s6, s8
	s_addc_u32 s7, s7, s9
	s_cmp_eq_u32 s24, 0
	s_cselect_b64 s[18:19], -1, 0
	s_cmp_lg_u32 s24, 0
	v_mov_b32_e32 v39, v0
	s_cselect_b64 s[22:23], -1, 0
	v_lshl_add_u64 v[0:1], v[38:39], 4, s[6:7]
	s_and_b64 vcc, exec, s[22:23]
	v_cmp_gt_i32_e64 s[6:7], s24, v4
	v_lshlrev_b32_e32 v6, 4, v4
	v_mul_u32_u24_e32 v5, 33, v14
	s_mul_i32 s35, s21, 0x180
	s_cbranch_vccz .LBB124_28
; %bb.11:
	v_sub_co_u32_e32 v2, vcc, v0, v6
	s_ashr_i32 s25, s24, 31
	s_nop 0
	v_subbrev_co_u32_e32 v3, vcc, 0, v1, vcc
	v_lshl_add_u64 v[2:3], s[24:25], 4, v[2:3]
	v_lshl_add_u64 v[2:3], v[2:3], 0, -16
	v_cndmask_b32_e64 v3, v3, v1, s[6:7]
	v_cndmask_b32_e64 v2, v2, v0, s[6:7]
	v_cmp_le_i32_e32 vcc, s24, v14
	v_add_lshl_u32 v7, v5, v4, 4
	s_and_saveexec_b64 s[8:9], vcc
	s_xor_b64 s[8:9], exec, s[8:9]
	s_cbranch_execz .LBB124_13
; %bb.12:
	v_mov_b32_e32 v8, 0
	v_mov_b32_e32 v9, v8
	;; [unrolled: 1-line block ×4, first 2 shown]
	ds_write_b128 v7, v[8:11]
.LBB124_13:
	s_andn2_saveexec_b64 s[8:9], s[8:9]
	s_cbranch_execz .LBB124_15
; %bb.14:
	global_load_dwordx4 v[8:11], v[2:3], off
	s_waitcnt vmcnt(0)
	ds_write2_b64 v7, v[8:9], v[10:11] offset1:1
.LBB124_15:
	s_or_b64 exec, exec, s[8:9]
	v_add_u32_e32 v8, 8, v14
	v_cmp_le_i32_e32 vcc, s24, v8
	s_and_saveexec_b64 s[8:9], vcc
	s_xor_b64 s[8:9], exec, s[8:9]
	s_cbranch_execz .LBB124_17
; %bb.16:
	v_mul_u32_u24_e32 v8, 33, v8
	v_add_lshl_u32 v12, v8, v4, 4
	v_mov_b32_e32 v8, 0
	v_mov_b32_e32 v9, v8
	;; [unrolled: 1-line block ×4, first 2 shown]
	ds_write_b128 v12, v[8:11]
.LBB124_17:
	s_andn2_saveexec_b64 s[8:9], s[8:9]
	s_cbranch_execz .LBB124_19
; %bb.18:
	s_lshl_b64 s[10:11], s[20:21], 7
	v_lshl_add_u64 v[8:9], v[2:3], 0, s[10:11]
	global_load_dwordx4 v[8:11], v[8:9], off
	v_add_u32_e32 v12, 0x1080, v7
	s_waitcnt vmcnt(0)
	ds_write2_b64 v12, v[8:9], v[10:11] offset1:1
.LBB124_19:
	s_or_b64 exec, exec, s[8:9]
	v_add_u32_e32 v8, 16, v14
	v_cmp_le_i32_e32 vcc, s24, v8
	s_and_saveexec_b64 s[8:9], vcc
	s_xor_b64 s[8:9], exec, s[8:9]
	s_cbranch_execz .LBB124_21
; %bb.20:
	v_mov_b32_e32 v8, 0
	v_mov_b32_e32 v9, v8
	;; [unrolled: 1-line block ×4, first 2 shown]
	ds_write_b128 v7, v[8:11] offset:8448
.LBB124_21:
	s_andn2_saveexec_b64 s[8:9], s[8:9]
	s_cbranch_execz .LBB124_23
; %bb.22:
	s_lshl_b64 s[10:11], s[20:21], 8
	v_lshl_add_u64 v[8:9], v[2:3], 0, s[10:11]
	global_load_dwordx4 v[8:11], v[8:9], off
	v_add_u32_e32 v12, 0x2100, v7
	s_waitcnt vmcnt(0)
	ds_write2_b64 v12, v[8:9], v[10:11] offset1:1
.LBB124_23:
	s_or_b64 exec, exec, s[8:9]
	v_add_u32_e32 v8, 24, v14
	v_cmp_le_i32_e32 vcc, s24, v8
	s_and_saveexec_b64 s[8:9], vcc
	s_xor_b64 s[8:9], exec, s[8:9]
	s_cbranch_execz .LBB124_25
; %bb.24:
	v_mov_b32_e32 v8, 0
	v_mov_b32_e32 v9, v8
	;; [unrolled: 1-line block ×4, first 2 shown]
	ds_write_b128 v7, v[8:11] offset:12672
                                        ; implicit-def: $vgpr7
.LBB124_25:
	s_andn2_saveexec_b64 s[8:9], s[8:9]
	s_cbranch_execz .LBB124_27
; %bb.26:
	v_mov_b32_e32 v8, 0x180
	v_mad_u64_u32 v[8:9], s[10:11], s20, v8, v[2:3]
	v_add_u32_e32 v9, s35, v9
	global_load_dwordx4 v[8:11], v[8:9], off
	v_add_u32_e32 v7, 0x3180, v7
	s_waitcnt vmcnt(0)
	ds_write2_b64 v7, v[8:9], v[10:11] offset1:1
.LBB124_27:
	s_or_b64 exec, exec, s[8:9]
	v_mov_b32_e32 v7, 0
	v_lshl_add_u64 v[2:3], v[2:3], 0, v[6:7]
	s_lshl_b64 s[8:9], s[24:25], 4
	v_mov_b32_e32 v7, s9
	v_subrev_co_u32_e32 v2, vcc, s8, v2
	s_nop 1
	v_subb_co_u32_e32 v3, vcc, v3, v7, vcc
	v_lshl_add_u64 v[2:3], v[2:3], 0, 16
	v_cndmask_b32_e64 v9, v3, v1, s[6:7]
	v_cndmask_b32_e64 v8, v2, v0, s[6:7]
	s_branch .LBB124_30
.LBB124_28:
                                        ; implicit-def: $vgpr8_vgpr9
	s_cbranch_execz .LBB124_30
; %bb.29:
	s_lshl_b64 s[6:7], s[20:21], 7
	v_lshl_add_u64 v[2:3], v[0:1], 0, s[6:7]
	global_load_dwordx4 v[8:11], v[0:1], off
	global_load_dwordx4 v[16:19], v[2:3], off
	v_lshl_add_u64 v[2:3], v[2:3], 0, s[6:7]
	global_load_dwordx4 v[20:23], v[2:3], off
	v_mov_b32_e32 v2, 0x180
	v_mad_u64_u32 v[2:3], s[6:7], s20, v2, v[0:1]
	v_add_u32_e32 v3, s35, v3
	global_load_dwordx4 v[24:27], v[2:3], off
	v_add_lshl_u32 v2, v5, v4, 4
	v_add_u32_e32 v3, 0x1080, v2
	v_add_u32_e32 v7, 0x2100, v2
	;; [unrolled: 1-line block ×3, first 2 shown]
	s_waitcnt vmcnt(3)
	ds_write2_b64 v2, v[8:9], v[10:11] offset1:1
	s_waitcnt vmcnt(2)
	ds_write2_b64 v3, v[16:17], v[18:19] offset1:1
	;; [unrolled: 2-line block ×4, first 2 shown]
	v_mov_b64_e32 v[8:9], v[0:1]
.LBB124_30:
	v_lshlrev_b32_e32 v0, 2, v14
	v_mul_u32_u24_e32 v15, 33, v4
	v_cmp_gt_u32_e64 s[6:7], v0, v4
	v_add_lshl_u32 v17, v0, v15, 4
	s_waitcnt lgkmcnt(0)
	s_barrier
	s_and_saveexec_b64 s[8:9], s[6:7]
	s_cbranch_execz .LBB124_32
; %bb.31:
	v_mul_u32_u24_e32 v1, 0x84, v14
	v_add_lshl_u32 v1, v1, v4, 4
	ds_read_b128 v[10:13], v1
	s_waitcnt lgkmcnt(0)
	ds_write_b128 v17, v[10:13]
.LBB124_32:
	s_or_b64 exec, exec, s[8:9]
	v_cmp_ge_u32_e64 s[8:9], v0, v4
	s_and_saveexec_b64 s[10:11], s[8:9]
	s_cbranch_execz .LBB124_34
; %bb.33:
	v_or_b32_e32 v1, 1, v0
	v_mul_u32_u24_e32 v1, 33, v1
	v_add_lshl_u32 v1, v1, v4, 4
	ds_read_b128 v[10:13], v1
	s_waitcnt lgkmcnt(0)
	ds_write_b128 v17, v[10:13] offset:16
.LBB124_34:
	s_or_b64 exec, exec, s[10:11]
	v_or_b32_e32 v1, 2, v0
	v_cmp_gt_u32_e64 s[10:11], v1, v4
	s_and_saveexec_b64 s[12:13], s[10:11]
	s_cbranch_execz .LBB124_36
; %bb.35:
	v_mul_u32_u24_e32 v1, 33, v1
	v_add_lshl_u32 v1, v1, v4, 4
	ds_read_b128 v[10:13], v1
	s_waitcnt lgkmcnt(0)
	ds_write_b128 v17, v[10:13] offset:32
.LBB124_36:
	s_or_b64 exec, exec, s[12:13]
	v_or_b32_e32 v1, 3, v0
	v_cmp_gt_u32_e64 s[12:13], v1, v4
	v_mad_u32_u24 v1, v1, 33, v4
	v_lshlrev_b32_e32 v16, 4, v1
	s_and_saveexec_b64 s[14:15], s[12:13]
	s_cbranch_execz .LBB124_38
; %bb.37:
	ds_read_b128 v[10:13], v16
	s_waitcnt lgkmcnt(0)
	ds_write_b128 v17, v[10:13] offset:48
.LBB124_38:
	s_or_b64 exec, exec, s[14:15]
	v_mul_u32_u24_e32 v1, 0x84, v14
	v_lshlrev_b32_e32 v18, 4, v0
	s_waitcnt lgkmcnt(0)
	s_barrier
	v_add_lshl_u32 v24, v1, v4, 4
	ds_read_b128 v[0:3], v18 offset:18176
	ds_read_b128 v[10:13], v24
	ds_read_b128 v[20:23], v18 offset:18192
	ds_read_b128 v[26:29], v18 offset:18208
	v_add_u32_e32 v25, 0xfffffbe0, v16
	ds_read_b128 v[30:33], v25
	ds_read_b128 v[44:47], v25 offset:528
	s_waitcnt lgkmcnt(4)
	v_mul_f64 v[34:35], v[2:3], v[12:13]
	v_fma_f64 v[34:35], v[0:1], v[10:11], -v[34:35]
	v_mul_f64 v[0:1], v[0:1], v[12:13]
	v_fmac_f64_e32 v[0:1], v[2:3], v[10:11]
	s_waitcnt lgkmcnt(1)
	v_mul_f64 v[12:13], v[20:21], v[32:33]
	v_add_f64 v[0:1], v[0:1], 0
	v_mul_f64 v[10:11], v[22:23], v[32:33]
	v_fmac_f64_e32 v[12:13], v[22:23], v[30:31]
	v_add_f64 v[2:3], v[34:35], 0
	v_fma_f64 v[10:11], v[20:21], v[30:31], -v[10:11]
	v_add_f64 v[22:23], v[0:1], v[12:13]
	s_waitcnt lgkmcnt(0)
	v_mul_f64 v[0:1], v[28:29], v[46:47]
	v_add_f64 v[20:21], v[2:3], v[10:11]
	v_fma_f64 v[30:31], v[26:27], v[44:45], -v[0:1]
	ds_read_b128 v[0:3], v18 offset:18224
	ds_read_b128 v[10:13], v16
	v_mul_f64 v[26:27], v[26:27], v[46:47]
	v_fmac_f64_e32 v[26:27], v[28:29], v[44:45]
	v_add_f64 v[22:23], v[22:23], v[26:27]
	v_add_f64 v[20:21], v[20:21], v[30:31]
	s_waitcnt lgkmcnt(0)
	v_mul_f64 v[26:27], v[2:3], v[12:13]
	v_mul_f64 v[12:13], v[0:1], v[12:13]
	v_fma_f64 v[26:27], v[0:1], v[10:11], -v[26:27]
	v_fmac_f64_e32 v[12:13], v[2:3], v[10:11]
	v_add_f64 v[0:1], v[20:21], v[26:27]
	v_add_f64 v[2:3], v[22:23], v[12:13]
	v_add_lshl_u32 v44, v14, v15, 4
	s_barrier
	ds_write_b128 v44, v[0:3]
	v_mov_b64_e32 v[0:1], 0
	v_cmp_gt_u32_e64 s[14:15], 32, v42
	v_lshlrev_b32_e32 v43, 4, v15
	v_mov_b64_e32 v[2:3], v[0:1]
	s_waitcnt lgkmcnt(0)
	s_barrier
	s_and_saveexec_b64 s[16:17], s[14:15]
	s_cbranch_execz .LBB124_40
; %bb.39:
	ds_read_b128 v[0:3], v43
	ds_read_b128 v[10:13], v43 offset:16
	ds_read_b128 v[20:23], v43 offset:32
	;; [unrolled: 1-line block ×3, first 2 shown]
	s_waitcnt lgkmcnt(2)
	v_add_f64 v[0:1], v[10:11], v[0:1]
	v_add_f64 v[10:11], v[12:13], v[2:3]
	s_waitcnt lgkmcnt(1)
	v_add_f64 v[12:13], v[0:1], v[20:21]
	ds_read_b128 v[0:3], v43 offset:64
	v_add_f64 v[10:11], v[10:11], v[22:23]
	s_waitcnt lgkmcnt(1)
	v_add_f64 v[20:21], v[12:13], v[26:27]
	v_add_f64 v[26:27], v[10:11], v[28:29]
	ds_read_b128 v[10:13], v43 offset:80
	s_waitcnt lgkmcnt(1)
	v_add_f64 v[28:29], v[20:21], v[0:1]
	ds_read_b128 v[20:23], v43 offset:96
	v_add_f64 v[26:27], v[26:27], v[2:3]
	ds_read_b128 v[0:3], v43 offset:112
	s_waitcnt lgkmcnt(2)
	v_add_f64 v[10:11], v[28:29], v[10:11]
	v_add_f64 v[12:13], v[26:27], v[12:13]
	s_waitcnt lgkmcnt(1)
	v_add_f64 v[10:11], v[10:11], v[20:21]
	v_add_f64 v[12:13], v[12:13], v[22:23]
	;; [unrolled: 3-line block ×3, first 2 shown]
.LBB124_40:
	s_or_b64 exec, exec, s[16:17]
	s_lshl_b64 s[16:17], s[20:21], 9
	v_lshl_add_u64 v[12:13], v[8:9], 0, s[16:17]
	s_mov_b64 s[16:17], 0x200
	v_lshl_add_u64 v[10:11], v[12:13], 0, s[16:17]
	s_and_b64 vcc, exec, s[22:23]
	s_barrier
	s_cbranch_vccz .LBB124_58
; %bb.41:
	v_sub_co_u32_e32 v8, vcc, v10, v6
	s_ashr_i32 s25, s24, 31
	s_nop 0
	v_subbrev_co_u32_e32 v9, vcc, 0, v11, vcc
	s_movk_i32 s16, 0xfdf0
	v_or_b32_e32 v7, 32, v4
	v_lshl_add_u64 v[8:9], s[24:25], 4, v[8:9]
	s_mov_b32 s17, -1
	v_lshl_add_u64 v[8:9], v[8:9], 0, s[16:17]
	v_cmp_gt_i32_e32 vcc, s24, v7
	s_sub_i32 s36, s24, 32
	v_cmp_le_i32_e64 s[16:17], s36, v14
	v_cndmask_b32_e32 v9, v9, v11, vcc
	v_cndmask_b32_e32 v8, v8, v10, vcc
	v_add_lshl_u32 v7, v5, v4, 4
	s_and_saveexec_b64 s[38:39], s[16:17]
	s_xor_b64 s[16:17], exec, s[38:39]
	s_cbranch_execz .LBB124_43
; %bb.42:
	v_mov_b32_e32 v20, 0
	v_mov_b32_e32 v21, v20
	;; [unrolled: 1-line block ×4, first 2 shown]
	ds_write_b128 v7, v[20:23]
.LBB124_43:
	s_andn2_saveexec_b64 s[16:17], s[16:17]
	s_cbranch_execz .LBB124_45
; %bb.44:
	global_load_dwordx4 v[20:23], v[8:9], off
	s_waitcnt vmcnt(0)
	ds_write2_b64 v7, v[20:21], v[22:23] offset1:1
.LBB124_45:
	s_or_b64 exec, exec, s[16:17]
	v_add_u32_e32 v19, 8, v14
	v_cmp_le_i32_e64 s[16:17], s36, v19
	s_and_saveexec_b64 s[38:39], s[16:17]
	s_xor_b64 s[16:17], exec, s[38:39]
	s_cbranch_execz .LBB124_47
; %bb.46:
	v_mul_u32_u24_e32 v19, 33, v19
	v_mov_b32_e32 v20, 0
	v_add_lshl_u32 v19, v19, v4, 4
	v_mov_b32_e32 v21, v20
	v_mov_b32_e32 v22, v20
	;; [unrolled: 1-line block ×3, first 2 shown]
	ds_write_b128 v19, v[20:23]
.LBB124_47:
	s_andn2_saveexec_b64 s[16:17], s[16:17]
	s_cbranch_execz .LBB124_49
; %bb.48:
	s_lshl_b64 s[38:39], s[20:21], 7
	v_lshl_add_u64 v[20:21], v[8:9], 0, s[38:39]
	global_load_dwordx4 v[20:23], v[20:21], off
	v_add_u32_e32 v19, 0x1080, v7
	s_waitcnt vmcnt(0)
	ds_write2_b64 v19, v[20:21], v[22:23] offset1:1
.LBB124_49:
	s_or_b64 exec, exec, s[16:17]
	v_add_u32_e32 v19, 16, v14
	v_cmp_le_i32_e64 s[16:17], s36, v19
	s_and_saveexec_b64 s[38:39], s[16:17]
	s_xor_b64 s[16:17], exec, s[38:39]
	s_cbranch_execz .LBB124_51
; %bb.50:
	v_mov_b32_e32 v20, 0
	v_mov_b32_e32 v21, v20
	;; [unrolled: 1-line block ×4, first 2 shown]
	ds_write_b128 v7, v[20:23] offset:8448
.LBB124_51:
	s_andn2_saveexec_b64 s[16:17], s[16:17]
	s_cbranch_execz .LBB124_53
; %bb.52:
	s_lshl_b64 s[38:39], s[20:21], 8
	v_lshl_add_u64 v[20:21], v[8:9], 0, s[38:39]
	global_load_dwordx4 v[20:23], v[20:21], off
	v_add_u32_e32 v19, 0x2100, v7
	s_waitcnt vmcnt(0)
	ds_write2_b64 v19, v[20:21], v[22:23] offset1:1
.LBB124_53:
	s_or_b64 exec, exec, s[16:17]
	v_add_u32_e32 v19, 24, v14
	v_cmp_le_i32_e64 s[16:17], s36, v19
	s_and_saveexec_b64 s[36:37], s[16:17]
	s_xor_b64 s[16:17], exec, s[36:37]
	s_cbranch_execz .LBB124_55
; %bb.54:
	v_mov_b32_e32 v20, 0
	v_mov_b32_e32 v21, v20
	;; [unrolled: 1-line block ×4, first 2 shown]
	ds_write_b128 v7, v[20:23] offset:12672
                                        ; implicit-def: $vgpr7
.LBB124_55:
	s_andn2_saveexec_b64 s[16:17], s[16:17]
	s_cbranch_execz .LBB124_57
; %bb.56:
	v_mov_b32_e32 v19, 0x180
	v_mad_u64_u32 v[20:21], s[36:37], s20, v19, v[8:9]
	v_add_u32_e32 v21, s35, v21
	global_load_dwordx4 v[20:23], v[20:21], off
	v_add_u32_e32 v7, 0x3180, v7
	s_waitcnt vmcnt(0)
	ds_write2_b64 v7, v[20:21], v[22:23] offset1:1
.LBB124_57:
	s_or_b64 exec, exec, s[16:17]
	v_mov_b32_e32 v7, 0
	v_lshl_add_u64 v[8:9], v[8:9], 0, v[6:7]
	s_lshl_b64 s[16:17], s[24:25], 4
	v_mov_b32_e32 v7, s17
	v_subrev_co_u32_e64 v8, s[16:17], s16, v8
	s_nop 1
	v_subb_co_u32_e64 v9, s[16:17], v9, v7, s[16:17]
	s_mov_b64 s[16:17], 0x210
	s_nop 0
	v_lshl_add_u64 v[8:9], v[8:9], 0, s[16:17]
	v_cndmask_b32_e32 v9, v9, v11, vcc
	v_cndmask_b32_e32 v8, v8, v10, vcc
	s_branch .LBB124_60
.LBB124_58:
                                        ; implicit-def: $vgpr8_vgpr9
	s_cbranch_execz .LBB124_60
; %bb.59:
	s_lshl_b64 s[16:17], s[20:21], 7
	v_lshl_add_u64 v[8:9], v[12:13], 0, s[16:17]
	v_mov_b32_e32 v7, 0x180
	global_load_dwordx4 v[20:23], v[10:11], off
	global_load_dwordx4 v[26:29], v[8:9], off offset:512
	v_lshl_add_u64 v[8:9], v[8:9], 0, s[16:17]
	v_mad_u64_u32 v[12:13], s[16:17], s20, v7, v[12:13]
	v_add_u32_e32 v13, s35, v13
	global_load_dwordx4 v[30:33], v[8:9], off offset:512
	global_load_dwordx4 v[46:49], v[12:13], off offset:512
	v_add_lshl_u32 v7, v5, v4, 4
	v_add_u32_e32 v8, 0x1080, v7
	v_add_u32_e32 v9, 0x2100, v7
	;; [unrolled: 1-line block ×3, first 2 shown]
	s_waitcnt vmcnt(3)
	ds_write2_b64 v7, v[20:21], v[22:23] offset1:1
	s_waitcnt vmcnt(2)
	ds_write2_b64 v8, v[26:27], v[28:29] offset1:1
	;; [unrolled: 2-line block ×4, first 2 shown]
	v_mov_b64_e32 v[8:9], v[10:11]
.LBB124_60:
	s_waitcnt lgkmcnt(0)
	s_barrier
	s_and_saveexec_b64 s[16:17], s[6:7]
	s_cbranch_execnz .LBB124_85
; %bb.61:
	s_or_b64 exec, exec, s[16:17]
	s_and_saveexec_b64 s[6:7], s[8:9]
	s_cbranch_execnz .LBB124_86
.LBB124_62:
	s_or_b64 exec, exec, s[6:7]
	s_and_saveexec_b64 s[6:7], s[10:11]
	s_cbranch_execnz .LBB124_87
.LBB124_63:
	s_or_b64 exec, exec, s[6:7]
	v_add_u32_e32 v26, 0x4700, v18
	s_and_saveexec_b64 s[6:7], s[12:13]
	s_cbranch_execz .LBB124_65
.LBB124_64:
	ds_read_b128 v[10:13], v16
	s_waitcnt lgkmcnt(0)
	ds_write_b128 v17, v[10:13] offset:48
.LBB124_65:
	s_or_b64 exec, exec, s[6:7]
	s_waitcnt lgkmcnt(0)
	s_barrier
	ds_read_b128 v[10:13], v26 offset:512
	ds_read_b128 v[18:21], v24
	ds_read_b128 v[28:31], v26 offset:528
	ds_read_b128 v[32:35], v26 offset:544
	;; [unrolled: 1-line block ×3, first 2 shown]
	ds_read_b128 v[50:53], v25
	v_cmp_eq_u32_e64 s[6:7], 1, v14
	s_waitcnt lgkmcnt(4)
	v_mul_f64 v[22:23], v[12:13], v[20:21]
	v_fma_f64 v[22:23], v[10:11], v[18:19], -v[22:23]
	v_mul_f64 v[10:11], v[10:11], v[20:21]
	v_fmac_f64_e32 v[10:11], v[12:13], v[18:19]
	v_add_f64 v[20:21], v[10:11], 0
	s_waitcnt lgkmcnt(0)
	v_mul_f64 v[10:11], v[30:31], v[52:53]
	v_add_f64 v[18:19], v[22:23], 0
	v_fma_f64 v[22:23], v[28:29], v[50:51], -v[10:11]
	v_mul_f64 v[28:29], v[28:29], v[52:53]
	ds_read_b128 v[10:13], v25 offset:528
	v_fmac_f64_e32 v[28:29], v[30:31], v[50:51]
	v_add_f64 v[22:23], v[18:19], v[22:23]
	v_add_f64 v[28:29], v[20:21], v[28:29]
	ds_read_b128 v[18:21], v16
	s_waitcnt lgkmcnt(1)
	v_mul_f64 v[30:31], v[34:35], v[12:13]
	v_fma_f64 v[30:31], v[32:33], v[10:11], -v[30:31]
	v_mul_f64 v[12:13], v[32:33], v[12:13]
	v_fmac_f64_e32 v[12:13], v[34:35], v[10:11]
	v_add_f64 v[10:11], v[22:23], v[30:31]
	s_waitcnt lgkmcnt(0)
	v_mul_f64 v[22:23], v[48:49], v[20:21]
	v_mul_f64 v[20:21], v[46:47], v[20:21]
	v_add_f64 v[12:13], v[28:29], v[12:13]
	v_fma_f64 v[22:23], v[46:47], v[18:19], -v[22:23]
	v_fmac_f64_e32 v[20:21], v[48:49], v[18:19]
	v_add_f64 v[10:11], v[10:11], v[22:23]
	v_add_f64 v[12:13], v[12:13], v[20:21]
	s_barrier
	ds_write_b128 v44, v[10:13]
	s_waitcnt lgkmcnt(0)
	s_barrier
	s_and_saveexec_b64 s[8:9], s[6:7]
	s_cbranch_execz .LBB124_67
; %bb.66:
	ds_read_b128 v[0:3], v43
	ds_read_b128 v[10:13], v43 offset:16
	ds_read_b128 v[18:21], v43 offset:32
	ds_read_b128 v[28:31], v43 offset:48
	s_waitcnt lgkmcnt(2)
	v_add_f64 v[0:1], v[10:11], v[0:1]
	v_add_f64 v[10:11], v[12:13], v[2:3]
	s_waitcnt lgkmcnt(1)
	v_add_f64 v[12:13], v[0:1], v[18:19]
	ds_read_b128 v[0:3], v43 offset:64
	v_add_f64 v[10:11], v[10:11], v[20:21]
	s_waitcnt lgkmcnt(1)
	v_add_f64 v[18:19], v[12:13], v[28:29]
	v_add_f64 v[22:23], v[10:11], v[30:31]
	ds_read_b128 v[10:13], v43 offset:80
	s_waitcnt lgkmcnt(1)
	v_add_f64 v[28:29], v[18:19], v[0:1]
	ds_read_b128 v[18:21], v43 offset:96
	v_add_f64 v[22:23], v[22:23], v[2:3]
	ds_read_b128 v[0:3], v43 offset:112
	s_waitcnt lgkmcnt(2)
	v_add_f64 v[10:11], v[28:29], v[10:11]
	v_add_f64 v[12:13], v[22:23], v[12:13]
	s_waitcnt lgkmcnt(1)
	v_add_f64 v[10:11], v[10:11], v[18:19]
	v_add_f64 v[12:13], v[12:13], v[20:21]
	;; [unrolled: 3-line block ×3, first 2 shown]
.LBB124_67:
	s_or_b64 exec, exec, s[8:9]
	s_movk_i32 s8, 0xfe00
	s_mov_b32 s9, -1
	v_lshl_add_u64 v[10:11], v[8:9], 0, s[8:9]
	s_and_b64 vcc, exec, s[22:23]
	s_barrier
	s_cbranch_vccz .LBB124_88
; %bb.68:
	v_sub_co_u32_e32 v12, vcc, v8, v6
	s_ashr_i32 s25, s24, 31
	s_nop 0
	v_subbrev_co_u32_e32 v13, vcc, 0, v9, vcc
	s_movk_i32 s8, 0xfdf0
	v_lshl_add_u64 v[12:13], s[24:25], 4, v[12:13]
	s_mov_b32 s9, -1
	v_lshl_add_u64 v[12:13], v[12:13], 0, s[8:9]
	v_cmp_gt_i32_e32 vcc, s24, v4
	s_sub_i32 s10, s24, 32
	v_cmp_le_i32_e64 s[8:9], s10, v14
	v_cndmask_b32_e32 v13, v13, v11, vcc
	v_cndmask_b32_e32 v12, v12, v10, vcc
	v_add_lshl_u32 v7, v5, v4, 4
	s_and_saveexec_b64 s[12:13], s[8:9]
	s_xor_b64 s[8:9], exec, s[12:13]
	s_cbranch_execz .LBB124_70
; %bb.69:
	v_mov_b32_e32 v18, 0
	v_mov_b32_e32 v19, v18
	;; [unrolled: 1-line block ×4, first 2 shown]
	ds_write_b128 v7, v[18:21]
.LBB124_70:
	s_andn2_saveexec_b64 s[8:9], s[8:9]
	s_cbranch_execz .LBB124_72
; %bb.71:
	global_load_dwordx4 v[18:21], v[12:13], off
	s_waitcnt vmcnt(0)
	ds_write2_b64 v7, v[18:19], v[20:21] offset1:1
.LBB124_72:
	s_or_b64 exec, exec, s[8:9]
	v_add_u32_e32 v17, 8, v14
	v_cmp_le_i32_e64 s[8:9], s10, v17
	s_and_saveexec_b64 s[12:13], s[8:9]
	s_xor_b64 s[8:9], exec, s[12:13]
	s_cbranch_execz .LBB124_74
; %bb.73:
	v_mul_u32_u24_e32 v18, 33, v17
	v_add_lshl_u32 v22, v18, v4, 4
	v_mov_b32_e32 v18, 0
	v_mov_b32_e32 v19, v18
	;; [unrolled: 1-line block ×4, first 2 shown]
	ds_write_b128 v22, v[18:21]
.LBB124_74:
	s_andn2_saveexec_b64 s[8:9], s[8:9]
	s_cbranch_execz .LBB124_76
; %bb.75:
	s_lshl_b64 s[12:13], s[20:21], 7
	v_lshl_add_u64 v[18:19], v[12:13], 0, s[12:13]
	global_load_dwordx4 v[18:21], v[18:19], off
	v_add_u32_e32 v22, 0x1080, v7
	s_waitcnt vmcnt(0)
	ds_write2_b64 v22, v[18:19], v[20:21] offset1:1
.LBB124_76:
	s_or_b64 exec, exec, s[8:9]
	v_add_u32_e32 v18, 16, v14
	v_cmp_le_i32_e64 s[8:9], s10, v18
	s_and_saveexec_b64 s[12:13], s[8:9]
	s_xor_b64 s[8:9], exec, s[12:13]
	s_cbranch_execz .LBB124_78
; %bb.77:
	v_mov_b32_e32 v20, 0
	v_mov_b32_e32 v21, v20
	;; [unrolled: 1-line block ×4, first 2 shown]
	ds_write_b128 v7, v[20:23] offset:8448
.LBB124_78:
	s_andn2_saveexec_b64 s[8:9], s[8:9]
	s_cbranch_execz .LBB124_80
; %bb.79:
	s_lshl_b64 s[12:13], s[20:21], 8
	v_lshl_add_u64 v[20:21], v[12:13], 0, s[12:13]
	global_load_dwordx4 v[20:23], v[20:21], off
	v_add_u32_e32 v19, 0x2100, v7
	s_waitcnt vmcnt(0)
	ds_write2_b64 v19, v[20:21], v[22:23] offset1:1
.LBB124_80:
	s_or_b64 exec, exec, s[8:9]
	v_add_u32_e32 v19, 24, v14
	v_cmp_le_i32_e64 s[8:9], s10, v19
	s_and_saveexec_b64 s[10:11], s[8:9]
	s_xor_b64 s[8:9], exec, s[10:11]
	s_cbranch_execz .LBB124_82
; %bb.81:
	v_mov_b32_e32 v20, 0
	v_mov_b32_e32 v21, v20
	v_mov_b32_e32 v22, v20
	v_mov_b32_e32 v23, v20
	ds_write_b128 v7, v[20:23] offset:12672
                                        ; implicit-def: $vgpr7
.LBB124_82:
	s_andn2_saveexec_b64 s[8:9], s[8:9]
	s_cbranch_execz .LBB124_84
; %bb.83:
	v_mov_b32_e32 v20, 0x180
	v_mad_u64_u32 v[20:21], s[10:11], s20, v20, v[12:13]
	v_add_u32_e32 v21, s35, v21
	global_load_dwordx4 v[20:23], v[20:21], off
	v_add_u32_e32 v7, 0x3180, v7
	s_waitcnt vmcnt(0)
	ds_write2_b64 v7, v[20:21], v[22:23] offset1:1
.LBB124_84:
	s_or_b64 exec, exec, s[8:9]
	v_mov_b32_e32 v7, 0
	v_lshl_add_u64 v[6:7], v[12:13], 0, v[6:7]
	s_lshl_b64 s[8:9], s[24:25], 4
	v_mov_b32_e32 v12, s9
	v_subrev_co_u32_e64 v6, s[8:9], s8, v6
	s_nop 1
	v_subb_co_u32_e64 v7, s[8:9], v7, v12, s[8:9]
	v_lshl_add_u64 v[6:7], v[6:7], 0, 16
	v_cndmask_b32_e32 v41, v7, v11, vcc
	v_cndmask_b32_e32 v40, v6, v10, vcc
	s_branch .LBB124_90
.LBB124_85:
	ds_read_b128 v[10:13], v24
	s_waitcnt lgkmcnt(0)
	ds_write_b128 v17, v[10:13]
	s_or_b64 exec, exec, s[16:17]
	s_and_saveexec_b64 s[6:7], s[8:9]
	s_cbranch_execz .LBB124_62
.LBB124_86:
	ds_read_b128 v[10:13], v25
	s_waitcnt lgkmcnt(0)
	ds_write_b128 v17, v[10:13] offset:16
	s_or_b64 exec, exec, s[6:7]
	s_and_saveexec_b64 s[6:7], s[10:11]
	s_cbranch_execz .LBB124_63
.LBB124_87:
	v_add_u32_e32 v7, 0x210, v25
	ds_read_b128 v[10:13], v7
	s_waitcnt lgkmcnt(0)
	ds_write_b128 v17, v[10:13] offset:32
	s_or_b64 exec, exec, s[6:7]
	v_add_u32_e32 v26, 0x4700, v18
	s_and_saveexec_b64 s[6:7], s[12:13]
	s_cbranch_execnz .LBB124_64
	s_branch .LBB124_65
.LBB124_88:
                                        ; implicit-def: $vgpr40_vgpr41
                                        ; implicit-def: $vgpr17
                                        ; implicit-def: $vgpr18
                                        ; implicit-def: $vgpr19
	s_cbranch_execz .LBB124_90
; %bb.89:
	s_lshl_b64 s[8:9], s[20:21], 7
	v_lshl_add_u64 v[6:7], v[8:9], 0, s[8:9]
	global_load_dwordx4 v[20:23], v[10:11], off
	global_load_dwordx4 v[28:31], v[6:7], off offset:-512
	v_lshl_add_u64 v[12:13], v[6:7], 0, s[8:9]
	v_mov_b32_e32 v6, 0x180
	v_mad_u64_u32 v[18:19], s[8:9], s20, v6, v[8:9]
	v_add_u32_e32 v19, s35, v19
	global_load_dwordx4 v[6:9], v[12:13], off offset:-512
	global_load_dwordx4 v[32:35], v[18:19], off offset:-512
	v_add_lshl_u32 v4, v5, v4, 4
	v_add_u32_e32 v17, 8, v14
	v_add_u32_e32 v18, 16, v14
	;; [unrolled: 1-line block ×3, first 2 shown]
	v_mov_b64_e32 v[40:41], v[10:11]
	v_add_u32_e32 v5, 0x1080, v4
	v_add_u32_e32 v12, 0x2100, v4
	;; [unrolled: 1-line block ×3, first 2 shown]
	s_waitcnt vmcnt(3)
	ds_write2_b64 v4, v[20:21], v[22:23] offset1:1
	s_waitcnt vmcnt(2)
	ds_write2_b64 v5, v[28:29], v[30:31] offset1:1
	;; [unrolled: 2-line block ×4, first 2 shown]
.LBB124_90:
	v_lshlrev_b32_e32 v4, 4, v14
	s_waitcnt lgkmcnt(0)
	s_barrier
	ds_read_b128 v[46:49], v44
	ds_read_b128 v[50:53], v4 offset:18176
	v_add_lshl_u32 v4, v17, v15, 4
	v_lshlrev_b32_e32 v10, 4, v17
	ds_read_b128 v[54:57], v4
	ds_read_b128 v[4:7], v25 offset:528
	ds_read_b128 v[58:61], v10 offset:18176
	s_waitcnt lgkmcnt(3)
	v_mul_f64 v[8:9], v[48:49], v[52:53]
	v_add_lshl_u32 v10, v18, v15, 4
	v_lshlrev_b32_e32 v12, 4, v18
	v_fma_f64 v[8:9], v[46:47], v[50:51], -v[8:9]
	ds_read_b128 v[62:65], v10
	ds_read_b128 v[66:69], v12 offset:18176
	s_waitcnt lgkmcnt(2)
	v_mul_f64 v[10:11], v[56:57], v[60:61]
	v_add_f64 v[8:9], v[8:9], 0
	v_fma_f64 v[10:11], v[54:55], v[58:59], -v[10:11]
	v_add_f64 v[8:9], v[8:9], v[10:11]
	v_add_lshl_u32 v10, v19, v15, 4
	v_lshlrev_b32_e32 v12, 4, v19
	v_mul_f64 v[74:75], v[46:47], v[52:53]
	v_mul_f64 v[60:61], v[54:55], v[60:61]
	ds_read_b128 v[52:55], v10
	ds_read_b128 v[70:73], v12 offset:18176
	s_waitcnt lgkmcnt(2)
	v_mul_f64 v[10:11], v[64:65], v[68:69]
	v_fma_f64 v[10:11], v[62:63], v[66:67], -v[10:11]
	v_add_f64 v[12:13], v[8:9], v[10:11]
	ds_read_b128 v[8:11], v16
	s_waitcnt lgkmcnt(1)
	v_mul_f64 v[14:15], v[54:55], v[72:73]
	v_fma_f64 v[14:15], v[52:53], v[70:71], -v[14:15]
	v_add_f64 v[46:47], v[12:13], v[14:15]
	ds_read_b128 v[20:23], v26 offset:528
	ds_read_b128 v[16:19], v26 offset:544
	;; [unrolled: 1-line block ×3, first 2 shown]
	ds_read_b128 v[32:35], v24
	ds_read_b128 v[12:15], v26 offset:560
	ds_read_b128 v[24:27], v25
	v_fmac_f64_e32 v[74:75], v[48:49], v[50:51]
	v_mul_f64 v[62:63], v[62:63], v[68:69]
	v_add_f64 v[48:49], v[74:75], 0
	v_fmac_f64_e32 v[60:61], v[56:57], v[58:59]
	v_mul_f64 v[52:53], v[52:53], v[72:73]
	v_add_f64 v[48:49], v[48:49], v[60:61]
	v_fmac_f64_e32 v[62:63], v[64:65], v[66:67]
	v_add_f64 v[48:49], v[48:49], v[62:63]
	v_fmac_f64_e32 v[52:53], v[54:55], v[70:71]
	v_add_f64 v[48:49], v[48:49], v[52:53]
	s_waitcnt lgkmcnt(0)
	s_barrier
	ds_write_b128 v44, v[46:49]
	s_waitcnt lgkmcnt(0)
	s_barrier
	s_and_saveexec_b64 s[8:9], s[6:7]
	s_cbranch_execz .LBB124_92
; %bb.91:
	ds_read_b128 v[46:49], v43
	ds_read_b128 v[50:53], v43 offset:16
	ds_read_b128 v[54:57], v43 offset:32
	;; [unrolled: 1-line block ×3, first 2 shown]
	s_waitcnt lgkmcnt(3)
	v_add_f64 v[0:1], v[0:1], v[46:47]
	v_add_f64 v[2:3], v[2:3], v[48:49]
	s_waitcnt lgkmcnt(2)
	v_add_f64 v[0:1], v[0:1], v[50:51]
	v_add_f64 v[46:47], v[2:3], v[52:53]
	s_waitcnt lgkmcnt(1)
	v_add_f64 v[48:49], v[0:1], v[54:55]
	ds_read_b128 v[0:3], v43 offset:64
	v_add_f64 v[46:47], v[46:47], v[56:57]
	s_waitcnt lgkmcnt(1)
	v_add_f64 v[50:51], v[48:49], v[58:59]
	v_add_f64 v[54:55], v[46:47], v[60:61]
	ds_read_b128 v[46:49], v43 offset:80
	s_waitcnt lgkmcnt(1)
	v_add_f64 v[56:57], v[50:51], v[0:1]
	ds_read_b128 v[50:53], v43 offset:96
	v_add_f64 v[54:55], v[54:55], v[2:3]
	ds_read_b128 v[0:3], v43 offset:112
	s_waitcnt lgkmcnt(2)
	v_add_f64 v[46:47], v[56:57], v[46:47]
	v_add_f64 v[48:49], v[54:55], v[48:49]
	s_waitcnt lgkmcnt(1)
	v_add_f64 v[46:47], v[46:47], v[50:51]
	v_add_f64 v[48:49], v[48:49], v[52:53]
	;; [unrolled: 3-line block ×3, first 2 shown]
.LBB124_92:
	s_or_b64 exec, exec, s[8:9]
	v_mul_f64 v[46:47], v[30:31], v[34:35]
	v_fma_f64 v[46:47], v[28:29], v[32:33], -v[46:47]
	v_mul_f64 v[28:29], v[28:29], v[34:35]
	v_fmac_f64_e32 v[28:29], v[30:31], v[32:33]
	v_mul_f64 v[32:33], v[22:23], v[26:27]
	v_fma_f64 v[32:33], v[20:21], v[24:25], -v[32:33]
	v_mul_f64 v[20:21], v[20:21], v[26:27]
	v_add_f64 v[30:31], v[46:47], 0
	v_add_f64 v[28:29], v[28:29], 0
	v_fmac_f64_e32 v[20:21], v[22:23], v[24:25]
	v_mul_f64 v[24:25], v[18:19], v[6:7]
	v_mul_f64 v[6:7], v[16:17], v[6:7]
	v_add_f64 v[22:23], v[30:31], v[32:33]
	v_add_f64 v[20:21], v[28:29], v[20:21]
	v_fma_f64 v[24:25], v[16:17], v[4:5], -v[24:25]
	v_fmac_f64_e32 v[6:7], v[18:19], v[4:5]
	v_mul_f64 v[16:17], v[14:15], v[10:11]
	v_mul_f64 v[10:11], v[12:13], v[10:11]
	v_add_f64 v[4:5], v[22:23], v[24:25]
	v_add_f64 v[6:7], v[20:21], v[6:7]
	v_fma_f64 v[16:17], v[12:13], v[8:9], -v[16:17]
	v_fmac_f64_e32 v[10:11], v[14:15], v[8:9]
	v_add_f64 v[4:5], v[4:5], v[16:17]
	v_add_f64 v[6:7], v[6:7], v[10:11]
	s_barrier
	ds_write_b128 v44, v[4:7]
	s_waitcnt lgkmcnt(0)
	s_barrier
	s_and_saveexec_b64 s[6:7], s[14:15]
	s_cbranch_execz .LBB124_94
; %bb.93:
	ds_read_b128 v[4:7], v43
	ds_read_b128 v[8:11], v43 offset:16
	ds_read_b128 v[12:15], v43 offset:32
	;; [unrolled: 1-line block ×3, first 2 shown]
	s_waitcnt lgkmcnt(3)
	v_add_f64 v[0:1], v[0:1], v[4:5]
	v_add_f64 v[2:3], v[2:3], v[6:7]
	s_waitcnt lgkmcnt(2)
	v_add_f64 v[0:1], v[0:1], v[8:9]
	v_add_f64 v[4:5], v[2:3], v[10:11]
	s_waitcnt lgkmcnt(1)
	v_add_f64 v[6:7], v[0:1], v[12:13]
	ds_read_b128 v[0:3], v43 offset:64
	v_add_f64 v[4:5], v[4:5], v[14:15]
	s_waitcnt lgkmcnt(1)
	v_add_f64 v[8:9], v[6:7], v[16:17]
	v_add_f64 v[12:13], v[4:5], v[18:19]
	ds_read_b128 v[4:7], v43 offset:80
	s_waitcnt lgkmcnt(1)
	v_add_f64 v[14:15], v[8:9], v[0:1]
	ds_read_b128 v[8:11], v43 offset:96
	v_add_f64 v[12:13], v[12:13], v[2:3]
	ds_read_b128 v[0:3], v43 offset:112
	s_waitcnt lgkmcnt(2)
	v_add_f64 v[4:5], v[14:15], v[4:5]
	v_add_f64 v[6:7], v[12:13], v[6:7]
	s_waitcnt lgkmcnt(1)
	v_add_f64 v[4:5], v[4:5], v[8:9]
	v_add_f64 v[6:7], v[6:7], v[10:11]
	;; [unrolled: 3-line block ×3, first 2 shown]
.LBB124_94:
	s_or_b64 exec, exec, s[6:7]
	s_load_dwordx2 s[0:1], s[0:1], 0x78
	s_mul_hi_u32 s6, s34, s3
	s_mul_i32 s31, s31, s3
	s_add_i32 s6, s6, s31
	s_mul_i32 s3, s34, s3
	s_mul_i32 s6, s6, s33
	s_mul_hi_u32 s7, s3, s33
	s_add_i32 s7, s7, s6
	s_mul_i32 s6, s3, s33
	s_lshl_b64 s[6:7], s[6:7], 4
	s_waitcnt lgkmcnt(0)
	s_add_u32 s3, s0, s6
	s_addc_u32 s6, s1, s7
	s_mul_hi_i32 s1, s34, s2
	s_mul_i32 s0, s34, s2
	s_lshl_b64 s[0:1], s[0:1], 4
	s_add_u32 s8, s3, s0
	s_addc_u32 s9, s6, s1
	s_add_i32 s0, s2, 1
	s_cmp_ge_u32 s0, s33
	v_lshlrev_b32_e32 v168, 4, v204
	s_barrier
	s_cbranch_scc1 .LBB124_152
; %bb.95:
	s_mul_i32 s0, s26, s29
	s_mul_hi_u32 s1, s26, s28
	s_add_i32 s0, s1, s0
	s_mul_i32 s1, s27, s28
	s_add_i32 s1, s0, s1
	s_mul_i32 s0, s26, s28
	s_lshl_b64 s[0:1], s[0:1], 4
	v_mov_b32_e32 v4, s1
	v_subrev_co_u32_e32 v170, vcc, s0, v36
	v_and_b32_e32 v6, 48, v204
	s_nop 0
	v_subb_co_u32_e32 v171, vcc, v37, v4, vcc
	v_and_b32_e32 v4, 15, v204
	v_lshlrev_b32_e32 v7, 4, v6
	s_movk_i32 s0, 0x430
	v_lshrrev_b32_e32 v5, 4, v42
	v_mad_u32_u24 v209, v4, s0, v7
	v_or_b32_e32 v7, 0xf0, v168
	v_mad_u32_u24 v210, v4, s0, v7
	v_lshlrev_b32_e32 v7, 6, v5
	v_lshlrev_b32_e32 v12, 6, v205
	v_mad_u32_u24 v211, v4, s0, v7
	s_movk_i32 s0, 0x10c0
	v_mul_i32_i24_e32 v13, 0xffffffd0, v5
	v_add_u32_e32 v5, 0x200, v12
	v_mad_u32_u24 v216, v205, s0, v168
	v_or_b32_e32 v229, v6, v4
	v_mad_u64_u32 v[6:7], s[0:1], s20, v5, 0
	v_mov_b32_e32 v8, v7
	v_mad_u64_u32 v[8:9], s[0:1], s21, v5, v[8:9]
	v_mov_b32_e32 v5, v8
	v_lshlrev_b64 v[8:9], 4, v[38:39]
	v_sub_co_u32_e32 v6, vcc, v6, v8
	v_lshlrev_b32_e32 v206, 2, v205
	s_nop 0
	v_subb_co_u32_e32 v7, vcc, v5, v9, vcc
	v_lshl_add_u64 v[6:7], v[40:41], 0, v[6:7]
	v_add_u32_e32 v5, 0x530, v12
	v_lshl_add_u64 v[172:173], v[6:7], 0, 8
	v_mad_u64_u32 v[6:7], s[0:1], s20, v5, 0
	v_mov_b32_e32 v10, v7
	v_mad_u64_u32 v[10:11], s[0:1], s21, v5, v[10:11]
	v_mov_b32_e32 v5, v10
	v_sub_co_u32_e32 v6, vcc, v6, v8
	v_mov_b32_e32 v4, 0
	s_nop 0
	v_subb_co_u32_e32 v7, vcc, v5, v9, vcc
	v_add_u32_e32 v5, 0x220, v12
	v_lshl_add_u64 v[174:175], v[40:41], 0, v[6:7]
	v_mad_u64_u32 v[6:7], s[0:1], s20, v5, 0
	v_mov_b32_e32 v10, v7
	v_mad_u64_u32 v[10:11], s[0:1], s21, v5, v[10:11]
	v_mov_b32_e32 v5, v10
	v_sub_co_u32_e32 v6, vcc, v6, v8
	s_add_i32 s3, s33, -2
	s_nop 0
	v_subb_co_u32_e32 v7, vcc, v5, v9, vcc
	v_add_u32_e32 v5, 0x520, v12
	v_lshl_add_u64 v[176:177], v[40:41], 0, v[6:7]
	v_mad_u64_u32 v[6:7], s[0:1], s20, v5, 0
	v_mov_b32_e32 v10, v7
	v_mad_u64_u32 v[10:11], s[0:1], s21, v5, v[10:11]
	v_mov_b32_e32 v5, v10
	v_sub_co_u32_e32 v6, vcc, v6, v8
	v_add_u32_e32 v207, 0x4300, v168
	s_nop 0
	v_subb_co_u32_e32 v7, vcc, v5, v9, vcc
	v_add_u32_e32 v5, 0x210, v12
	v_lshl_add_u64 v[178:179], v[40:41], 0, v[6:7]
	v_mad_u64_u32 v[6:7], s[0:1], s20, v5, 0
	v_mov_b32_e32 v10, v7
	v_mad_u64_u32 v[10:11], s[0:1], s21, v5, v[10:11]
	v_mov_b32_e32 v5, v10
	v_sub_co_u32_e32 v6, vcc, v6, v8
	v_add_u32_e32 v208, 0x4700, v168
	s_nop 0
	v_subb_co_u32_e32 v7, vcc, v5, v9, vcc
	v_lshl_add_u64 v[6:7], v[40:41], 0, v[6:7]
	v_add_u32_e32 v5, 0x510, v12
	v_lshl_add_u64 v[180:181], v[6:7], 0, 8
	v_mad_u64_u32 v[6:7], s[0:1], s20, v5, 0
	v_mov_b32_e32 v10, v7
	v_mad_u64_u32 v[10:11], s[0:1], s21, v5, v[10:11]
	v_mov_b32_e32 v5, v10
	v_sub_co_u32_e32 v6, vcc, v6, v8
	v_cmp_gt_u32_e64 s[6:7], 64, v42
	s_nop 0
	v_subb_co_u32_e32 v7, vcc, v5, v9, vcc
	v_add_u32_e32 v5, 0x230, v12
	v_lshl_add_u64 v[182:183], v[40:41], 0, v[6:7]
	v_mad_u64_u32 v[6:7], s[0:1], s20, v5, 0
	v_mov_b32_e32 v10, v7
	v_mad_u64_u32 v[10:11], s[0:1], s21, v5, v[10:11]
	v_mov_b32_e32 v5, v10
	v_sub_co_u32_e32 v6, vcc, v6, v8
	v_or_b32_e32 v212, 1, v206
	s_nop 0
	v_subb_co_u32_e32 v7, vcc, v5, v9, vcc
	v_lshl_add_u64 v[6:7], v[40:41], 0, v[6:7]
	v_add_u32_e32 v5, 0x500, v12
	v_lshl_add_u64 v[184:185], v[6:7], 0, 8
	v_mad_u64_u32 v[6:7], s[0:1], s20, v5, 0
	v_mov_b32_e32 v10, v7
	v_mad_u64_u32 v[10:11], s[0:1], s21, v5, v[10:11]
	v_mov_b32_e32 v5, v10
	v_sub_co_u32_e32 v6, vcc, v6, v8
	v_or_b32_e32 v213, 2, v206
	s_nop 0
	v_subb_co_u32_e32 v7, vcc, v5, v9, vcc
	v_add_u32_e32 v5, 0x300, v12
	v_lshl_add_u64 v[186:187], v[40:41], 0, v[6:7]
	v_mad_u64_u32 v[6:7], s[0:1], s20, v5, 0
	v_mov_b32_e32 v10, v7
	v_mad_u64_u32 v[10:11], s[0:1], s21, v5, v[10:11]
	v_mov_b32_e32 v5, v10
	v_sub_co_u32_e32 v6, vcc, v6, v8
	v_or_b32_e32 v214, 3, v206
	s_nop 0
	v_subb_co_u32_e32 v7, vcc, v5, v9, vcc
	v_lshl_add_u64 v[6:7], v[40:41], 0, v[6:7]
	v_add_u32_e32 v5, 0x430, v12
	v_lshl_add_u64 v[188:189], v[6:7], 0, 8
	v_mad_u64_u32 v[6:7], s[0:1], s20, v5, 0
	v_mov_b32_e32 v10, v7
	v_mad_u64_u32 v[10:11], s[0:1], s21, v5, v[10:11]
	v_mov_b32_e32 v5, v10
	v_sub_co_u32_e32 v6, vcc, v6, v8
	v_add_u32_e32 v215, 0x4300, v12
	s_nop 0
	v_subb_co_u32_e32 v7, vcc, v5, v9, vcc
	v_add_u32_e32 v5, 0x310, v12
	v_lshl_add_u64 v[190:191], v[40:41], 0, v[6:7]
	v_mad_u64_u32 v[6:7], s[0:1], s20, v5, 0
	v_mov_b32_e32 v10, v7
	v_mad_u64_u32 v[10:11], s[0:1], s21, v5, v[10:11]
	v_mov_b32_e32 v5, v10
	v_sub_co_u32_e32 v6, vcc, v6, v8
	v_add_u32_e32 v217, 16, v206
	s_nop 0
	v_subb_co_u32_e32 v7, vcc, v5, v9, vcc
	v_lshl_add_u64 v[6:7], v[40:41], 0, v[6:7]
	v_add_u32_e32 v5, 0x420, v12
	v_lshl_add_u64 v[192:193], v[6:7], 0, 8
	v_mad_u64_u32 v[6:7], s[0:1], s20, v5, 0
	v_mov_b32_e32 v10, v7
	v_mad_u64_u32 v[10:11], s[0:1], s21, v5, v[10:11]
	v_mov_b32_e32 v5, v10
	v_sub_co_u32_e32 v6, vcc, v6, v8
	v_add_u32_e32 v218, 17, v206
	s_nop 0
	v_subb_co_u32_e32 v7, vcc, v5, v9, vcc
	v_add_u32_e32 v5, 0x320, v12
	v_lshl_add_u64 v[194:195], v[40:41], 0, v[6:7]
	v_mad_u64_u32 v[6:7], s[0:1], s20, v5, 0
	v_mov_b32_e32 v10, v7
	v_mad_u64_u32 v[10:11], s[0:1], s21, v5, v[10:11]
	v_mov_b32_e32 v5, v10
	v_sub_co_u32_e32 v6, vcc, v6, v8
	v_add_u32_e32 v219, 18, v206
	;; [unrolled: 21-line block ×3, first 2 shown]
	s_nop 0
	v_subb_co_u32_e32 v7, vcc, v5, v9, vcc
	v_lshl_add_u64 v[6:7], v[40:41], 0, v[6:7]
	v_add_u32_e32 v5, 0x400, v12
	v_lshl_add_u64 v[200:201], v[6:7], 0, 8
	v_mad_u64_u32 v[6:7], s[0:1], s20, v5, 0
	v_mov_b32_e32 v10, v7
	v_mad_u64_u32 v[10:11], s[0:1], s21, v5, v[10:11]
	v_mov_b32_e32 v5, v10
	v_sub_co_u32_e32 v6, vcc, v6, v8
	v_add_u32_e32 v222, 33, v206
	s_nop 0
	v_subb_co_u32_e32 v7, vcc, v5, v9, vcc
	v_lshl_add_u64 v[6:7], v[40:41], 0, v[6:7]
	v_add_u32_e32 v223, 34, v206
	v_add_u32_e32 v224, 35, v206
	v_add_u32_e32 v225, 48, v206
	v_add_u32_e32 v226, 49, v206
	v_add_u32_e32 v227, 50, v206
	v_add_u32_e32 v228, 51, v206
	s_add_i32 s22, s26, 64
	v_mov_b32_e32 v169, v4
	s_lshl_b64 s[10:11], s[20:21], 10
	v_lshl_add_u64 v[202:203], v[6:7], 0, 8
	v_add_u32_e32 v230, v211, v13
	s_cmp_eq_u32 s3, s2
	s_cselect_b32 s23, s30, 0
	s_and_saveexec_b64 s[0:1], s[4:5]
	s_cbranch_execz .LBB124_100
.LBB124_96:
	s_cmp_lg_u32 s23, 0
	s_cselect_b64 s[12:13], -1, 0
	v_cmp_le_i32_e32 vcc, s23, v204
	s_and_b64 s[12:13], s[12:13], vcc
	s_and_saveexec_b64 s[14:15], s[12:13]
	s_xor_b64 s[12:13], exec, s[14:15]
	s_cbranch_execz .LBB124_98
; %bb.97:
	v_mov_b32_e32 v5, v4
	v_mov_b32_e32 v6, v4
	;; [unrolled: 1-line block ×3, first 2 shown]
	ds_write_b128 v207, v[4:7]
.LBB124_98:
	s_andn2_saveexec_b64 s[12:13], s[12:13]
	s_cbranch_execz .LBB124_100
; %bb.99:
	s_ashr_i32 s12, s22, 31
	s_mul_i32 s13, s22, s29
	s_mul_hi_u32 s14, s22, s28
	s_add_i32 s13, s14, s13
	s_mul_i32 s12, s12, s28
	s_add_i32 s13, s13, s12
	s_mul_i32 s12, s22, s28
	v_lshl_add_u64 v[6:7], s[12:13], 4, v[170:171]
	global_load_dwordx4 v[6:9], v[6:7], off
	s_waitcnt vmcnt(0)
	ds_write2_b64 v207, v[6:7], v[8:9] offset1:1
.LBB124_100:                            ; =>This Inner Loop Header: Depth=1
	s_or_b64 exec, exec, s[0:1]
	s_cmp_eq_u32 s23, 0
	s_cselect_b64 s[12:13], -1, 0
	s_cmp_lg_u32 s23, 0
	s_cselect_b64 s[14:15], -1, 0
	v_lshl_add_u64 v[18:19], v[172:173], 0, v[168:169]
	s_and_b64 vcc, exec, s[14:15]
	s_waitcnt lgkmcnt(0)
	s_barrier
	s_cbranch_vccz .LBB124_108
; %bb.101:                              ;   in Loop: Header=BB124_100 Depth=1
	v_mov_b64_e32 v[10:11], 0
	v_cmp_gt_i32_e32 vcc, s23, v206
	v_mov_b64_e32 v[6:7], v[10:11]
	v_mov_b64_e32 v[8:9], v[10:11]
	s_and_saveexec_b64 s[0:1], vcc
	s_cbranch_execz .LBB124_103
; %bb.102:                              ;   in Loop: Header=BB124_100 Depth=1
	global_load_dwordx4 v[6:9], v[18:19], off offset:-8
.LBB124_103:                            ;   in Loop: Header=BB124_100 Depth=1
	s_or_b64 exec, exec, s[0:1]
	v_cmp_gt_i32_e32 vcc, s23, v212
	v_mov_b64_e32 v[12:13], v[10:11]
	s_and_saveexec_b64 s[0:1], vcc
	s_cbranch_execz .LBB124_105
; %bb.104:                              ;   in Loop: Header=BB124_100 Depth=1
	v_lshl_add_u64 v[10:11], v[180:181], 0, v[168:169]
	global_load_dwordx4 v[10:13], v[10:11], off offset:-8
.LBB124_105:                            ;   in Loop: Header=BB124_100 Depth=1
	s_or_b64 exec, exec, s[0:1]
	v_mov_b64_e32 v[14:15], 0
	v_cmp_gt_i32_e32 vcc, s23, v213
	s_mov_b64 s[20:21], 0
	v_mov_b64_e32 v[16:17], v[14:15]
	s_and_saveexec_b64 s[0:1], vcc
	s_cbranch_execz .LBB124_107
; %bb.106:                              ;   in Loop: Header=BB124_100 Depth=1
	v_lshl_add_u64 v[14:15], v[176:177], 0, v[168:169]
	global_load_dwordx4 v[14:17], v[14:15], off
.LBB124_107:                            ;   in Loop: Header=BB124_100 Depth=1
	s_or_b64 exec, exec, s[0:1]
	v_cmp_gt_i32_e64 s[0:1], s23, v214
	s_mov_b64 s[16:17], 0
	s_and_b64 vcc, exec, s[20:21]
	s_cbranch_vccnz .LBB124_109
	s_branch .LBB124_110
.LBB124_108:                            ;   in Loop: Header=BB124_100 Depth=1
	s_mov_b64 s[0:1], 0
                                        ; implicit-def: $sgpr16_sgpr17
                                        ; implicit-def: $vgpr16_vgpr17
                                        ; implicit-def: $vgpr12_vgpr13
                                        ; implicit-def: $vgpr8_vgpr9
	s_cbranch_execz .LBB124_110
.LBB124_109:                            ;   in Loop: Header=BB124_100 Depth=1
	s_waitcnt vmcnt(0)
	v_lshl_add_u64 v[10:11], v[180:181], 0, v[168:169]
	v_lshl_add_u64 v[14:15], v[176:177], 0, v[168:169]
	global_load_dwordx4 v[6:9], v[18:19], off offset:-8
	s_or_b64 s[0:1], s[0:1], exec
	global_load_dwordx4 v[10:13], v[10:11], off offset:-8
                                        ; implicit-def: $sgpr16_sgpr17
	s_nop 0
	global_load_dwordx4 v[14:17], v[14:15], off
.LBB124_110:                            ;   in Loop: Header=BB124_100 Depth=1
	v_mov_b64_e32 v[18:19], s[16:17]
	v_mov_b64_e32 v[20:21], s[16:17]
	s_and_saveexec_b64 s[16:17], s[0:1]
	s_cbranch_execz .LBB124_112
; %bb.111:                              ;   in Loop: Header=BB124_100 Depth=1
	v_lshl_add_u64 v[18:19], v[184:185], 0, v[168:169]
	global_load_dwordx4 v[18:21], v[18:19], off offset:-8
.LBB124_112:                            ;   in Loop: Header=BB124_100 Depth=1
	s_or_b64 exec, exec, s[16:17]
	ds_read_b128 v[34:37], v208
	ds_read_b128 v[22:25], v215
	v_cndmask_b32_e64 v5, 0, 1, s[14:15]
	v_cmp_ne_u32_e64 s[0:1], 1, v5
	s_andn2_b64 vcc, exec, s[14:15]
	s_waitcnt vmcnt(0) lgkmcnt(1)
	v_mul_f64 v[26:27], v[8:9], v[36:37]
	v_mul_f64 v[28:29], v[6:7], v[36:37]
	;; [unrolled: 1-line block ×3, first 2 shown]
	v_fma_f64 v[26:27], v[6:7], v[34:35], -v[26:27]
	v_fmac_f64_e32 v[28:29], v[8:9], v[34:35]
	v_mul_f64 v[32:33], v[10:11], v[36:37]
	ds_write_b128 v216, v[26:29]
	v_fma_f64 v[30:31], v[10:11], v[34:35], -v[30:31]
	v_fmac_f64_e32 v[32:33], v[12:13], v[34:35]
	v_mul_f64 v[38:39], v[16:17], v[36:37]
	v_mul_f64 v[40:41], v[14:15], v[36:37]
	ds_read_b128 v[26:29], v215 offset:16
	ds_write_b128 v216, v[30:33] offset:1072
	v_fma_f64 v[38:39], v[14:15], v[34:35], -v[38:39]
	v_fmac_f64_e32 v[40:41], v[16:17], v[34:35]
	v_mul_f64 v[42:43], v[20:21], v[36:37]
	v_mul_f64 v[44:45], v[18:19], v[36:37]
	ds_read_b128 v[30:33], v215 offset:32
	ds_write_b128 v216, v[38:41] offset:2144
	v_fma_f64 v[42:43], v[18:19], v[34:35], -v[42:43]
	v_fmac_f64_e32 v[44:45], v[20:21], v[34:35]
	ds_read_b128 v[38:41], v215 offset:48
	ds_write_b128 v216, v[42:45] offset:3216
	s_waitcnt lgkmcnt(0)
	s_barrier
	ds_read_b128 v[98:101], v211
	ds_read_b128 v[94:97], v211 offset:16
	ds_read_b128 v[86:89], v211 offset:32
	;; [unrolled: 1-line block ×3, first 2 shown]
	v_lshl_add_u64 v[50:51], v[188:189], 0, v[168:169]
	s_waitcnt lgkmcnt(0)
	s_barrier
	s_cbranch_vccnz .LBB124_120
; %bb.113:                              ;   in Loop: Header=BB124_100 Depth=1
	v_mov_b64_e32 v[42:43], 0
	v_cmp_gt_i32_e32 vcc, s23, v217
	v_mov_b64_e32 v[34:35], v[42:43]
	v_mov_b64_e32 v[36:37], v[42:43]
	s_and_saveexec_b64 s[14:15], vcc
	s_cbranch_execz .LBB124_115
; %bb.114:                              ;   in Loop: Header=BB124_100 Depth=1
	global_load_dwordx4 v[34:37], v[50:51], off offset:-8
.LBB124_115:                            ;   in Loop: Header=BB124_100 Depth=1
	s_or_b64 exec, exec, s[14:15]
	v_cmp_gt_i32_e32 vcc, s23, v218
	v_mov_b64_e32 v[44:45], v[42:43]
	s_and_saveexec_b64 s[14:15], vcc
	s_cbranch_execz .LBB124_117
; %bb.116:                              ;   in Loop: Header=BB124_100 Depth=1
	v_lshl_add_u64 v[42:43], v[192:193], 0, v[168:169]
	global_load_dwordx4 v[42:45], v[42:43], off offset:-8
.LBB124_117:                            ;   in Loop: Header=BB124_100 Depth=1
	s_or_b64 exec, exec, s[14:15]
	v_mov_b64_e32 v[46:47], 0
	v_cmp_gt_i32_e32 vcc, s23, v219
	s_mov_b64 s[20:21], 0
	v_mov_b64_e32 v[48:49], v[46:47]
	s_and_saveexec_b64 s[14:15], vcc
	s_cbranch_execz .LBB124_119
; %bb.118:                              ;   in Loop: Header=BB124_100 Depth=1
	v_lshl_add_u64 v[46:47], v[196:197], 0, v[168:169]
	global_load_dwordx4 v[46:49], v[46:47], off offset:-8
.LBB124_119:                            ;   in Loop: Header=BB124_100 Depth=1
	s_or_b64 exec, exec, s[14:15]
	v_cmp_gt_i32_e64 s[14:15], s23, v220
	s_mov_b64 s[16:17], 0
	s_and_b64 vcc, exec, s[20:21]
	s_cbranch_vccnz .LBB124_121
	s_branch .LBB124_122
.LBB124_120:                            ;   in Loop: Header=BB124_100 Depth=1
	s_mov_b64 s[14:15], 0
                                        ; implicit-def: $sgpr16_sgpr17
                                        ; implicit-def: $vgpr48_vgpr49
                                        ; implicit-def: $vgpr44_vgpr45
                                        ; implicit-def: $vgpr36_vgpr37
	s_cbranch_execz .LBB124_122
.LBB124_121:                            ;   in Loop: Header=BB124_100 Depth=1
	s_waitcnt vmcnt(0)
	v_lshl_add_u64 v[42:43], v[192:193], 0, v[168:169]
	v_lshl_add_u64 v[46:47], v[196:197], 0, v[168:169]
	global_load_dwordx4 v[34:37], v[50:51], off offset:-8
	s_or_b64 s[14:15], s[14:15], exec
	global_load_dwordx4 v[42:45], v[42:43], off offset:-8
                                        ; implicit-def: $sgpr16_sgpr17
	s_nop 0
	global_load_dwordx4 v[46:49], v[46:47], off offset:-8
.LBB124_122:                            ;   in Loop: Header=BB124_100 Depth=1
	v_mov_b64_e32 v[50:51], s[16:17]
	v_mov_b64_e32 v[52:53], s[16:17]
	s_and_saveexec_b64 s[16:17], s[14:15]
	s_cbranch_execz .LBB124_124
; %bb.123:                              ;   in Loop: Header=BB124_100 Depth=1
	v_lshl_add_u64 v[50:51], v[200:201], 0, v[168:169]
	global_load_dwordx4 v[50:53], v[50:51], off offset:-8
.LBB124_124:                            ;   in Loop: Header=BB124_100 Depth=1
	s_or_b64 exec, exec, s[16:17]
	ds_read_b128 v[66:69], v208
	ds_read_b128 v[54:57], v215 offset:256
	s_and_b64 vcc, exec, s[0:1]
	v_lshl_add_u64 v[90:91], v[202:203], 0, v[168:169]
	s_waitcnt vmcnt(0) lgkmcnt(1)
	v_mul_f64 v[58:59], v[36:37], v[68:69]
	v_mul_f64 v[60:61], v[34:35], v[68:69]
	;; [unrolled: 1-line block ×3, first 2 shown]
	v_fma_f64 v[58:59], v[34:35], v[66:67], -v[58:59]
	v_fmac_f64_e32 v[60:61], v[36:37], v[66:67]
	v_mul_f64 v[64:65], v[42:43], v[68:69]
	ds_write_b128 v216, v[58:61]
	v_fma_f64 v[62:63], v[42:43], v[66:67], -v[62:63]
	v_fmac_f64_e32 v[64:65], v[44:45], v[66:67]
	v_mul_f64 v[70:71], v[48:49], v[68:69]
	v_mul_f64 v[72:73], v[46:47], v[68:69]
	ds_read_b128 v[58:61], v215 offset:272
	ds_write_b128 v216, v[62:65] offset:1072
	v_fma_f64 v[70:71], v[46:47], v[66:67], -v[70:71]
	v_fmac_f64_e32 v[72:73], v[48:49], v[66:67]
	ds_read_b128 v[62:65], v215 offset:288
	ds_write_b128 v216, v[70:73] offset:2144
	v_mul_f64 v[70:71], v[52:53], v[68:69]
	v_mul_f64 v[72:73], v[50:51], v[68:69]
	v_fma_f64 v[70:71], v[50:51], v[66:67], -v[70:71]
	v_fmac_f64_e32 v[72:73], v[52:53], v[66:67]
	ds_read_b128 v[74:77], v215 offset:304
	ds_write_b128 v216, v[70:73] offset:3216
	s_waitcnt lgkmcnt(0)
	s_barrier
	ds_read_b128 v[146:149], v211
	ds_read_b128 v[142:145], v211 offset:16
	ds_read_b128 v[138:141], v211 offset:32
	;; [unrolled: 1-line block ×3, first 2 shown]
	s_waitcnt lgkmcnt(0)
	s_barrier
	s_cbranch_vccnz .LBB124_132
; %bb.125:                              ;   in Loop: Header=BB124_100 Depth=1
	v_mov_b64_e32 v[70:71], 0
	v_cmp_gt_i32_e32 vcc, s23, v221
	v_mov_b64_e32 v[66:67], v[70:71]
	v_mov_b64_e32 v[68:69], v[70:71]
	s_and_saveexec_b64 s[14:15], vcc
	s_cbranch_execz .LBB124_127
; %bb.126:                              ;   in Loop: Header=BB124_100 Depth=1
	global_load_dwordx4 v[66:69], v[90:91], off offset:-8
.LBB124_127:                            ;   in Loop: Header=BB124_100 Depth=1
	s_or_b64 exec, exec, s[14:15]
	v_cmp_gt_i32_e32 vcc, s23, v222
	v_mov_b64_e32 v[72:73], v[70:71]
	s_and_saveexec_b64 s[14:15], vcc
	s_cbranch_execz .LBB124_129
; %bb.128:                              ;   in Loop: Header=BB124_100 Depth=1
	v_lshl_add_u64 v[70:71], v[198:199], 0, v[168:169]
	global_load_dwordx4 v[70:73], v[70:71], off
.LBB124_129:                            ;   in Loop: Header=BB124_100 Depth=1
	s_or_b64 exec, exec, s[14:15]
	v_mov_b64_e32 v[78:79], 0
	v_cmp_gt_i32_e32 vcc, s23, v223
	s_mov_b64 s[20:21], 0
	v_mov_b64_e32 v[80:81], v[78:79]
	s_and_saveexec_b64 s[14:15], vcc
	s_cbranch_execz .LBB124_131
; %bb.130:                              ;   in Loop: Header=BB124_100 Depth=1
	v_lshl_add_u64 v[78:79], v[194:195], 0, v[168:169]
	global_load_dwordx4 v[78:81], v[78:79], off
.LBB124_131:                            ;   in Loop: Header=BB124_100 Depth=1
	s_or_b64 exec, exec, s[14:15]
	v_cmp_gt_i32_e64 s[14:15], s23, v224
	s_mov_b64 s[16:17], 0
	s_and_b64 vcc, exec, s[20:21]
	s_cbranch_vccnz .LBB124_133
	s_branch .LBB124_134
.LBB124_132:                            ;   in Loop: Header=BB124_100 Depth=1
	s_mov_b64 s[14:15], 0
                                        ; implicit-def: $sgpr16_sgpr17
                                        ; implicit-def: $vgpr80_vgpr81
                                        ; implicit-def: $vgpr72_vgpr73
                                        ; implicit-def: $vgpr68_vgpr69
	s_cbranch_execz .LBB124_134
.LBB124_133:                            ;   in Loop: Header=BB124_100 Depth=1
	s_waitcnt vmcnt(0)
	v_lshl_add_u64 v[70:71], v[198:199], 0, v[168:169]
	v_lshl_add_u64 v[78:79], v[194:195], 0, v[168:169]
	global_load_dwordx4 v[66:69], v[90:91], off offset:-8
	s_or_b64 s[14:15], s[14:15], exec
	global_load_dwordx4 v[70:73], v[70:71], off
                                        ; implicit-def: $sgpr16_sgpr17
	s_nop 0
	global_load_dwordx4 v[78:81], v[78:79], off
.LBB124_134:                            ;   in Loop: Header=BB124_100 Depth=1
	v_mov_b64_e32 v[90:91], s[16:17]
	v_mov_b64_e32 v[92:93], s[16:17]
	s_and_saveexec_b64 s[16:17], s[14:15]
	s_cbranch_execz .LBB124_136
; %bb.135:                              ;   in Loop: Header=BB124_100 Depth=1
	v_lshl_add_u64 v[90:91], v[190:191], 0, v[168:169]
	global_load_dwordx4 v[90:93], v[90:91], off
.LBB124_136:                            ;   in Loop: Header=BB124_100 Depth=1
	s_or_b64 exec, exec, s[16:17]
	ds_read_b128 v[114:117], v208
	ds_read_b128 v[102:105], v215 offset:512
	s_and_b64 vcc, exec, s[0:1]
	v_lshl_add_u64 v[130:131], v[186:187], 0, v[168:169]
	s_waitcnt vmcnt(0) lgkmcnt(1)
	v_mul_f64 v[106:107], v[68:69], v[116:117]
	v_mul_f64 v[108:109], v[66:67], v[116:117]
	;; [unrolled: 1-line block ×3, first 2 shown]
	v_fma_f64 v[106:107], v[66:67], v[114:115], -v[106:107]
	v_fmac_f64_e32 v[108:109], v[68:69], v[114:115]
	v_mul_f64 v[112:113], v[70:71], v[116:117]
	ds_write_b128 v216, v[106:109]
	v_fma_f64 v[110:111], v[70:71], v[114:115], -v[110:111]
	v_fmac_f64_e32 v[112:113], v[72:73], v[114:115]
	v_mul_f64 v[118:119], v[80:81], v[116:117]
	v_mul_f64 v[120:121], v[78:79], v[116:117]
	ds_read_b128 v[106:109], v215 offset:528
	ds_write_b128 v216, v[110:113] offset:1072
	v_fma_f64 v[118:119], v[78:79], v[114:115], -v[118:119]
	v_fmac_f64_e32 v[120:121], v[80:81], v[114:115]
	v_mul_f64 v[122:123], v[92:93], v[116:117]
	v_mul_f64 v[124:125], v[90:91], v[116:117]
	ds_read_b128 v[110:113], v215 offset:544
	ds_write_b128 v216, v[118:121] offset:2144
	v_fma_f64 v[122:123], v[90:91], v[114:115], -v[122:123]
	v_fmac_f64_e32 v[124:125], v[92:93], v[114:115]
	ds_read_b128 v[118:121], v215 offset:560
	ds_write_b128 v216, v[122:125] offset:3216
	s_waitcnt lgkmcnt(0)
	s_barrier
	ds_read_b128 v[162:165], v211
	ds_read_b128 v[158:161], v211 offset:16
	ds_read_b128 v[154:157], v211 offset:32
	;; [unrolled: 1-line block ×3, first 2 shown]
	s_waitcnt lgkmcnt(0)
	s_barrier
	s_cbranch_vccnz .LBB124_144
; %bb.137:                              ;   in Loop: Header=BB124_100 Depth=1
	v_mov_b64_e32 v[122:123], 0
	v_cmp_gt_i32_e32 vcc, s23, v225
	v_mov_b64_e32 v[114:115], v[122:123]
	v_mov_b64_e32 v[116:117], v[122:123]
	s_and_saveexec_b64 s[0:1], vcc
	s_cbranch_execz .LBB124_139
; %bb.138:                              ;   in Loop: Header=BB124_100 Depth=1
	global_load_dwordx4 v[114:117], v[130:131], off
.LBB124_139:                            ;   in Loop: Header=BB124_100 Depth=1
	s_or_b64 exec, exec, s[0:1]
	v_cmp_gt_i32_e32 vcc, s23, v226
	v_mov_b64_e32 v[124:125], v[122:123]
	s_and_saveexec_b64 s[0:1], vcc
	s_cbranch_execz .LBB124_141
; %bb.140:                              ;   in Loop: Header=BB124_100 Depth=1
	v_lshl_add_u64 v[122:123], v[182:183], 0, v[168:169]
	global_load_dwordx4 v[122:125], v[122:123], off
.LBB124_141:                            ;   in Loop: Header=BB124_100 Depth=1
	s_or_b64 exec, exec, s[0:1]
	v_mov_b64_e32 v[126:127], 0
	v_cmp_gt_i32_e32 vcc, s23, v227
	s_mov_b64 s[16:17], 0
	v_mov_b64_e32 v[128:129], v[126:127]
	s_and_saveexec_b64 s[0:1], vcc
	s_cbranch_execz .LBB124_143
; %bb.142:                              ;   in Loop: Header=BB124_100 Depth=1
	v_lshl_add_u64 v[126:127], v[178:179], 0, v[168:169]
	global_load_dwordx4 v[126:129], v[126:127], off
.LBB124_143:                            ;   in Loop: Header=BB124_100 Depth=1
	s_or_b64 exec, exec, s[0:1]
	v_cmp_gt_i32_e64 s[0:1], s23, v228
	s_mov_b64 s[14:15], 0
	s_and_b64 vcc, exec, s[16:17]
	s_cbranch_vccnz .LBB124_145
	s_branch .LBB124_146
.LBB124_144:                            ;   in Loop: Header=BB124_100 Depth=1
	s_mov_b64 s[0:1], 0
                                        ; implicit-def: $sgpr14_sgpr15
                                        ; implicit-def: $vgpr128_vgpr129
                                        ; implicit-def: $vgpr124_vgpr125
                                        ; implicit-def: $vgpr116_vgpr117
	s_cbranch_execz .LBB124_146
.LBB124_145:                            ;   in Loop: Header=BB124_100 Depth=1
	s_waitcnt vmcnt(0)
	v_lshl_add_u64 v[122:123], v[182:183], 0, v[168:169]
	v_lshl_add_u64 v[126:127], v[178:179], 0, v[168:169]
	global_load_dwordx4 v[114:117], v[130:131], off
	s_or_b64 s[0:1], s[0:1], exec
	global_load_dwordx4 v[122:125], v[122:123], off
                                        ; implicit-def: $sgpr14_sgpr15
	s_nop 0
	global_load_dwordx4 v[126:129], v[126:127], off
.LBB124_146:                            ;   in Loop: Header=BB124_100 Depth=1
	v_mov_b64_e32 v[130:131], s[14:15]
	v_mov_b64_e32 v[132:133], s[14:15]
	s_and_saveexec_b64 s[14:15], s[0:1]
	s_cbranch_execz .LBB124_148
; %bb.147:                              ;   in Loop: Header=BB124_100 Depth=1
	v_lshl_add_u64 v[130:131], v[174:175], 0, v[168:169]
	global_load_dwordx4 v[130:133], v[130:131], off
.LBB124_148:                            ;   in Loop: Header=BB124_100 Depth=1
	s_or_b64 exec, exec, s[14:15]
	v_add_f64 v[146:147], v[146:147], 0
	v_add_f64 v[148:149], v[148:149], 0
	;; [unrolled: 1-line block ×6, first 2 shown]
	ds_read_b128 v[142:145], v208
	v_add_f64 v[162:163], v[162:163], 0
	v_add_f64 v[98:99], v[98:99], 0
	;; [unrolled: 1-line block ×11, first 2 shown]
	ds_read_b128 v[86:89], v215 offset:768
	s_waitcnt vmcnt(0) lgkmcnt(1)
	v_mul_f64 v[94:95], v[116:117], v[144:145]
	v_mul_f64 v[96:97], v[114:115], v[144:145]
	v_fma_f64 v[94:95], v[114:115], v[142:143], -v[94:95]
	v_fmac_f64_e32 v[96:97], v[116:117], v[142:143]
	v_mul_f64 v[98:99], v[124:125], v[144:145]
	v_mul_f64 v[100:101], v[122:123], v[144:145]
	v_add_f64 v[138:139], v[138:139], v[134:135]
	v_add_f64 v[140:141], v[140:141], v[136:137]
	ds_write_b128 v216, v[94:97]
	v_fma_f64 v[98:99], v[122:123], v[142:143], -v[98:99]
	v_fmac_f64_e32 v[100:101], v[124:125], v[142:143]
	v_mul_f64 v[134:135], v[128:129], v[144:145]
	v_mul_f64 v[136:137], v[126:127], v[144:145]
	ds_read_b128 v[94:97], v215 offset:784
	ds_write_b128 v216, v[98:101] offset:1072
	v_fma_f64 v[134:135], v[126:127], v[142:143], -v[134:135]
	v_fmac_f64_e32 v[136:137], v[128:129], v[142:143]
	v_mul_f64 v[146:147], v[132:133], v[144:145]
	v_mul_f64 v[148:149], v[130:131], v[144:145]
	ds_read_b128 v[98:101], v215 offset:800
	ds_write_b128 v216, v[134:137] offset:2144
	v_fma_f64 v[146:147], v[130:131], v[142:143], -v[146:147]
	v_fmac_f64_e32 v[148:149], v[132:133], v[142:143]
	v_add_f64 v[164:165], v[164:165], 0
	ds_read_b128 v[134:137], v215 offset:816
	ds_write_b128 v216, v[146:149] offset:3216
	s_waitcnt lgkmcnt(0)
	s_barrier
	ds_read_b128 v[142:145], v211
	v_add_f64 v[160:161], v[164:165], v[160:161]
	v_add_f64 v[156:157], v[160:161], v[156:157]
	;; [unrolled: 1-line block ×4, first 2 shown]
	ds_read_b128 v[146:149], v211 offset:16
	ds_read_b128 v[154:157], v211 offset:32
	;; [unrolled: 1-line block ×3, first 2 shown]
	s_waitcnt lgkmcnt(3)
	v_add_f64 v[142:143], v[142:143], 0
	v_add_f64 v[144:145], v[144:145], 0
	v_cmp_gt_i32_e32 vcc, s23, v204
	s_waitcnt lgkmcnt(2)
	v_add_f64 v[142:143], v[142:143], v[146:147]
	v_add_f64 v[144:145], v[144:145], v[148:149]
	s_or_b64 s[0:1], s[12:13], vcc
	s_waitcnt lgkmcnt(1)
	v_add_f64 v[142:143], v[142:143], v[154:155]
	v_add_f64 v[144:145], v[144:145], v[156:157]
	s_and_b64 s[12:13], s[6:7], s[0:1]
	s_waitcnt lgkmcnt(0)
	v_add_f64 v[142:143], v[142:143], v[158:159]
	v_add_f64 v[144:145], v[144:145], v[160:161]
	s_barrier
	ds_write_b128 v230, v[82:85]
	ds_write_b128 v230, v[138:141] offset:256
	ds_write_b128 v230, v[150:153] offset:512
	;; [unrolled: 1-line block ×3, first 2 shown]
	s_waitcnt lgkmcnt(0)
	s_barrier
	s_and_saveexec_b64 s[0:1], s[12:13]
	s_cbranch_execz .LBB124_150
; %bb.149:                              ;   in Loop: Header=BB124_100 Depth=1
	ds_read_b128 v[82:85], v209
	ds_read_b128 v[138:141], v209 offset:16
	ds_read_b128 v[142:145], v209 offset:32
	;; [unrolled: 1-line block ×3, first 2 shown]
	s_waitcnt lgkmcnt(2)
	v_add_f64 v[82:83], v[138:139], v[82:83]
	v_add_f64 v[138:139], v[140:141], v[84:85]
	s_waitcnt lgkmcnt(1)
	v_add_f64 v[140:141], v[82:83], v[142:143]
	ds_read_b128 v[82:85], v209 offset:64
	v_add_f64 v[142:143], v[138:139], v[144:145]
	s_waitcnt lgkmcnt(1)
	v_add_f64 v[144:145], v[140:141], v[146:147]
	ds_read_b128 v[138:141], v209 offset:80
	;; [unrolled: 4-line block ×9, first 2 shown]
	v_add_f64 v[84:85], v[146:147], v[84:85]
	s_waitcnt lgkmcnt(1)
	v_add_f64 v[138:139], v[82:83], v[138:139]
	v_add_f64 v[146:147], v[84:85], v[140:141]
	ds_read_b128 v[82:85], v209 offset:208
	s_waitcnt lgkmcnt(1)
	v_add_f64 v[148:149], v[138:139], v[142:143]
	ds_read_b128 v[138:141], v209 offset:224
	v_add_f64 v[146:147], v[146:147], v[144:145]
	ds_read_b128 v[142:145], v210
	s_waitcnt lgkmcnt(2)
	v_add_f64 v[82:83], v[148:149], v[82:83]
	v_add_f64 v[84:85], v[146:147], v[84:85]
	s_waitcnt lgkmcnt(1)
	v_add_f64 v[82:83], v[82:83], v[138:139]
	v_add_u32_e32 v138, s22, v229
	v_add_f64 v[84:85], v[84:85], v[140:141]
	v_ashrrev_i32_e32 v139, 31, v138
	s_waitcnt lgkmcnt(0)
	v_add_f64 v[82:83], v[82:83], v[142:143]
	v_add_f64 v[84:85], v[84:85], v[144:145]
	v_lshl_add_u64 v[138:139], v[138:139], 4, s[8:9]
	global_store_dwordx4 v[138:139], v[82:85], off
.LBB124_150:                            ;   in Loop: Header=BB124_100 Depth=1
	s_or_b64 exec, exec, s[0:1]
	s_nop 0
	v_mul_f64 v[82:83], v[8:9], v[24:25]
	v_fma_f64 v[82:83], v[6:7], v[22:23], -v[82:83]
	v_mul_f64 v[6:7], v[6:7], v[24:25]
	v_mul_f64 v[24:25], v[12:13], v[28:29]
	v_add_f64 v[0:1], v[0:1], v[82:83]
	v_fma_f64 v[24:25], v[10:11], v[26:27], -v[24:25]
	v_add_f64 v[0:1], v[0:1], v[24:25]
	v_mul_f64 v[24:25], v[16:17], v[32:33]
	v_fma_f64 v[24:25], v[14:15], v[30:31], -v[24:25]
	v_add_f64 v[0:1], v[0:1], v[24:25]
	v_mul_f64 v[24:25], v[20:21], v[40:41]
	v_fmac_f64_e32 v[6:7], v[8:9], v[22:23]
	v_fma_f64 v[24:25], v[18:19], v[38:39], -v[24:25]
	v_add_f64 v[2:3], v[2:3], v[6:7]
	v_mul_f64 v[6:7], v[36:37], v[56:57]
	v_add_f64 v[0:1], v[0:1], v[24:25]
	v_fma_f64 v[6:7], v[34:35], v[54:55], -v[6:7]
	v_add_f64 v[0:1], v[0:1], v[6:7]
	v_mul_f64 v[6:7], v[44:45], v[60:61]
	v_fma_f64 v[6:7], v[42:43], v[58:59], -v[6:7]
	v_add_f64 v[0:1], v[0:1], v[6:7]
	v_mul_f64 v[6:7], v[48:49], v[64:65]
	;; [unrolled: 3-line block ×3, first 2 shown]
	v_fma_f64 v[6:7], v[50:51], v[74:75], -v[6:7]
	v_mul_f64 v[10:11], v[10:11], v[28:29]
	v_add_f64 v[0:1], v[0:1], v[6:7]
	v_mul_f64 v[6:7], v[68:69], v[104:105]
	v_mul_f64 v[14:15], v[14:15], v[32:33]
	v_fmac_f64_e32 v[10:11], v[12:13], v[26:27]
	v_fma_f64 v[6:7], v[66:67], v[102:103], -v[6:7]
	v_mul_f64 v[18:19], v[18:19], v[40:41]
	v_add_f64 v[2:3], v[2:3], v[10:11]
	v_fmac_f64_e32 v[14:15], v[16:17], v[30:31]
	v_add_f64 v[0:1], v[0:1], v[6:7]
	v_mul_f64 v[6:7], v[72:73], v[108:109]
	v_add_f64 v[2:3], v[2:3], v[14:15]
	v_fmac_f64_e32 v[18:19], v[20:21], v[38:39]
	v_mul_f64 v[8:9], v[34:35], v[56:57]
	v_fma_f64 v[6:7], v[70:71], v[106:107], -v[6:7]
	v_add_f64 v[2:3], v[2:3], v[18:19]
	v_mul_f64 v[10:11], v[42:43], v[60:61]
	v_fmac_f64_e32 v[8:9], v[36:37], v[54:55]
	v_add_f64 v[0:1], v[0:1], v[6:7]
	v_mul_f64 v[6:7], v[80:81], v[112:113]
	v_mul_f64 v[12:13], v[46:47], v[64:65]
	v_add_f64 v[2:3], v[2:3], v[8:9]
	v_fmac_f64_e32 v[10:11], v[44:45], v[58:59]
	v_fma_f64 v[6:7], v[78:79], v[110:111], -v[6:7]
	v_mul_f64 v[14:15], v[50:51], v[76:77]
	v_add_f64 v[2:3], v[2:3], v[10:11]
	v_fmac_f64_e32 v[12:13], v[48:49], v[62:63]
	v_add_f64 v[0:1], v[0:1], v[6:7]
	v_mul_f64 v[6:7], v[92:93], v[120:121]
	v_add_f64 v[2:3], v[2:3], v[12:13]
	v_fmac_f64_e32 v[14:15], v[52:53], v[74:75]
	v_mul_f64 v[8:9], v[66:67], v[104:105]
	v_fma_f64 v[6:7], v[90:91], v[118:119], -v[6:7]
	v_add_f64 v[2:3], v[2:3], v[14:15]
	v_mul_f64 v[10:11], v[70:71], v[108:109]
	v_add_f64 v[0:1], v[0:1], v[6:7]
	v_fmac_f64_e32 v[8:9], v[68:69], v[102:103]
	v_mul_f64 v[6:7], v[116:117], v[88:89]
	v_mul_f64 v[12:13], v[78:79], v[112:113]
	v_add_f64 v[2:3], v[2:3], v[8:9]
	v_fmac_f64_e32 v[10:11], v[72:73], v[106:107]
	v_fma_f64 v[6:7], v[114:115], v[86:87], -v[6:7]
	v_mul_f64 v[14:15], v[90:91], v[120:121]
	v_add_f64 v[2:3], v[2:3], v[10:11]
	v_fmac_f64_e32 v[12:13], v[80:81], v[110:111]
	v_add_f64 v[0:1], v[0:1], v[6:7]
	v_mul_f64 v[6:7], v[124:125], v[96:97]
	v_add_f64 v[2:3], v[2:3], v[12:13]
	v_fmac_f64_e32 v[14:15], v[92:93], v[118:119]
	v_mul_f64 v[8:9], v[114:115], v[88:89]
	v_fma_f64 v[6:7], v[122:123], v[94:95], -v[6:7]
	v_add_f64 v[2:3], v[2:3], v[14:15]
	v_mul_f64 v[10:11], v[122:123], v[96:97]
	v_add_f64 v[0:1], v[0:1], v[6:7]
	v_mul_f64 v[6:7], v[128:129], v[100:101]
	v_fmac_f64_e32 v[8:9], v[116:117], v[86:87]
	v_fma_f64 v[6:7], v[126:127], v[98:99], -v[6:7]
	v_mul_f64 v[12:13], v[126:127], v[100:101]
	v_fmac_f64_e32 v[10:11], v[124:125], v[94:95]
	v_add_f64 v[2:3], v[2:3], v[8:9]
	v_add_f64 v[0:1], v[0:1], v[6:7]
	v_mul_f64 v[6:7], v[132:133], v[136:137]
	v_mul_f64 v[14:15], v[130:131], v[136:137]
	v_fmac_f64_e32 v[12:13], v[128:129], v[98:99]
	v_add_f64 v[2:3], v[2:3], v[10:11]
	v_fma_f64 v[6:7], v[130:131], v[134:135], -v[6:7]
	v_fmac_f64_e32 v[14:15], v[132:133], v[134:135]
	v_add_f64 v[2:3], v[2:3], v[12:13]
	s_add_i32 s0, s2, 1
	s_add_i32 s22, s22, 64
	;; [unrolled: 1-line block ×3, first 2 shown]
	v_add_f64 v[0:1], v[0:1], v[6:7]
	v_add_f64 v[2:3], v[2:3], v[14:15]
	v_lshl_add_u64 v[172:173], v[172:173], 0, s[10:11]
	v_lshl_add_u64 v[174:175], v[174:175], 0, s[10:11]
	;; [unrolled: 1-line block ×15, first 2 shown]
	s_cmp_ge_u32 s1, s33
	v_lshl_add_u64 v[202:203], v[202:203], 0, s[10:11]
	s_barrier
	s_cbranch_scc1 .LBB124_152
; %bb.151:                              ;   in Loop: Header=BB124_100 Depth=1
	s_mov_b32 s2, s0
	s_cmp_eq_u32 s3, s2
	s_cselect_b32 s23, s30, 0
	s_and_saveexec_b64 s[0:1], s[4:5]
	s_cbranch_execnz .LBB124_96
	s_branch .LBB124_100
.LBB124_152:
	s_movk_i32 s0, 0x430
	v_cmp_gt_i32_e32 vcc, s24, v204
	v_mad_u32_u24 v4, v205, s0, v168
	s_or_b64 s[0:1], s[18:19], vcc
	s_and_b64 s[0:1], s[4:5], s[0:1]
	ds_write_b128 v4, v[0:3]
	s_waitcnt lgkmcnt(0)
	s_barrier
	s_and_saveexec_b64 s[2:3], s[0:1]
	s_cbranch_execz .LBB124_154
; %bb.153:
	ds_read_b128 v[0:3], v168 offset:1072
	ds_read_b128 v[4:7], v168
	ds_read_b128 v[8:11], v168 offset:2144
	ds_read_b128 v[12:15], v168 offset:3216
	s_waitcnt lgkmcnt(2)
	v_add_f64 v[0:1], v[0:1], v[4:5]
	v_add_f64 v[2:3], v[2:3], v[6:7]
	s_waitcnt lgkmcnt(1)
	v_add_f64 v[0:1], v[0:1], v[8:9]
	v_add_f64 v[2:3], v[2:3], v[10:11]
	;; [unrolled: 3-line block ×3, first 2 shown]
	v_lshl_add_u64 v[4:5], v[166:167], 4, s[8:9]
	global_store_dwordx4 v[4:5], v[0:3], off
.LBB124_154:
	s_endpgm
	.section	.rodata,"a",@progbits
	.p2align	6, 0x0
	.amdhsa_kernel _ZL26rocblas_hemvn_kernel_upperILb0ELi64ELi4ELi33ELi32ELi16El19rocblas_complex_numIdEPKS1_PS1_EviT6_lT7_lT5_lS6_lS7_lS5_lT8_i
		.amdhsa_group_segment_fixed_size 19200
		.amdhsa_private_segment_fixed_size 0
		.amdhsa_kernarg_size 392
		.amdhsa_user_sgpr_count 2
		.amdhsa_user_sgpr_dispatch_ptr 0
		.amdhsa_user_sgpr_queue_ptr 0
		.amdhsa_user_sgpr_kernarg_segment_ptr 1
		.amdhsa_user_sgpr_dispatch_id 0
		.amdhsa_user_sgpr_kernarg_preload_length 0
		.amdhsa_user_sgpr_kernarg_preload_offset 0
		.amdhsa_user_sgpr_private_segment_size 0
		.amdhsa_uses_dynamic_stack 0
		.amdhsa_enable_private_segment 0
		.amdhsa_system_sgpr_workgroup_id_x 1
		.amdhsa_system_sgpr_workgroup_id_y 0
		.amdhsa_system_sgpr_workgroup_id_z 1
		.amdhsa_system_sgpr_workgroup_info 0
		.amdhsa_system_vgpr_workitem_id 1
		.amdhsa_next_free_vgpr 231
		.amdhsa_next_free_sgpr 40
		.amdhsa_accum_offset 232
		.amdhsa_reserve_vcc 1
		.amdhsa_float_round_mode_32 0
		.amdhsa_float_round_mode_16_64 0
		.amdhsa_float_denorm_mode_32 3
		.amdhsa_float_denorm_mode_16_64 3
		.amdhsa_dx10_clamp 1
		.amdhsa_ieee_mode 1
		.amdhsa_fp16_overflow 0
		.amdhsa_tg_split 0
		.amdhsa_exception_fp_ieee_invalid_op 0
		.amdhsa_exception_fp_denorm_src 0
		.amdhsa_exception_fp_ieee_div_zero 0
		.amdhsa_exception_fp_ieee_overflow 0
		.amdhsa_exception_fp_ieee_underflow 0
		.amdhsa_exception_fp_ieee_inexact 0
		.amdhsa_exception_int_div_zero 0
	.end_amdhsa_kernel
	.section	.text._ZL26rocblas_hemvn_kernel_upperILb0ELi64ELi4ELi33ELi32ELi16El19rocblas_complex_numIdEPKS1_PS1_EviT6_lT7_lT5_lS6_lS7_lS5_lT8_i,"axG",@progbits,_ZL26rocblas_hemvn_kernel_upperILb0ELi64ELi4ELi33ELi32ELi16El19rocblas_complex_numIdEPKS1_PS1_EviT6_lT7_lT5_lS6_lS7_lS5_lT8_i,comdat
.Lfunc_end124:
	.size	_ZL26rocblas_hemvn_kernel_upperILb0ELi64ELi4ELi33ELi32ELi16El19rocblas_complex_numIdEPKS1_PS1_EviT6_lT7_lT5_lS6_lS7_lS5_lT8_i, .Lfunc_end124-_ZL26rocblas_hemvn_kernel_upperILb0ELi64ELi4ELi33ELi32ELi16El19rocblas_complex_numIdEPKS1_PS1_EviT6_lT7_lT5_lS6_lS7_lS5_lT8_i
                                        ; -- End function
	.section	.AMDGPU.csdata,"",@progbits
; Kernel info:
; codeLenInByte = 10512
; NumSgprs: 46
; NumVgprs: 231
; NumAgprs: 0
; TotalNumVgprs: 231
; ScratchSize: 0
; MemoryBound: 1
; FloatMode: 240
; IeeeMode: 1
; LDSByteSize: 19200 bytes/workgroup (compile time only)
; SGPRBlocks: 5
; VGPRBlocks: 28
; NumSGPRsForWavesPerEU: 46
; NumVGPRsForWavesPerEU: 231
; AccumOffset: 232
; Occupancy: 2
; WaveLimiterHint : 0
; COMPUTE_PGM_RSRC2:SCRATCH_EN: 0
; COMPUTE_PGM_RSRC2:USER_SGPR: 2
; COMPUTE_PGM_RSRC2:TRAP_HANDLER: 0
; COMPUTE_PGM_RSRC2:TGID_X_EN: 1
; COMPUTE_PGM_RSRC2:TGID_Y_EN: 0
; COMPUTE_PGM_RSRC2:TGID_Z_EN: 1
; COMPUTE_PGM_RSRC2:TIDIG_COMP_CNT: 1
; COMPUTE_PGM_RSRC3_GFX90A:ACCUM_OFFSET: 57
; COMPUTE_PGM_RSRC3_GFX90A:TG_SPLIT: 0
	.section	.text._ZL26rocblas_hemvn_kernel_upperILb0ELi64ELi4ELi33ELi32ELi16Ei19rocblas_complex_numIdEPKS1_PS1_EviT6_lT7_lT5_lS6_lS7_lS5_lT8_i,"axG",@progbits,_ZL26rocblas_hemvn_kernel_upperILb0ELi64ELi4ELi33ELi32ELi16Ei19rocblas_complex_numIdEPKS1_PS1_EviT6_lT7_lT5_lS6_lS7_lS5_lT8_i,comdat
	.globl	_ZL26rocblas_hemvn_kernel_upperILb0ELi64ELi4ELi33ELi32ELi16Ei19rocblas_complex_numIdEPKS1_PS1_EviT6_lT7_lT5_lS6_lS7_lS5_lT8_i ; -- Begin function _ZL26rocblas_hemvn_kernel_upperILb0ELi64ELi4ELi33ELi32ELi16Ei19rocblas_complex_numIdEPKS1_PS1_EviT6_lT7_lT5_lS6_lS7_lS5_lT8_i
	.p2align	8
	.type	_ZL26rocblas_hemvn_kernel_upperILb0ELi64ELi4ELi33ELi32ELi16Ei19rocblas_complex_numIdEPKS1_PS1_EviT6_lT7_lT5_lS6_lS7_lS5_lT8_i,@function
_ZL26rocblas_hemvn_kernel_upperILb0ELi64ELi4ELi33ELi32ELi16Ei19rocblas_complex_numIdEPKS1_PS1_EviT6_lT7_lT5_lS6_lS7_lS5_lT8_i: ; @_ZL26rocblas_hemvn_kernel_upperILb0ELi64ELi4ELi33ELi32ELi16Ei19rocblas_complex_numIdEPKS1_PS1_EviT6_lT7_lT5_lS6_lS7_lS5_lT8_i
; %bb.0:
	s_load_dwordx2 s[4:5], s[0:1], 0x94
	s_add_u32 s12, s0, 0x88
	s_addc_u32 s13, s1, 0
	s_waitcnt lgkmcnt(0)
	s_lshr_b32 s6, s4, 16
	s_and_b32 s4, s4, 0xffff
	s_and_b32 s5, s5, 0xffff
	s_mul_i32 s4, s6, s4
	s_mul_i32 s4, s4, s5
	s_cmpk_lg_i32 s4, 0x100
	s_cbranch_scc1 .LBB125_154
; %bb.1:
	s_load_dwordx4 s[16:19], s[0:1], 0x8
	s_load_dwordx4 s[4:7], s[0:1], 0x58
	s_load_dwordx2 s[10:11], s[0:1], 0x68
	s_waitcnt lgkmcnt(0)
	v_cmp_neq_f64_e64 s[8:9], s[16:17], 0
	v_cmp_neq_f64_e64 s[14:15], s[18:19], 0
	s_or_b64 s[8:9], s[8:9], s[14:15]
	s_mov_b64 s[14:15], -1
	s_and_b64 vcc, exec, s[8:9]
	s_cbranch_vccnz .LBB125_3
; %bb.2:
	v_cmp_neq_f64_e64 s[6:7], s[6:7], 1.0
	v_cmp_neq_f64_e64 s[10:11], s[10:11], 0
	s_or_b64 s[14:15], s[6:7], s[10:11]
.LBB125_3:
	s_andn2_b64 vcc, exec, s[14:15]
	s_cbranch_vccnz .LBB125_154
; %bb.4:
	s_andn2_b64 vcc, exec, s[8:9]
	s_cbranch_vccnz .LBB125_154
; %bb.5:
	s_load_dword s30, s[12:13], 0x0
	s_load_dword s34, s[0:1], 0x0
	s_load_dwordx4 s[8:11], s[0:1], 0x38
	s_load_dwordx2 s[6:7], s[0:1], 0x48
	s_load_dword s33, s[0:1], 0x50
	s_mul_i32 s5, s3, s5
	s_mul_hi_u32 s12, s3, s4
	s_add_i32 s5, s12, s5
	s_mul_i32 s4, s3, s4
	s_lshl_b64 s[4:5], s[4:5], 4
	s_waitcnt lgkmcnt(0)
	s_add_u32 s10, s10, s4
	s_addc_u32 s11, s11, s5
	s_lshl_b64 s[4:5], s[6:7], 4
	s_add_u32 s4, s10, s4
	s_addc_u32 s5, s11, s5
	s_ashr_i32 s35, s34, 31
	s_lshr_b32 s7, s35, 26
	v_and_b32_e32 v168, 0x3ff, v0
	s_lshl_b32 s22, s2, 6
	s_add_i32 s7, s34, s7
	s_andn2_b32 s7, s7, 63
	v_add_u32_e32 v166, s22, v168
	v_bfe_u32 v167, v0, 10, 10
	s_add_i32 s6, s30, -1
	s_sub_i32 s31, s34, s7
	v_mul_lo_u32 v0, v166, s33
	s_cmp_eq_u32 s2, s6
	v_ashrrev_i32_e32 v1, 31, v0
	s_cselect_b32 s18, s31, 0
	v_lshl_add_u64 v[36:37], v[0:1], 4, s[4:5]
	v_cmp_eq_u32_e64 s[4:5], 0, v167
	s_and_saveexec_b64 s[6:7], s[4:5]
	s_cbranch_execz .LBB125_10
; %bb.6:
	s_cmp_lg_u32 s18, 0
	s_cselect_b64 s[10:11], -1, 0
	v_cmp_le_i32_e32 vcc, s18, v168
	v_mov_b32_e32 v0, 0x4700
	s_and_b64 s[10:11], s[10:11], vcc
	v_lshl_add_u32 v0, v168, 4, v0
	s_and_saveexec_b64 s[12:13], s[10:11]
	s_xor_b64 s[10:11], exec, s[12:13]
	s_cbranch_execz .LBB125_8
; %bb.7:
	v_mov_b32_e32 v2, 0
	v_mov_b32_e32 v3, v2
	;; [unrolled: 1-line block ×4, first 2 shown]
	ds_write_b128 v0, v[2:5]
                                        ; implicit-def: $vgpr0
.LBB125_8:
	s_andn2_saveexec_b64 s[10:11], s[10:11]
	s_cbranch_execz .LBB125_10
; %bb.9:
	global_load_dwordx4 v[2:5], v[36:37], off
	s_waitcnt vmcnt(0)
	ds_write2_b64 v0, v[2:3], v[4:5] offset1:1
.LBB125_10:
	s_or_b64 exec, exec, s[6:7]
	s_load_dwordx4 s[12:15], s[0:1], 0x20
	s_load_dword s24, s[0:1], 0x30
	s_mul_i32 s6, s3, s9
	s_mul_hi_u32 s7, s3, s8
	s_add_i32 s7, s7, s6
	s_mul_i32 s6, s3, s8
	s_lshl_b64 s[6:7], s[6:7], 4
	s_waitcnt lgkmcnt(0)
	s_add_u32 s8, s12, s6
	s_addc_u32 s9, s13, s7
	s_lshl_b64 s[6:7], s[14:15], 4
	s_add_u32 s8, s8, s6
	s_addc_u32 s9, s9, s7
	s_ashr_i32 s23, s22, 31
	v_lshl_add_u32 v42, v167, 6, v168
	s_lshl_b64 s[6:7], s[22:23], 4
	v_and_b32_e32 v4, 31, v168
	v_lshrrev_b32_e32 v5, 5, v42
	s_add_u32 s8, s8, s6
	s_addc_u32 s9, s9, s7
	v_mad_u64_u32 v[38:39], s[6:7], v5, s24, v[4:5]
	s_mul_i32 s6, s22, s24
	s_ashr_i32 s7, s6, 31
	s_lshl_b64 s[6:7], s[6:7], 4
	s_add_u32 s6, s6, s8
	s_addc_u32 s7, s7, s9
	s_cmp_eq_u32 s18, 0
	s_cselect_b64 s[20:21], -1, 0
	s_cmp_lg_u32 s18, 0
	v_ashrrev_i32_e32 v39, 31, v38
	s_cselect_b64 s[28:29], -1, 0
	v_lshl_add_u64 v[0:1], v[38:39], 4, s[6:7]
	s_and_b64 vcc, exec, s[28:29]
	v_cmp_gt_i32_e64 s[6:7], s18, v4
	v_lshlrev_b32_e32 v6, 4, v4
	v_mul_u32_u24_e32 v14, 33, v5
	s_cbranch_vccz .LBB125_28
; %bb.11:
	v_sub_co_u32_e32 v2, vcc, v0, v6
	s_ashr_i32 s19, s18, 31
	s_nop 0
	v_subbrev_co_u32_e32 v3, vcc, 0, v1, vcc
	v_lshl_add_u64 v[2:3], s[18:19], 4, v[2:3]
	v_lshl_add_u64 v[2:3], v[2:3], 0, -16
	v_cndmask_b32_e64 v3, v3, v1, s[6:7]
	v_cndmask_b32_e64 v2, v2, v0, s[6:7]
	v_cmp_le_i32_e32 vcc, s18, v5
	v_add_lshl_u32 v7, v14, v4, 4
	s_and_saveexec_b64 s[8:9], vcc
	s_xor_b64 s[8:9], exec, s[8:9]
	s_cbranch_execz .LBB125_13
; %bb.12:
	v_mov_b32_e32 v8, 0
	v_mov_b32_e32 v9, v8
	v_mov_b32_e32 v10, v8
	v_mov_b32_e32 v11, v8
	ds_write_b128 v7, v[8:11]
.LBB125_13:
	s_andn2_saveexec_b64 s[8:9], s[8:9]
	s_cbranch_execz .LBB125_15
; %bb.14:
	global_load_dwordx4 v[8:11], v[2:3], off
	s_waitcnt vmcnt(0)
	ds_write2_b64 v7, v[8:9], v[10:11] offset1:1
.LBB125_15:
	s_or_b64 exec, exec, s[8:9]
	v_add_u32_e32 v8, 8, v5
	v_cmp_le_i32_e32 vcc, s18, v8
	s_and_saveexec_b64 s[8:9], vcc
	s_xor_b64 s[8:9], exec, s[8:9]
	s_cbranch_execz .LBB125_17
; %bb.16:
	v_mul_u32_u24_e32 v8, 33, v8
	v_add_lshl_u32 v12, v8, v4, 4
	v_mov_b32_e32 v8, 0
	v_mov_b32_e32 v9, v8
	;; [unrolled: 1-line block ×4, first 2 shown]
	ds_write_b128 v12, v[8:11]
.LBB125_17:
	s_andn2_saveexec_b64 s[8:9], s[8:9]
	s_cbranch_execz .LBB125_19
; %bb.18:
	s_lshl_b32 s10, s24, 3
	s_ashr_i32 s11, s10, 31
	v_lshl_add_u64 v[8:9], s[10:11], 4, v[2:3]
	global_load_dwordx4 v[8:11], v[8:9], off
	v_add_u32_e32 v12, 0x1080, v7
	s_waitcnt vmcnt(0)
	ds_write2_b64 v12, v[8:9], v[10:11] offset1:1
.LBB125_19:
	s_or_b64 exec, exec, s[8:9]
	v_add_u32_e32 v8, 16, v5
	v_cmp_le_i32_e32 vcc, s18, v8
	s_and_saveexec_b64 s[8:9], vcc
	s_xor_b64 s[8:9], exec, s[8:9]
	s_cbranch_execz .LBB125_21
; %bb.20:
	v_mul_u32_u24_e32 v8, 33, v8
	v_add_lshl_u32 v12, v8, v4, 4
	v_mov_b32_e32 v8, 0
	v_mov_b32_e32 v9, v8
	;; [unrolled: 1-line block ×4, first 2 shown]
	ds_write_b128 v12, v[8:11]
.LBB125_21:
	s_andn2_saveexec_b64 s[8:9], s[8:9]
	s_cbranch_execz .LBB125_23
; %bb.22:
	s_lshl_b32 s10, s24, 4
	s_ashr_i32 s11, s10, 31
	v_lshl_add_u64 v[8:9], s[10:11], 4, v[2:3]
	global_load_dwordx4 v[8:11], v[8:9], off
	v_add_u32_e32 v12, 0x2100, v7
	s_waitcnt vmcnt(0)
	ds_write2_b64 v12, v[8:9], v[10:11] offset1:1
.LBB125_23:
	s_or_b64 exec, exec, s[8:9]
	v_add_u32_e32 v8, 24, v5
	v_cmp_le_i32_e32 vcc, s18, v8
	s_and_saveexec_b64 s[8:9], vcc
	s_xor_b64 s[8:9], exec, s[8:9]
	s_cbranch_execz .LBB125_25
; %bb.24:
	v_mov_b32_e32 v8, 0
	v_mov_b32_e32 v9, v8
	;; [unrolled: 1-line block ×4, first 2 shown]
	ds_write_b128 v7, v[8:11] offset:12672
                                        ; implicit-def: $vgpr7
.LBB125_25:
	s_andn2_saveexec_b64 s[8:9], s[8:9]
	s_cbranch_execz .LBB125_27
; %bb.26:
	s_mul_i32 s10, s24, 24
	s_ashr_i32 s11, s10, 31
	v_lshl_add_u64 v[8:9], s[10:11], 4, v[2:3]
	global_load_dwordx4 v[8:11], v[8:9], off
	v_add_u32_e32 v7, 0x3180, v7
	s_waitcnt vmcnt(0)
	ds_write2_b64 v7, v[8:9], v[10:11] offset1:1
.LBB125_27:
	s_or_b64 exec, exec, s[8:9]
	v_mov_b32_e32 v7, 0
	v_lshl_add_u64 v[2:3], v[2:3], 0, v[6:7]
	s_lshl_b64 s[8:9], s[18:19], 4
	v_mov_b32_e32 v7, s9
	v_subrev_co_u32_e32 v2, vcc, s8, v2
	s_nop 1
	v_subb_co_u32_e32 v3, vcc, v3, v7, vcc
	v_lshl_add_u64 v[2:3], v[2:3], 0, 16
	v_cndmask_b32_e64 v9, v3, v1, s[6:7]
	v_cndmask_b32_e64 v8, v2, v0, s[6:7]
	s_branch .LBB125_30
.LBB125_28:
                                        ; implicit-def: $vgpr8_vgpr9
	s_cbranch_execz .LBB125_30
; %bb.29:
	s_lshl_b32 s6, s24, 3
	s_ashr_i32 s7, s6, 31
	s_ashr_i32 s25, s24, 31
	v_lshl_add_u64 v[2:3], s[6:7], 4, v[0:1]
	global_load_dwordx4 v[8:11], v[0:1], off
	global_load_dwordx4 v[16:19], v[2:3], off
	s_lshl_b64 s[6:7], s[24:25], 7
	v_lshl_add_u64 v[2:3], v[2:3], 0, s[6:7]
	global_load_dwordx4 v[20:23], v[2:3], off
	v_lshl_add_u64 v[2:3], v[2:3], 0, s[6:7]
	global_load_dwordx4 v[24:27], v[2:3], off
	v_add_lshl_u32 v2, v14, v4, 4
	v_add_u32_e32 v3, 0x1080, v2
	v_add_u32_e32 v7, 0x2100, v2
	;; [unrolled: 1-line block ×3, first 2 shown]
	s_waitcnt vmcnt(3)
	ds_write2_b64 v2, v[8:9], v[10:11] offset1:1
	s_waitcnt vmcnt(2)
	ds_write2_b64 v3, v[16:17], v[18:19] offset1:1
	;; [unrolled: 2-line block ×4, first 2 shown]
	v_mov_b64_e32 v[8:9], v[0:1]
.LBB125_30:
	v_lshlrev_b32_e32 v0, 2, v5
	v_mul_u32_u24_e32 v15, 33, v4
	v_cmp_gt_u32_e64 s[6:7], v0, v4
	v_add_lshl_u32 v17, v0, v15, 4
	s_waitcnt lgkmcnt(0)
	s_barrier
	s_and_saveexec_b64 s[8:9], s[6:7]
	s_cbranch_execz .LBB125_32
; %bb.31:
	v_mul_u32_u24_e32 v1, 0x84, v5
	v_add_lshl_u32 v1, v1, v4, 4
	ds_read_b128 v[10:13], v1
	s_waitcnt lgkmcnt(0)
	ds_write_b128 v17, v[10:13]
.LBB125_32:
	s_or_b64 exec, exec, s[8:9]
	v_cmp_ge_u32_e64 s[8:9], v0, v4
	s_and_saveexec_b64 s[10:11], s[8:9]
	s_cbranch_execz .LBB125_34
; %bb.33:
	v_or_b32_e32 v1, 1, v0
	v_mul_u32_u24_e32 v1, 33, v1
	v_add_lshl_u32 v1, v1, v4, 4
	ds_read_b128 v[10:13], v1
	s_waitcnt lgkmcnt(0)
	ds_write_b128 v17, v[10:13] offset:16
.LBB125_34:
	s_or_b64 exec, exec, s[10:11]
	v_or_b32_e32 v1, 2, v0
	v_cmp_gt_u32_e64 s[10:11], v1, v4
	s_and_saveexec_b64 s[12:13], s[10:11]
	s_cbranch_execz .LBB125_36
; %bb.35:
	v_mul_u32_u24_e32 v1, 33, v1
	v_add_lshl_u32 v1, v1, v4, 4
	ds_read_b128 v[10:13], v1
	s_waitcnt lgkmcnt(0)
	ds_write_b128 v17, v[10:13] offset:32
.LBB125_36:
	s_or_b64 exec, exec, s[12:13]
	v_or_b32_e32 v1, 3, v0
	v_cmp_gt_u32_e64 s[12:13], v1, v4
	v_mad_u32_u24 v1, v1, 33, v4
	v_lshlrev_b32_e32 v16, 4, v1
	s_and_saveexec_b64 s[14:15], s[12:13]
	s_cbranch_execz .LBB125_38
; %bb.37:
	ds_read_b128 v[10:13], v16
	s_waitcnt lgkmcnt(0)
	ds_write_b128 v17, v[10:13] offset:48
.LBB125_38:
	s_or_b64 exec, exec, s[14:15]
	v_mul_u32_u24_e32 v1, 0x84, v5
	v_lshlrev_b32_e32 v18, 4, v0
	s_waitcnt lgkmcnt(0)
	s_barrier
	v_add_lshl_u32 v24, v1, v4, 4
	ds_read_b128 v[0:3], v18 offset:18176
	ds_read_b128 v[10:13], v24
	ds_read_b128 v[20:23], v18 offset:18192
	ds_read_b128 v[26:29], v18 offset:18208
	v_add_u32_e32 v25, 0xfffffbe0, v16
	ds_read_b128 v[30:33], v25
	ds_read_b128 v[44:47], v25 offset:528
	s_waitcnt lgkmcnt(4)
	v_mul_f64 v[34:35], v[2:3], v[12:13]
	v_fma_f64 v[34:35], v[0:1], v[10:11], -v[34:35]
	v_mul_f64 v[0:1], v[0:1], v[12:13]
	v_fmac_f64_e32 v[0:1], v[2:3], v[10:11]
	s_waitcnt lgkmcnt(1)
	v_mul_f64 v[12:13], v[20:21], v[32:33]
	v_add_f64 v[0:1], v[0:1], 0
	v_mul_f64 v[10:11], v[22:23], v[32:33]
	v_fmac_f64_e32 v[12:13], v[22:23], v[30:31]
	v_add_f64 v[2:3], v[34:35], 0
	v_fma_f64 v[10:11], v[20:21], v[30:31], -v[10:11]
	v_add_f64 v[22:23], v[0:1], v[12:13]
	s_waitcnt lgkmcnt(0)
	v_mul_f64 v[0:1], v[28:29], v[46:47]
	v_add_f64 v[20:21], v[2:3], v[10:11]
	v_fma_f64 v[30:31], v[26:27], v[44:45], -v[0:1]
	ds_read_b128 v[0:3], v18 offset:18224
	ds_read_b128 v[10:13], v16
	v_mul_f64 v[26:27], v[26:27], v[46:47]
	v_fmac_f64_e32 v[26:27], v[28:29], v[44:45]
	v_add_f64 v[22:23], v[22:23], v[26:27]
	v_add_f64 v[20:21], v[20:21], v[30:31]
	s_waitcnt lgkmcnt(0)
	v_mul_f64 v[26:27], v[2:3], v[12:13]
	v_mul_f64 v[12:13], v[0:1], v[12:13]
	v_fma_f64 v[26:27], v[0:1], v[10:11], -v[26:27]
	v_fmac_f64_e32 v[12:13], v[2:3], v[10:11]
	v_add_f64 v[0:1], v[20:21], v[26:27]
	v_add_f64 v[2:3], v[22:23], v[12:13]
	v_add_lshl_u32 v44, v5, v15, 4
	s_barrier
	ds_write_b128 v44, v[0:3]
	v_mov_b64_e32 v[0:1], 0
	v_cmp_gt_u32_e64 s[14:15], 32, v42
	v_lshlrev_b32_e32 v43, 4, v15
	v_mov_b64_e32 v[2:3], v[0:1]
	s_waitcnt lgkmcnt(0)
	s_barrier
	s_and_saveexec_b64 s[16:17], s[14:15]
	s_cbranch_execz .LBB125_40
; %bb.39:
	ds_read_b128 v[0:3], v43
	ds_read_b128 v[10:13], v43 offset:16
	ds_read_b128 v[20:23], v43 offset:32
	;; [unrolled: 1-line block ×3, first 2 shown]
	s_waitcnt lgkmcnt(2)
	v_add_f64 v[0:1], v[10:11], v[0:1]
	v_add_f64 v[10:11], v[12:13], v[2:3]
	s_waitcnt lgkmcnt(1)
	v_add_f64 v[12:13], v[0:1], v[20:21]
	ds_read_b128 v[0:3], v43 offset:64
	v_add_f64 v[10:11], v[10:11], v[22:23]
	s_waitcnt lgkmcnt(1)
	v_add_f64 v[20:21], v[12:13], v[26:27]
	v_add_f64 v[26:27], v[10:11], v[28:29]
	ds_read_b128 v[10:13], v43 offset:80
	s_waitcnt lgkmcnt(1)
	v_add_f64 v[28:29], v[20:21], v[0:1]
	ds_read_b128 v[20:23], v43 offset:96
	v_add_f64 v[26:27], v[26:27], v[2:3]
	ds_read_b128 v[0:3], v43 offset:112
	s_waitcnt lgkmcnt(2)
	v_add_f64 v[10:11], v[28:29], v[10:11]
	v_add_f64 v[12:13], v[26:27], v[12:13]
	s_waitcnt lgkmcnt(1)
	v_add_f64 v[10:11], v[10:11], v[20:21]
	v_add_f64 v[12:13], v[12:13], v[22:23]
	;; [unrolled: 3-line block ×3, first 2 shown]
.LBB125_40:
	s_or_b64 exec, exec, s[16:17]
	s_lshl_b32 s26, s24, 5
	s_ashr_i32 s27, s26, 31
	v_lshl_add_u64 v[12:13], s[26:27], 4, v[8:9]
	s_mov_b64 s[16:17], 0x200
	v_lshl_add_u64 v[10:11], v[12:13], 0, s[16:17]
	s_and_b64 vcc, exec, s[28:29]
	s_barrier
	s_cbranch_vccz .LBB125_58
; %bb.41:
	v_sub_co_u32_e32 v8, vcc, v10, v6
	s_ashr_i32 s19, s18, 31
	s_nop 0
	v_subbrev_co_u32_e32 v9, vcc, 0, v11, vcc
	s_movk_i32 s16, 0xfdf0
	v_or_b32_e32 v7, 32, v4
	v_lshl_add_u64 v[8:9], s[18:19], 4, v[8:9]
	s_mov_b32 s17, -1
	v_lshl_add_u64 v[8:9], v[8:9], 0, s[16:17]
	v_cmp_gt_i32_e32 vcc, s18, v7
	s_sub_i32 s23, s18, 32
	v_cmp_le_i32_e64 s[16:17], s23, v5
	v_cndmask_b32_e32 v9, v9, v11, vcc
	v_cndmask_b32_e32 v8, v8, v10, vcc
	v_add_lshl_u32 v7, v14, v4, 4
	s_and_saveexec_b64 s[36:37], s[16:17]
	s_xor_b64 s[16:17], exec, s[36:37]
	s_cbranch_execz .LBB125_43
; %bb.42:
	v_mov_b32_e32 v20, 0
	v_mov_b32_e32 v21, v20
	;; [unrolled: 1-line block ×4, first 2 shown]
	ds_write_b128 v7, v[20:23]
.LBB125_43:
	s_andn2_saveexec_b64 s[16:17], s[16:17]
	s_cbranch_execz .LBB125_45
; %bb.44:
	global_load_dwordx4 v[20:23], v[8:9], off
	s_waitcnt vmcnt(0)
	ds_write2_b64 v7, v[20:21], v[22:23] offset1:1
.LBB125_45:
	s_or_b64 exec, exec, s[16:17]
	v_add_u32_e32 v19, 8, v5
	v_cmp_le_i32_e64 s[16:17], s23, v19
	s_and_saveexec_b64 s[36:37], s[16:17]
	s_xor_b64 s[16:17], exec, s[36:37]
	s_cbranch_execz .LBB125_47
; %bb.46:
	v_mul_u32_u24_e32 v19, 33, v19
	v_mov_b32_e32 v20, 0
	v_add_lshl_u32 v19, v19, v4, 4
	v_mov_b32_e32 v21, v20
	v_mov_b32_e32 v22, v20
	;; [unrolled: 1-line block ×3, first 2 shown]
	ds_write_b128 v19, v[20:23]
.LBB125_47:
	s_andn2_saveexec_b64 s[16:17], s[16:17]
	s_cbranch_execz .LBB125_49
; %bb.48:
	s_lshl_b32 s36, s24, 3
	s_ashr_i32 s37, s36, 31
	v_lshl_add_u64 v[20:21], s[36:37], 4, v[8:9]
	global_load_dwordx4 v[20:23], v[20:21], off
	v_add_u32_e32 v19, 0x1080, v7
	s_waitcnt vmcnt(0)
	ds_write2_b64 v19, v[20:21], v[22:23] offset1:1
.LBB125_49:
	s_or_b64 exec, exec, s[16:17]
	v_add_u32_e32 v19, 16, v5
	v_cmp_le_i32_e64 s[16:17], s23, v19
	s_and_saveexec_b64 s[36:37], s[16:17]
	s_xor_b64 s[16:17], exec, s[36:37]
	s_cbranch_execz .LBB125_51
; %bb.50:
	v_mul_u32_u24_e32 v19, 33, v19
	v_mov_b32_e32 v20, 0
	v_add_lshl_u32 v19, v19, v4, 4
	v_mov_b32_e32 v21, v20
	v_mov_b32_e32 v22, v20
	;; [unrolled: 1-line block ×3, first 2 shown]
	ds_write_b128 v19, v[20:23]
.LBB125_51:
	s_andn2_saveexec_b64 s[16:17], s[16:17]
	s_cbranch_execz .LBB125_53
; %bb.52:
	s_lshl_b32 s36, s24, 4
	s_ashr_i32 s37, s36, 31
	v_lshl_add_u64 v[20:21], s[36:37], 4, v[8:9]
	global_load_dwordx4 v[20:23], v[20:21], off
	v_add_u32_e32 v19, 0x2100, v7
	s_waitcnt vmcnt(0)
	ds_write2_b64 v19, v[20:21], v[22:23] offset1:1
.LBB125_53:
	s_or_b64 exec, exec, s[16:17]
	v_add_u32_e32 v19, 24, v5
	v_cmp_le_i32_e64 s[16:17], s23, v19
	s_and_saveexec_b64 s[36:37], s[16:17]
	s_xor_b64 s[16:17], exec, s[36:37]
	s_cbranch_execz .LBB125_55
; %bb.54:
	v_mov_b32_e32 v20, 0
	v_mov_b32_e32 v21, v20
	;; [unrolled: 1-line block ×4, first 2 shown]
	ds_write_b128 v7, v[20:23] offset:12672
                                        ; implicit-def: $vgpr7
.LBB125_55:
	s_andn2_saveexec_b64 s[16:17], s[16:17]
	s_cbranch_execz .LBB125_57
; %bb.56:
	s_mul_i32 s36, s24, 24
	s_ashr_i32 s37, s36, 31
	v_lshl_add_u64 v[20:21], s[36:37], 4, v[8:9]
	global_load_dwordx4 v[20:23], v[20:21], off
	v_add_u32_e32 v7, 0x3180, v7
	s_waitcnt vmcnt(0)
	ds_write2_b64 v7, v[20:21], v[22:23] offset1:1
.LBB125_57:
	s_or_b64 exec, exec, s[16:17]
	v_mov_b32_e32 v7, 0
	v_lshl_add_u64 v[8:9], v[8:9], 0, v[6:7]
	s_lshl_b64 s[16:17], s[18:19], 4
	v_mov_b32_e32 v7, s17
	v_subrev_co_u32_e64 v8, s[16:17], s16, v8
	s_nop 1
	v_subb_co_u32_e64 v9, s[16:17], v9, v7, s[16:17]
	s_mov_b64 s[16:17], 0x210
	s_nop 0
	v_lshl_add_u64 v[8:9], v[8:9], 0, s[16:17]
	v_cndmask_b32_e32 v9, v9, v11, vcc
	v_cndmask_b32_e32 v8, v8, v10, vcc
	s_branch .LBB125_60
.LBB125_58:
                                        ; implicit-def: $vgpr8_vgpr9
	s_cbranch_execz .LBB125_60
; %bb.59:
	s_lshl_b32 s16, s24, 3
	s_ashr_i32 s17, s16, 31
	s_ashr_i32 s25, s24, 31
	v_lshl_add_u64 v[8:9], s[16:17], 4, v[12:13]
	s_lshl_b64 s[16:17], s[24:25], 7
	global_load_dwordx4 v[20:23], v[10:11], off
	global_load_dwordx4 v[26:29], v[8:9], off offset:512
	v_lshl_add_u64 v[8:9], v[8:9], 0, s[16:17]
	v_lshl_add_u64 v[12:13], v[8:9], 0, s[16:17]
	global_load_dwordx4 v[30:33], v[8:9], off offset:512
	global_load_dwordx4 v[46:49], v[12:13], off offset:512
	v_add_lshl_u32 v7, v14, v4, 4
	v_add_u32_e32 v8, 0x1080, v7
	v_add_u32_e32 v9, 0x2100, v7
	;; [unrolled: 1-line block ×3, first 2 shown]
	s_waitcnt vmcnt(3)
	ds_write2_b64 v7, v[20:21], v[22:23] offset1:1
	s_waitcnt vmcnt(2)
	ds_write2_b64 v8, v[26:27], v[28:29] offset1:1
	;; [unrolled: 2-line block ×4, first 2 shown]
	v_mov_b64_e32 v[8:9], v[10:11]
.LBB125_60:
	s_waitcnt lgkmcnt(0)
	s_barrier
	s_and_saveexec_b64 s[16:17], s[6:7]
	s_cbranch_execnz .LBB125_85
; %bb.61:
	s_or_b64 exec, exec, s[16:17]
	s_and_saveexec_b64 s[6:7], s[8:9]
	s_cbranch_execnz .LBB125_86
.LBB125_62:
	s_or_b64 exec, exec, s[6:7]
	s_and_saveexec_b64 s[6:7], s[10:11]
	s_cbranch_execnz .LBB125_87
.LBB125_63:
	s_or_b64 exec, exec, s[6:7]
	v_add_u32_e32 v26, 0x4700, v18
	s_and_saveexec_b64 s[6:7], s[12:13]
	s_cbranch_execz .LBB125_65
.LBB125_64:
	ds_read_b128 v[10:13], v16
	s_waitcnt lgkmcnt(0)
	ds_write_b128 v17, v[10:13] offset:48
.LBB125_65:
	s_or_b64 exec, exec, s[6:7]
	s_waitcnt lgkmcnt(0)
	s_barrier
	ds_read_b128 v[10:13], v26 offset:512
	ds_read_b128 v[18:21], v24
	ds_read_b128 v[28:31], v26 offset:528
	ds_read_b128 v[32:35], v26 offset:544
	ds_read_b128 v[46:49], v26 offset:560
	ds_read_b128 v[50:53], v25
	v_cmp_eq_u32_e64 s[6:7], 1, v5
	s_waitcnt lgkmcnt(4)
	v_mul_f64 v[22:23], v[12:13], v[20:21]
	v_fma_f64 v[22:23], v[10:11], v[18:19], -v[22:23]
	v_mul_f64 v[10:11], v[10:11], v[20:21]
	v_fmac_f64_e32 v[10:11], v[12:13], v[18:19]
	v_add_f64 v[20:21], v[10:11], 0
	s_waitcnt lgkmcnt(0)
	v_mul_f64 v[10:11], v[30:31], v[52:53]
	v_add_f64 v[18:19], v[22:23], 0
	v_fma_f64 v[22:23], v[28:29], v[50:51], -v[10:11]
	v_mul_f64 v[28:29], v[28:29], v[52:53]
	ds_read_b128 v[10:13], v25 offset:528
	v_fmac_f64_e32 v[28:29], v[30:31], v[50:51]
	v_add_f64 v[22:23], v[18:19], v[22:23]
	v_add_f64 v[28:29], v[20:21], v[28:29]
	ds_read_b128 v[18:21], v16
	s_waitcnt lgkmcnt(1)
	v_mul_f64 v[30:31], v[34:35], v[12:13]
	v_fma_f64 v[30:31], v[32:33], v[10:11], -v[30:31]
	v_mul_f64 v[12:13], v[32:33], v[12:13]
	v_fmac_f64_e32 v[12:13], v[34:35], v[10:11]
	v_add_f64 v[10:11], v[22:23], v[30:31]
	s_waitcnt lgkmcnt(0)
	v_mul_f64 v[22:23], v[48:49], v[20:21]
	v_mul_f64 v[20:21], v[46:47], v[20:21]
	v_add_f64 v[12:13], v[28:29], v[12:13]
	v_fma_f64 v[22:23], v[46:47], v[18:19], -v[22:23]
	v_fmac_f64_e32 v[20:21], v[48:49], v[18:19]
	v_add_f64 v[10:11], v[10:11], v[22:23]
	v_add_f64 v[12:13], v[12:13], v[20:21]
	s_barrier
	ds_write_b128 v44, v[10:13]
	s_waitcnt lgkmcnt(0)
	s_barrier
	s_and_saveexec_b64 s[8:9], s[6:7]
	s_cbranch_execz .LBB125_67
; %bb.66:
	ds_read_b128 v[0:3], v43
	ds_read_b128 v[10:13], v43 offset:16
	ds_read_b128 v[18:21], v43 offset:32
	;; [unrolled: 1-line block ×3, first 2 shown]
	s_waitcnt lgkmcnt(2)
	v_add_f64 v[0:1], v[10:11], v[0:1]
	v_add_f64 v[10:11], v[12:13], v[2:3]
	s_waitcnt lgkmcnt(1)
	v_add_f64 v[12:13], v[0:1], v[18:19]
	ds_read_b128 v[0:3], v43 offset:64
	v_add_f64 v[10:11], v[10:11], v[20:21]
	s_waitcnt lgkmcnt(1)
	v_add_f64 v[18:19], v[12:13], v[28:29]
	v_add_f64 v[22:23], v[10:11], v[30:31]
	ds_read_b128 v[10:13], v43 offset:80
	s_waitcnt lgkmcnt(1)
	v_add_f64 v[28:29], v[18:19], v[0:1]
	ds_read_b128 v[18:21], v43 offset:96
	v_add_f64 v[22:23], v[22:23], v[2:3]
	ds_read_b128 v[0:3], v43 offset:112
	s_waitcnt lgkmcnt(2)
	v_add_f64 v[10:11], v[28:29], v[10:11]
	v_add_f64 v[12:13], v[22:23], v[12:13]
	s_waitcnt lgkmcnt(1)
	v_add_f64 v[10:11], v[10:11], v[18:19]
	v_add_f64 v[12:13], v[12:13], v[20:21]
	s_waitcnt lgkmcnt(0)
	v_add_f64 v[0:1], v[10:11], v[0:1]
	v_add_f64 v[2:3], v[12:13], v[2:3]
.LBB125_67:
	s_or_b64 exec, exec, s[8:9]
	s_movk_i32 s8, 0xfe00
	s_mov_b32 s9, -1
	v_lshl_add_u64 v[10:11], v[8:9], 0, s[8:9]
	s_and_b64 vcc, exec, s[28:29]
	s_barrier
	s_cbranch_vccz .LBB125_88
; %bb.68:
	v_sub_co_u32_e32 v12, vcc, v8, v6
	s_ashr_i32 s19, s18, 31
	s_nop 0
	v_subbrev_co_u32_e32 v13, vcc, 0, v9, vcc
	s_movk_i32 s8, 0xfdf0
	v_lshl_add_u64 v[12:13], s[18:19], 4, v[12:13]
	s_mov_b32 s9, -1
	v_lshl_add_u64 v[12:13], v[12:13], 0, s[8:9]
	v_cmp_gt_i32_e32 vcc, s18, v4
	s_sub_i32 s10, s18, 32
	v_cmp_le_i32_e64 s[8:9], s10, v5
	v_cndmask_b32_e32 v13, v13, v11, vcc
	v_cndmask_b32_e32 v12, v12, v10, vcc
	v_add_lshl_u32 v7, v14, v4, 4
	s_and_saveexec_b64 s[12:13], s[8:9]
	s_xor_b64 s[8:9], exec, s[12:13]
	s_cbranch_execz .LBB125_70
; %bb.69:
	v_mov_b32_e32 v18, 0
	v_mov_b32_e32 v19, v18
	;; [unrolled: 1-line block ×4, first 2 shown]
	ds_write_b128 v7, v[18:21]
.LBB125_70:
	s_andn2_saveexec_b64 s[8:9], s[8:9]
	s_cbranch_execz .LBB125_72
; %bb.71:
	global_load_dwordx4 v[18:21], v[12:13], off
	s_waitcnt vmcnt(0)
	ds_write2_b64 v7, v[18:19], v[20:21] offset1:1
.LBB125_72:
	s_or_b64 exec, exec, s[8:9]
	v_add_u32_e32 v17, 8, v5
	v_cmp_le_i32_e64 s[8:9], s10, v17
	s_and_saveexec_b64 s[12:13], s[8:9]
	s_xor_b64 s[8:9], exec, s[12:13]
	s_cbranch_execz .LBB125_74
; %bb.73:
	v_mul_u32_u24_e32 v18, 33, v17
	v_add_lshl_u32 v22, v18, v4, 4
	v_mov_b32_e32 v18, 0
	v_mov_b32_e32 v19, v18
	;; [unrolled: 1-line block ×4, first 2 shown]
	ds_write_b128 v22, v[18:21]
.LBB125_74:
	s_andn2_saveexec_b64 s[8:9], s[8:9]
	s_cbranch_execz .LBB125_76
; %bb.75:
	s_lshl_b32 s12, s24, 3
	s_ashr_i32 s13, s12, 31
	v_lshl_add_u64 v[18:19], s[12:13], 4, v[12:13]
	global_load_dwordx4 v[18:21], v[18:19], off
	v_add_u32_e32 v22, 0x1080, v7
	s_waitcnt vmcnt(0)
	ds_write2_b64 v22, v[18:19], v[20:21] offset1:1
.LBB125_76:
	s_or_b64 exec, exec, s[8:9]
	v_add_u32_e32 v18, 16, v5
	v_cmp_le_i32_e64 s[8:9], s10, v18
	s_and_saveexec_b64 s[12:13], s[8:9]
	s_xor_b64 s[8:9], exec, s[12:13]
	s_cbranch_execz .LBB125_78
; %bb.77:
	v_mul_u32_u24_e32 v19, 33, v18
	v_mov_b32_e32 v20, 0
	v_add_lshl_u32 v19, v19, v4, 4
	v_mov_b32_e32 v21, v20
	v_mov_b32_e32 v22, v20
	;; [unrolled: 1-line block ×3, first 2 shown]
	ds_write_b128 v19, v[20:23]
.LBB125_78:
	s_andn2_saveexec_b64 s[8:9], s[8:9]
	s_cbranch_execz .LBB125_80
; %bb.79:
	s_lshl_b32 s12, s24, 4
	s_ashr_i32 s13, s12, 31
	v_lshl_add_u64 v[20:21], s[12:13], 4, v[12:13]
	global_load_dwordx4 v[20:23], v[20:21], off
	v_add_u32_e32 v19, 0x2100, v7
	s_waitcnt vmcnt(0)
	ds_write2_b64 v19, v[20:21], v[22:23] offset1:1
.LBB125_80:
	s_or_b64 exec, exec, s[8:9]
	v_add_u32_e32 v19, 24, v5
	v_cmp_le_i32_e64 s[8:9], s10, v19
	s_and_saveexec_b64 s[10:11], s[8:9]
	s_xor_b64 s[8:9], exec, s[10:11]
	s_cbranch_execz .LBB125_82
; %bb.81:
	v_mov_b32_e32 v20, 0
	v_mov_b32_e32 v21, v20
	v_mov_b32_e32 v22, v20
	v_mov_b32_e32 v23, v20
	ds_write_b128 v7, v[20:23] offset:12672
                                        ; implicit-def: $vgpr7
.LBB125_82:
	s_andn2_saveexec_b64 s[8:9], s[8:9]
	s_cbranch_execz .LBB125_84
; %bb.83:
	s_mul_i32 s10, s24, 24
	s_ashr_i32 s11, s10, 31
	v_lshl_add_u64 v[20:21], s[10:11], 4, v[12:13]
	global_load_dwordx4 v[20:23], v[20:21], off
	v_add_u32_e32 v7, 0x3180, v7
	s_waitcnt vmcnt(0)
	ds_write2_b64 v7, v[20:21], v[22:23] offset1:1
.LBB125_84:
	s_or_b64 exec, exec, s[8:9]
	v_mov_b32_e32 v7, 0
	v_lshl_add_u64 v[6:7], v[12:13], 0, v[6:7]
	s_lshl_b64 s[8:9], s[18:19], 4
	v_mov_b32_e32 v12, s9
	v_subrev_co_u32_e64 v6, s[8:9], s8, v6
	s_nop 1
	v_subb_co_u32_e64 v7, s[8:9], v7, v12, s[8:9]
	v_lshl_add_u64 v[6:7], v[6:7], 0, 16
	v_cndmask_b32_e32 v41, v7, v11, vcc
	v_cndmask_b32_e32 v40, v6, v10, vcc
	s_branch .LBB125_90
.LBB125_85:
	ds_read_b128 v[10:13], v24
	s_waitcnt lgkmcnt(0)
	ds_write_b128 v17, v[10:13]
	s_or_b64 exec, exec, s[16:17]
	s_and_saveexec_b64 s[6:7], s[8:9]
	s_cbranch_execz .LBB125_62
.LBB125_86:
	ds_read_b128 v[10:13], v25
	s_waitcnt lgkmcnt(0)
	ds_write_b128 v17, v[10:13] offset:16
	s_or_b64 exec, exec, s[6:7]
	s_and_saveexec_b64 s[6:7], s[10:11]
	s_cbranch_execz .LBB125_63
.LBB125_87:
	v_add_u32_e32 v7, 0x210, v25
	ds_read_b128 v[10:13], v7
	s_waitcnt lgkmcnt(0)
	ds_write_b128 v17, v[10:13] offset:32
	s_or_b64 exec, exec, s[6:7]
	v_add_u32_e32 v26, 0x4700, v18
	s_and_saveexec_b64 s[6:7], s[12:13]
	s_cbranch_execnz .LBB125_64
	s_branch .LBB125_65
.LBB125_88:
                                        ; implicit-def: $vgpr40_vgpr41
                                        ; implicit-def: $vgpr17
                                        ; implicit-def: $vgpr18
                                        ; implicit-def: $vgpr19
	s_cbranch_execz .LBB125_90
; %bb.89:
	s_lshl_b32 s8, s24, 3
	s_ashr_i32 s9, s8, 31
	s_ashr_i32 s25, s24, 31
	v_lshl_add_u64 v[12:13], s[8:9], 4, v[8:9]
	s_lshl_b64 s[8:9], s[24:25], 7
	global_load_dwordx4 v[6:9], v[10:11], off
	global_load_dwordx4 v[20:23], v[12:13], off offset:-512
	v_lshl_add_u64 v[12:13], v[12:13], 0, s[8:9]
	v_lshl_add_u64 v[18:19], v[12:13], 0, s[8:9]
	global_load_dwordx4 v[28:31], v[12:13], off offset:-512
	global_load_dwordx4 v[32:35], v[18:19], off offset:-512
	v_add_lshl_u32 v4, v14, v4, 4
	v_add_u32_e32 v17, 8, v5
	v_add_u32_e32 v18, 16, v5
	;; [unrolled: 1-line block ×3, first 2 shown]
	v_mov_b64_e32 v[40:41], v[10:11]
	v_add_u32_e32 v12, 0x1080, v4
	v_add_u32_e32 v13, 0x2100, v4
	;; [unrolled: 1-line block ×3, first 2 shown]
	s_waitcnt vmcnt(3)
	ds_write2_b64 v4, v[6:7], v[8:9] offset1:1
	s_waitcnt vmcnt(2)
	ds_write2_b64 v12, v[20:21], v[22:23] offset1:1
	;; [unrolled: 2-line block ×4, first 2 shown]
.LBB125_90:
	v_lshlrev_b32_e32 v4, 4, v5
	s_waitcnt lgkmcnt(0)
	s_barrier
	ds_read_b128 v[46:49], v44
	ds_read_b128 v[50:53], v4 offset:18176
	v_add_lshl_u32 v4, v17, v15, 4
	v_lshlrev_b32_e32 v10, 4, v17
	ds_read_b128 v[54:57], v4
	ds_read_b128 v[4:7], v25 offset:528
	ds_read_b128 v[58:61], v10 offset:18176
	s_waitcnt lgkmcnt(3)
	v_mul_f64 v[8:9], v[48:49], v[52:53]
	v_add_lshl_u32 v10, v18, v15, 4
	v_lshlrev_b32_e32 v12, 4, v18
	v_fma_f64 v[8:9], v[46:47], v[50:51], -v[8:9]
	ds_read_b128 v[62:65], v10
	ds_read_b128 v[66:69], v12 offset:18176
	s_waitcnt lgkmcnt(2)
	v_mul_f64 v[10:11], v[56:57], v[60:61]
	v_add_f64 v[8:9], v[8:9], 0
	v_fma_f64 v[10:11], v[54:55], v[58:59], -v[10:11]
	v_add_f64 v[8:9], v[8:9], v[10:11]
	v_add_lshl_u32 v10, v19, v15, 4
	v_lshlrev_b32_e32 v12, 4, v19
	v_mul_f64 v[74:75], v[46:47], v[52:53]
	v_mul_f64 v[60:61], v[54:55], v[60:61]
	ds_read_b128 v[52:55], v10
	ds_read_b128 v[70:73], v12 offset:18176
	s_waitcnt lgkmcnt(2)
	v_mul_f64 v[10:11], v[64:65], v[68:69]
	v_fma_f64 v[10:11], v[62:63], v[66:67], -v[10:11]
	v_add_f64 v[12:13], v[8:9], v[10:11]
	ds_read_b128 v[8:11], v16
	s_waitcnt lgkmcnt(1)
	v_mul_f64 v[14:15], v[54:55], v[72:73]
	v_fma_f64 v[14:15], v[52:53], v[70:71], -v[14:15]
	v_add_f64 v[46:47], v[12:13], v[14:15]
	ds_read_b128 v[20:23], v26 offset:528
	ds_read_b128 v[16:19], v26 offset:544
	ds_read_b128 v[28:31], v26 offset:512
	ds_read_b128 v[32:35], v24
	ds_read_b128 v[12:15], v26 offset:560
	ds_read_b128 v[24:27], v25
	v_fmac_f64_e32 v[74:75], v[48:49], v[50:51]
	v_mul_f64 v[62:63], v[62:63], v[68:69]
	v_add_f64 v[48:49], v[74:75], 0
	v_fmac_f64_e32 v[60:61], v[56:57], v[58:59]
	v_mul_f64 v[52:53], v[52:53], v[72:73]
	v_add_f64 v[48:49], v[48:49], v[60:61]
	v_fmac_f64_e32 v[62:63], v[64:65], v[66:67]
	v_add_f64 v[48:49], v[48:49], v[62:63]
	v_fmac_f64_e32 v[52:53], v[54:55], v[70:71]
	v_add_f64 v[48:49], v[48:49], v[52:53]
	s_waitcnt lgkmcnt(0)
	s_barrier
	ds_write_b128 v44, v[46:49]
	s_waitcnt lgkmcnt(0)
	s_barrier
	s_and_saveexec_b64 s[8:9], s[6:7]
	s_cbranch_execz .LBB125_92
; %bb.91:
	ds_read_b128 v[46:49], v43
	ds_read_b128 v[50:53], v43 offset:16
	ds_read_b128 v[54:57], v43 offset:32
	;; [unrolled: 1-line block ×3, first 2 shown]
	s_waitcnt lgkmcnt(3)
	v_add_f64 v[0:1], v[0:1], v[46:47]
	v_add_f64 v[2:3], v[2:3], v[48:49]
	s_waitcnt lgkmcnt(2)
	v_add_f64 v[0:1], v[0:1], v[50:51]
	v_add_f64 v[46:47], v[2:3], v[52:53]
	s_waitcnt lgkmcnt(1)
	v_add_f64 v[48:49], v[0:1], v[54:55]
	ds_read_b128 v[0:3], v43 offset:64
	v_add_f64 v[46:47], v[46:47], v[56:57]
	s_waitcnt lgkmcnt(1)
	v_add_f64 v[50:51], v[48:49], v[58:59]
	v_add_f64 v[54:55], v[46:47], v[60:61]
	ds_read_b128 v[46:49], v43 offset:80
	s_waitcnt lgkmcnt(1)
	v_add_f64 v[56:57], v[50:51], v[0:1]
	ds_read_b128 v[50:53], v43 offset:96
	v_add_f64 v[54:55], v[54:55], v[2:3]
	ds_read_b128 v[0:3], v43 offset:112
	s_waitcnt lgkmcnt(2)
	v_add_f64 v[46:47], v[56:57], v[46:47]
	v_add_f64 v[48:49], v[54:55], v[48:49]
	s_waitcnt lgkmcnt(1)
	v_add_f64 v[46:47], v[46:47], v[50:51]
	v_add_f64 v[48:49], v[48:49], v[52:53]
	s_waitcnt lgkmcnt(0)
	v_add_f64 v[0:1], v[46:47], v[0:1]
	v_add_f64 v[2:3], v[48:49], v[2:3]
.LBB125_92:
	s_or_b64 exec, exec, s[8:9]
	v_mul_f64 v[46:47], v[30:31], v[34:35]
	v_fma_f64 v[46:47], v[28:29], v[32:33], -v[46:47]
	v_mul_f64 v[28:29], v[28:29], v[34:35]
	v_fmac_f64_e32 v[28:29], v[30:31], v[32:33]
	v_mul_f64 v[32:33], v[22:23], v[26:27]
	v_fma_f64 v[32:33], v[20:21], v[24:25], -v[32:33]
	v_mul_f64 v[20:21], v[20:21], v[26:27]
	v_add_f64 v[30:31], v[46:47], 0
	v_add_f64 v[28:29], v[28:29], 0
	v_fmac_f64_e32 v[20:21], v[22:23], v[24:25]
	v_mul_f64 v[24:25], v[18:19], v[6:7]
	v_mul_f64 v[6:7], v[16:17], v[6:7]
	v_add_f64 v[22:23], v[30:31], v[32:33]
	v_add_f64 v[20:21], v[28:29], v[20:21]
	v_fma_f64 v[24:25], v[16:17], v[4:5], -v[24:25]
	v_fmac_f64_e32 v[6:7], v[18:19], v[4:5]
	v_mul_f64 v[16:17], v[14:15], v[10:11]
	v_mul_f64 v[10:11], v[12:13], v[10:11]
	v_add_f64 v[4:5], v[22:23], v[24:25]
	v_add_f64 v[6:7], v[20:21], v[6:7]
	v_fma_f64 v[16:17], v[12:13], v[8:9], -v[16:17]
	v_fmac_f64_e32 v[10:11], v[14:15], v[8:9]
	v_add_f64 v[4:5], v[4:5], v[16:17]
	v_add_f64 v[6:7], v[6:7], v[10:11]
	s_barrier
	ds_write_b128 v44, v[4:7]
	s_waitcnt lgkmcnt(0)
	s_barrier
	s_and_saveexec_b64 s[6:7], s[14:15]
	s_cbranch_execz .LBB125_94
; %bb.93:
	ds_read_b128 v[4:7], v43
	ds_read_b128 v[8:11], v43 offset:16
	ds_read_b128 v[12:15], v43 offset:32
	;; [unrolled: 1-line block ×3, first 2 shown]
	s_waitcnt lgkmcnt(3)
	v_add_f64 v[0:1], v[0:1], v[4:5]
	v_add_f64 v[2:3], v[2:3], v[6:7]
	s_waitcnt lgkmcnt(2)
	v_add_f64 v[0:1], v[0:1], v[8:9]
	v_add_f64 v[4:5], v[2:3], v[10:11]
	s_waitcnt lgkmcnt(1)
	v_add_f64 v[6:7], v[0:1], v[12:13]
	ds_read_b128 v[0:3], v43 offset:64
	v_add_f64 v[4:5], v[4:5], v[14:15]
	s_waitcnt lgkmcnt(1)
	v_add_f64 v[8:9], v[6:7], v[16:17]
	v_add_f64 v[12:13], v[4:5], v[18:19]
	ds_read_b128 v[4:7], v43 offset:80
	s_waitcnt lgkmcnt(1)
	v_add_f64 v[14:15], v[8:9], v[0:1]
	ds_read_b128 v[8:11], v43 offset:96
	v_add_f64 v[12:13], v[12:13], v[2:3]
	ds_read_b128 v[0:3], v43 offset:112
	s_waitcnt lgkmcnt(2)
	v_add_f64 v[4:5], v[14:15], v[4:5]
	v_add_f64 v[6:7], v[12:13], v[6:7]
	s_waitcnt lgkmcnt(1)
	v_add_f64 v[4:5], v[4:5], v[8:9]
	v_add_f64 v[6:7], v[6:7], v[10:11]
	;; [unrolled: 3-line block ×3, first 2 shown]
.LBB125_94:
	s_or_b64 exec, exec, s[6:7]
	s_load_dwordx2 s[0:1], s[0:1], 0x78
	s_mul_hi_u32 s6, s34, s3
	s_mul_i32 s35, s35, s3
	s_add_i32 s6, s6, s35
	s_mul_i32 s3, s34, s3
	s_mul_i32 s6, s6, s30
	s_mul_hi_u32 s7, s3, s30
	s_add_i32 s7, s7, s6
	s_mul_i32 s6, s3, s30
	s_lshl_b64 s[6:7], s[6:7], 4
	s_waitcnt lgkmcnt(0)
	s_add_u32 s3, s0, s6
	s_addc_u32 s6, s1, s7
	s_mul_hi_i32 s1, s34, s2
	s_mul_i32 s0, s34, s2
	s_lshl_b64 s[0:1], s[0:1], 4
	s_add_u32 s8, s3, s0
	s_addc_u32 s9, s6, s1
	s_add_i32 s10, s2, 1
	s_cmp_ge_u32 s10, s30
	v_lshlrev_b32_e32 v169, 4, v168
	s_barrier
	s_cbranch_scc1 .LBB125_152
; %bb.95:
	s_mul_i32 s0, s22, s33
	s_ashr_i32 s1, s0, 31
	s_lshl_b64 s[0:1], s[0:1], 4
	v_lshlrev_b32_e32 v216, 2, v167
	v_mov_b32_e32 v4, s1
	v_subrev_co_u32_e32 v170, vcc, s0, v36
	v_and_b32_e32 v8, 48, v168
	s_nop 0
	v_subb_co_u32_e32 v171, vcc, v37, v4, vcc
	v_mad_u64_u32 v[4:5], s[0:1], v216, s24, v[168:169]
	v_and_b32_e32 v6, 15, v168
	v_lshlrev_b32_e32 v9, 4, v8
	s_movk_i32 s0, 0x430
	v_lshrrev_b32_e32 v7, 4, v42
	v_mad_u32_u24 v219, v6, s0, v9
	v_or_b32_e32 v9, 0xf0, v169
	v_mad_u32_u24 v220, v6, s0, v9
	v_lshlrev_b32_e32 v9, 6, v7
	v_mul_i32_i24_e32 v12, 0xffffffd0, v7
	v_add_u32_e32 v7, s22, v8
	v_mad_u32_u24 v221, v6, s0, v9
	v_add3_u32 v172, v7, v6, 64
	v_lshlrev_b64 v[6:7], 4, v[38:39]
	v_ashrrev_i32_e32 v5, 31, v4
	v_sub_co_u32_e32 v174, vcc, 0, v6
	v_mov_b32_e32 v9, 0x4300
	s_nop 0
	v_subb_co_u32_e32 v175, vcc, 0, v7, vcc
	s_lshl_b64 s[22:23], s[26:27], 4
	v_lshlrev_b64 v[6:7], 4, v[4:5]
	s_lshl_b32 s14, s24, 4
	v_lshl_add_u32 v225, v167, 6, v9
	s_mul_i32 s16, s24, 3
	v_lshl_add_u64 v[8:9], s[22:23], 0, v[6:7]
	v_lshl_add_u64 v[4:5], s[26:27], 0, v[4:5]
	s_lshl_b32 s19, s33, 6
	s_ashr_i32 s15, s14, 31
	s_ashr_i32 s25, s24, 31
	s_lshl_b32 s28, s24, 1
	s_movk_i32 s0, 0x10c0
	s_ashr_i32 s17, s16, 31
	s_mul_i32 s33, s33, s10
	v_lshl_add_u64 v[8:9], v[8:9], 0, v[40:41]
	v_lshlrev_b64 v[4:5], 4, v[4:5]
	s_add_i32 s3, s30, -2
	s_ashr_i32 s29, s28, 31
	v_mad_u32_u24 v226, v167, s0, v169
	s_lshl_b64 s[0:1], s[24:25], 4
	s_lshl_b32 s10, s33, 6
	v_lshl_add_u64 v[176:177], v[8:9], 0, 8
	s_lshl_b64 s[12:13], s[14:15], 6
	s_mul_i32 s11, s24, 0x300
	v_mad_i64_i32 v[8:9], s[26:27], s14, 48, v[4:5]
	s_lshl_b64 s[16:17], s[16:17], 4
	s_lshl_b64 s[24:25], s[24:25], 5
	s_add_u32 s26, s24, s22
	s_addc_u32 s27, s25, s23
	s_mul_hi_i32 s33, s14, 48
	s_add_u32 s24, s11, s24
	s_addc_u32 s25, s33, s25
	v_lshl_add_u64 v[4:5], s[24:25], 0, v[4:5]
	s_add_u32 s24, s0, s22
	v_lshl_add_u64 v[4:5], v[4:5], 0, v[40:41]
	s_addc_u32 s25, s1, s23
	v_lshl_add_u64 v[182:183], v[4:5], 0, 8
	v_lshl_add_u64 v[4:5], s[24:25], 0, v[6:7]
	s_lshl_b64 s[28:29], s[28:29], 4
	v_lshl_add_u64 v[4:5], v[4:5], 0, v[40:41]
	s_add_u32 s34, s22, s28
	v_lshl_add_u64 v[184:185], v[4:5], 0, 8
	v_lshl_add_u64 v[4:5], v[8:9], 0, s[28:29]
	s_addc_u32 s35, s23, s29
	v_lshl_add_u64 v[186:187], v[40:41], 0, v[4:5]
	v_lshl_add_u64 v[4:5], s[34:35], 0, v[6:7]
	;; [unrolled: 1-line block ×3, first 2 shown]
	s_add_u32 s34, s22, s16
	v_lshl_add_u64 v[188:189], v[4:5], 0, 8
	v_lshl_add_u64 v[4:5], v[8:9], 0, s[0:1]
	s_addc_u32 s35, s23, s17
	v_lshl_add_u64 v[190:191], v[40:41], 0, v[4:5]
	v_lshl_add_u64 v[4:5], s[34:35], 0, v[6:7]
	s_lshl_b64 s[34:35], s[14:15], 4
	s_add_u32 s36, s22, s34
	s_addc_u32 s37, s23, s35
	s_lshl_b64 s[14:15], s[14:15], 5
	s_add_u32 s22, s14, s22
	s_addc_u32 s23, s15, s23
	v_lshl_add_u64 v[4:5], v[4:5], 0, v[40:41]
	s_add_u32 s38, s22, s16
	v_lshl_add_u64 v[192:193], v[4:5], 0, 8
	v_lshl_add_u64 v[4:5], s[36:37], 0, v[6:7]
	s_addc_u32 s39, s23, s17
	v_lshl_add_u64 v[4:5], v[4:5], 0, v[40:41]
	s_add_u32 s24, s24, s34
	v_lshl_add_u64 v[196:197], v[4:5], 0, 8
	v_lshl_add_u64 v[4:5], s[38:39], 0, v[6:7]
	s_addc_u32 s25, s25, s35
	v_lshl_add_u64 v[198:199], v[40:41], 0, v[4:5]
	v_lshl_add_u64 v[4:5], s[24:25], 0, v[6:7]
	s_add_u32 s14, s26, s14
	v_lshl_add_u64 v[4:5], v[4:5], 0, v[40:41]
	s_addc_u32 s15, s27, s15
	v_lshl_add_u64 v[200:201], v[4:5], 0, 8
	v_lshl_add_u64 v[4:5], s[14:15], 0, v[6:7]
	s_add_u32 s14, s36, s28
	v_lshl_add_u64 v[4:5], v[4:5], 0, v[40:41]
	s_addc_u32 s15, s37, s29
	v_lshl_add_u64 v[202:203], v[4:5], 0, 8
	v_lshl_add_u64 v[4:5], s[14:15], 0, v[6:7]
	s_add_u32 s14, s22, s28
	v_lshl_add_u64 v[4:5], v[4:5], 0, v[40:41]
	s_addc_u32 s15, s23, s29
	v_lshl_add_u64 v[204:205], v[4:5], 0, 8
	v_lshl_add_u64 v[4:5], s[14:15], 0, v[6:7]
	s_add_u32 s14, s26, s34
	s_addc_u32 s15, s27, s35
	s_add_u32 s0, s22, s0
	v_lshl_add_u64 v[206:207], v[40:41], 0, v[4:5]
	v_lshl_add_u64 v[4:5], s[14:15], 0, v[6:7]
	s_addc_u32 s1, s23, s1
	v_lshl_add_u64 v[208:209], v[40:41], 0, v[4:5]
	v_lshl_add_u64 v[4:5], s[0:1], 0, v[6:7]
	s_add_u32 s0, s36, s16
	s_addc_u32 s1, s37, s17
	v_lshl_add_u64 v[210:211], v[40:41], 0, v[4:5]
	v_lshl_add_u64 v[4:5], s[0:1], 0, v[6:7]
	;; [unrolled: 1-line block ×9, first 2 shown]
	v_add_u32_e32 v217, 0x4300, v169
	v_add_u32_e32 v218, 0x4700, v169
	v_cmp_gt_u32_e64 s[6:7], 64, v42
	v_or_b32_e32 v222, 1, v216
	v_or_b32_e32 v223, 2, v216
	;; [unrolled: 1-line block ×3, first 2 shown]
	v_add_u32_e32 v227, 16, v216
	v_add_u32_e32 v228, 17, v216
	;; [unrolled: 1-line block ×12, first 2 shown]
	v_lshl_add_u64 v[180:181], v[40:41], 0, v[10:11]
	v_lshl_add_u64 v[194:195], v[40:41], 0, v[8:9]
	;; [unrolled: 1-line block ×3, first 2 shown]
	v_add_u32_e32 v239, v221, v12
	v_mov_b32_e32 v4, 0
	s_cmp_eq_u32 s3, s2
	s_cselect_b32 s26, s31, 0
	s_and_saveexec_b64 s[0:1], s[4:5]
	s_cbranch_execz .LBB125_100
.LBB125_96:
	s_cmp_lg_u32 s26, 0
	s_cselect_b64 s[14:15], -1, 0
	v_cmp_le_i32_e32 vcc, s26, v168
	s_and_b64 s[14:15], s[14:15], vcc
	s_and_saveexec_b64 s[16:17], s[14:15]
	s_xor_b64 s[14:15], exec, s[16:17]
	s_cbranch_execz .LBB125_98
; %bb.97:
	v_mov_b32_e32 v5, v4
	v_mov_b32_e32 v6, v4
	;; [unrolled: 1-line block ×3, first 2 shown]
	ds_write_b128 v217, v[4:7]
.LBB125_98:
	s_andn2_saveexec_b64 s[14:15], s[14:15]
	s_cbranch_execz .LBB125_100
; %bb.99:
	s_ashr_i32 s11, s10, 31
	v_lshl_add_u64 v[6:7], s[10:11], 4, v[170:171]
	global_load_dwordx4 v[6:9], v[6:7], off
	s_waitcnt vmcnt(0)
	ds_write2_b64 v217, v[6:7], v[8:9] offset1:1
.LBB125_100:                            ; =>This Inner Loop Header: Depth=1
	s_or_b64 exec, exec, s[0:1]
	s_cmp_eq_u32 s26, 0
	s_cselect_b64 s[14:15], -1, 0
	s_cmp_lg_u32 s26, 0
	s_cselect_b64 s[16:17], -1, 0
	v_lshl_add_u64 v[18:19], v[176:177], 0, v[174:175]
	s_and_b64 vcc, exec, s[16:17]
	s_waitcnt lgkmcnt(0)
	s_barrier
	s_cbranch_vccz .LBB125_108
; %bb.101:                              ;   in Loop: Header=BB125_100 Depth=1
	v_mov_b64_e32 v[10:11], 0
	v_cmp_gt_i32_e32 vcc, s26, v216
	v_mov_b64_e32 v[6:7], v[10:11]
	v_mov_b64_e32 v[8:9], v[10:11]
	s_and_saveexec_b64 s[0:1], vcc
	s_cbranch_execz .LBB125_103
; %bb.102:                              ;   in Loop: Header=BB125_100 Depth=1
	global_load_dwordx4 v[6:9], v[18:19], off offset:-8
.LBB125_103:                            ;   in Loop: Header=BB125_100 Depth=1
	s_or_b64 exec, exec, s[0:1]
	v_cmp_gt_i32_e32 vcc, s26, v222
	v_mov_b64_e32 v[12:13], v[10:11]
	s_and_saveexec_b64 s[0:1], vcc
	s_cbranch_execz .LBB125_105
; %bb.104:                              ;   in Loop: Header=BB125_100 Depth=1
	v_lshl_add_u64 v[10:11], v[184:185], 0, v[174:175]
	global_load_dwordx4 v[10:13], v[10:11], off offset:-8
.LBB125_105:                            ;   in Loop: Header=BB125_100 Depth=1
	s_or_b64 exec, exec, s[0:1]
	v_mov_b64_e32 v[14:15], 0
	v_cmp_gt_i32_e32 vcc, s26, v223
	s_mov_b64 s[24:25], 0
	v_mov_b64_e32 v[16:17], v[14:15]
	s_and_saveexec_b64 s[0:1], vcc
	s_cbranch_execz .LBB125_107
; %bb.106:                              ;   in Loop: Header=BB125_100 Depth=1
	v_lshl_add_u64 v[14:15], v[188:189], 0, v[174:175]
	global_load_dwordx4 v[14:17], v[14:15], off offset:-8
.LBB125_107:                            ;   in Loop: Header=BB125_100 Depth=1
	s_or_b64 exec, exec, s[0:1]
	v_cmp_gt_i32_e64 s[0:1], s26, v224
	s_mov_b64 s[22:23], 0
	s_and_b64 vcc, exec, s[24:25]
	s_cbranch_vccnz .LBB125_109
	s_branch .LBB125_110
.LBB125_108:                            ;   in Loop: Header=BB125_100 Depth=1
	s_mov_b64 s[0:1], 0
                                        ; implicit-def: $sgpr22_sgpr23
                                        ; implicit-def: $vgpr16_vgpr17
                                        ; implicit-def: $vgpr12_vgpr13
                                        ; implicit-def: $vgpr8_vgpr9
	s_cbranch_execz .LBB125_110
.LBB125_109:                            ;   in Loop: Header=BB125_100 Depth=1
	s_waitcnt vmcnt(0)
	v_lshl_add_u64 v[10:11], v[184:185], 0, v[174:175]
	v_lshl_add_u64 v[14:15], v[180:181], 0, v[174:175]
	global_load_dwordx4 v[6:9], v[18:19], off offset:-8
	s_or_b64 s[0:1], s[0:1], exec
	global_load_dwordx4 v[10:13], v[10:11], off offset:-8
                                        ; implicit-def: $sgpr22_sgpr23
	s_nop 0
	global_load_dwordx4 v[14:17], v[14:15], off
.LBB125_110:                            ;   in Loop: Header=BB125_100 Depth=1
	v_mov_b64_e32 v[18:19], s[22:23]
	v_mov_b64_e32 v[20:21], s[22:23]
	s_and_saveexec_b64 s[22:23], s[0:1]
	s_cbranch_execz .LBB125_112
; %bb.111:                              ;   in Loop: Header=BB125_100 Depth=1
	v_lshl_add_u64 v[18:19], v[192:193], 0, v[174:175]
	global_load_dwordx4 v[18:21], v[18:19], off offset:-8
.LBB125_112:                            ;   in Loop: Header=BB125_100 Depth=1
	s_or_b64 exec, exec, s[22:23]
	ds_read_b128 v[34:37], v218
	ds_read_b128 v[22:25], v225
	v_cndmask_b32_e64 v5, 0, 1, s[16:17]
	v_cmp_ne_u32_e64 s[0:1], 1, v5
	s_andn2_b64 vcc, exec, s[16:17]
	s_waitcnt vmcnt(0) lgkmcnt(1)
	v_mul_f64 v[26:27], v[8:9], v[36:37]
	v_mul_f64 v[28:29], v[6:7], v[36:37]
	;; [unrolled: 1-line block ×3, first 2 shown]
	v_fma_f64 v[26:27], v[6:7], v[34:35], -v[26:27]
	v_fmac_f64_e32 v[28:29], v[8:9], v[34:35]
	v_mul_f64 v[32:33], v[10:11], v[36:37]
	ds_write_b128 v226, v[26:29]
	v_fma_f64 v[30:31], v[10:11], v[34:35], -v[30:31]
	v_fmac_f64_e32 v[32:33], v[12:13], v[34:35]
	v_mul_f64 v[38:39], v[16:17], v[36:37]
	v_mul_f64 v[40:41], v[14:15], v[36:37]
	ds_read_b128 v[26:29], v225 offset:16
	ds_write_b128 v226, v[30:33] offset:1072
	v_fma_f64 v[38:39], v[14:15], v[34:35], -v[38:39]
	v_fmac_f64_e32 v[40:41], v[16:17], v[34:35]
	v_mul_f64 v[42:43], v[20:21], v[36:37]
	v_mul_f64 v[44:45], v[18:19], v[36:37]
	ds_read_b128 v[30:33], v225 offset:32
	ds_write_b128 v226, v[38:41] offset:2144
	v_fma_f64 v[42:43], v[18:19], v[34:35], -v[42:43]
	v_fmac_f64_e32 v[44:45], v[20:21], v[34:35]
	ds_read_b128 v[38:41], v225 offset:48
	ds_write_b128 v226, v[42:45] offset:3216
	s_waitcnt lgkmcnt(0)
	s_barrier
	ds_read_b128 v[98:101], v221
	ds_read_b128 v[94:97], v221 offset:16
	ds_read_b128 v[86:89], v221 offset:32
	ds_read_b128 v[82:85], v221 offset:48
	v_lshl_add_u64 v[50:51], v[196:197], 0, v[174:175]
	s_waitcnt lgkmcnt(0)
	s_barrier
	s_cbranch_vccnz .LBB125_120
; %bb.113:                              ;   in Loop: Header=BB125_100 Depth=1
	v_mov_b64_e32 v[42:43], 0
	v_cmp_gt_i32_e32 vcc, s26, v227
	v_mov_b64_e32 v[34:35], v[42:43]
	v_mov_b64_e32 v[36:37], v[42:43]
	s_and_saveexec_b64 s[16:17], vcc
	s_cbranch_execz .LBB125_115
; %bb.114:                              ;   in Loop: Header=BB125_100 Depth=1
	global_load_dwordx4 v[34:37], v[50:51], off offset:-8
.LBB125_115:                            ;   in Loop: Header=BB125_100 Depth=1
	s_or_b64 exec, exec, s[16:17]
	v_cmp_gt_i32_e32 vcc, s26, v228
	v_mov_b64_e32 v[44:45], v[42:43]
	s_and_saveexec_b64 s[16:17], vcc
	s_cbranch_execz .LBB125_117
; %bb.116:                              ;   in Loop: Header=BB125_100 Depth=1
	v_lshl_add_u64 v[42:43], v[200:201], 0, v[174:175]
	global_load_dwordx4 v[42:45], v[42:43], off offset:-8
.LBB125_117:                            ;   in Loop: Header=BB125_100 Depth=1
	s_or_b64 exec, exec, s[16:17]
	v_mov_b64_e32 v[46:47], 0
	v_cmp_gt_i32_e32 vcc, s26, v229
	s_mov_b64 s[24:25], 0
	v_mov_b64_e32 v[48:49], v[46:47]
	s_and_saveexec_b64 s[16:17], vcc
	s_cbranch_execz .LBB125_119
; %bb.118:                              ;   in Loop: Header=BB125_100 Depth=1
	v_lshl_add_u64 v[46:47], v[204:205], 0, v[174:175]
	global_load_dwordx4 v[46:49], v[46:47], off offset:-8
.LBB125_119:                            ;   in Loop: Header=BB125_100 Depth=1
	s_or_b64 exec, exec, s[16:17]
	v_cmp_gt_i32_e64 s[16:17], s26, v230
	s_mov_b64 s[22:23], 0
	s_and_b64 vcc, exec, s[24:25]
	s_cbranch_vccnz .LBB125_121
	s_branch .LBB125_122
.LBB125_120:                            ;   in Loop: Header=BB125_100 Depth=1
	s_mov_b64 s[16:17], 0
                                        ; implicit-def: $sgpr22_sgpr23
                                        ; implicit-def: $vgpr48_vgpr49
                                        ; implicit-def: $vgpr44_vgpr45
                                        ; implicit-def: $vgpr36_vgpr37
	s_cbranch_execz .LBB125_122
.LBB125_121:                            ;   in Loop: Header=BB125_100 Depth=1
	s_waitcnt vmcnt(0)
	v_lshl_add_u64 v[42:43], v[200:201], 0, v[174:175]
	v_lshl_add_u64 v[46:47], v[208:209], 0, v[174:175]
	global_load_dwordx4 v[34:37], v[50:51], off offset:-8
	s_or_b64 s[16:17], s[16:17], exec
	global_load_dwordx4 v[42:45], v[42:43], off offset:-8
                                        ; implicit-def: $sgpr22_sgpr23
	s_nop 0
	global_load_dwordx4 v[46:49], v[46:47], off
.LBB125_122:                            ;   in Loop: Header=BB125_100 Depth=1
	v_mov_b64_e32 v[50:51], s[22:23]
	v_mov_b64_e32 v[52:53], s[22:23]
	s_and_saveexec_b64 s[22:23], s[16:17]
	s_cbranch_execz .LBB125_124
; %bb.123:                              ;   in Loop: Header=BB125_100 Depth=1
	v_lshl_add_u64 v[50:51], v[212:213], 0, v[174:175]
	global_load_dwordx4 v[50:53], v[50:51], off offset:-8
.LBB125_124:                            ;   in Loop: Header=BB125_100 Depth=1
	s_or_b64 exec, exec, s[22:23]
	ds_read_b128 v[66:69], v218
	ds_read_b128 v[54:57], v225 offset:256
	s_and_b64 vcc, exec, s[0:1]
	v_lshl_add_u64 v[90:91], v[214:215], 0, v[174:175]
	s_waitcnt vmcnt(0) lgkmcnt(1)
	v_mul_f64 v[58:59], v[36:37], v[68:69]
	v_mul_f64 v[60:61], v[34:35], v[68:69]
	v_mul_f64 v[62:63], v[44:45], v[68:69]
	v_fma_f64 v[58:59], v[34:35], v[66:67], -v[58:59]
	v_fmac_f64_e32 v[60:61], v[36:37], v[66:67]
	v_mul_f64 v[64:65], v[42:43], v[68:69]
	ds_write_b128 v226, v[58:61]
	v_fma_f64 v[62:63], v[42:43], v[66:67], -v[62:63]
	v_fmac_f64_e32 v[64:65], v[44:45], v[66:67]
	v_mul_f64 v[70:71], v[48:49], v[68:69]
	v_mul_f64 v[72:73], v[46:47], v[68:69]
	ds_read_b128 v[58:61], v225 offset:272
	ds_write_b128 v226, v[62:65] offset:1072
	v_fma_f64 v[70:71], v[46:47], v[66:67], -v[70:71]
	v_fmac_f64_e32 v[72:73], v[48:49], v[66:67]
	ds_read_b128 v[62:65], v225 offset:288
	ds_write_b128 v226, v[70:73] offset:2144
	v_mul_f64 v[70:71], v[52:53], v[68:69]
	v_mul_f64 v[72:73], v[50:51], v[68:69]
	v_fma_f64 v[70:71], v[50:51], v[66:67], -v[70:71]
	v_fmac_f64_e32 v[72:73], v[52:53], v[66:67]
	ds_read_b128 v[74:77], v225 offset:304
	ds_write_b128 v226, v[70:73] offset:3216
	s_waitcnt lgkmcnt(0)
	s_barrier
	ds_read_b128 v[146:149], v221
	ds_read_b128 v[142:145], v221 offset:16
	ds_read_b128 v[138:141], v221 offset:32
	;; [unrolled: 1-line block ×3, first 2 shown]
	s_waitcnt lgkmcnt(0)
	s_barrier
	s_cbranch_vccnz .LBB125_132
; %bb.125:                              ;   in Loop: Header=BB125_100 Depth=1
	v_mov_b64_e32 v[70:71], 0
	v_cmp_gt_i32_e32 vcc, s26, v231
	v_mov_b64_e32 v[66:67], v[70:71]
	v_mov_b64_e32 v[68:69], v[70:71]
	s_and_saveexec_b64 s[16:17], vcc
	s_cbranch_execz .LBB125_127
; %bb.126:                              ;   in Loop: Header=BB125_100 Depth=1
	global_load_dwordx4 v[66:69], v[90:91], off offset:-8
.LBB125_127:                            ;   in Loop: Header=BB125_100 Depth=1
	s_or_b64 exec, exec, s[16:17]
	v_cmp_gt_i32_e32 vcc, s26, v232
	v_mov_b64_e32 v[72:73], v[70:71]
	s_and_saveexec_b64 s[16:17], vcc
	s_cbranch_execz .LBB125_129
; %bb.128:                              ;   in Loop: Header=BB125_100 Depth=1
	v_lshl_add_u64 v[70:71], v[210:211], 0, v[174:175]
	global_load_dwordx4 v[70:73], v[70:71], off
.LBB125_129:                            ;   in Loop: Header=BB125_100 Depth=1
	s_or_b64 exec, exec, s[16:17]
	v_mov_b64_e32 v[78:79], 0
	v_cmp_gt_i32_e32 vcc, s26, v233
	s_mov_b64 s[24:25], 0
	v_mov_b64_e32 v[80:81], v[78:79]
	s_and_saveexec_b64 s[16:17], vcc
	s_cbranch_execz .LBB125_131
; %bb.130:                              ;   in Loop: Header=BB125_100 Depth=1
	v_lshl_add_u64 v[78:79], v[206:207], 0, v[174:175]
	global_load_dwordx4 v[78:81], v[78:79], off
.LBB125_131:                            ;   in Loop: Header=BB125_100 Depth=1
	s_or_b64 exec, exec, s[16:17]
	v_cmp_gt_i32_e64 s[16:17], s26, v234
	s_mov_b64 s[22:23], 0
	s_and_b64 vcc, exec, s[24:25]
	s_cbranch_vccnz .LBB125_133
	s_branch .LBB125_134
.LBB125_132:                            ;   in Loop: Header=BB125_100 Depth=1
	s_mov_b64 s[16:17], 0
                                        ; implicit-def: $sgpr22_sgpr23
                                        ; implicit-def: $vgpr80_vgpr81
                                        ; implicit-def: $vgpr72_vgpr73
                                        ; implicit-def: $vgpr68_vgpr69
	s_cbranch_execz .LBB125_134
.LBB125_133:                            ;   in Loop: Header=BB125_100 Depth=1
	s_waitcnt vmcnt(0)
	v_lshl_add_u64 v[70:71], v[210:211], 0, v[174:175]
	v_lshl_add_u64 v[78:79], v[202:203], 0, v[174:175]
	global_load_dwordx4 v[66:69], v[90:91], off offset:-8
	s_or_b64 s[16:17], s[16:17], exec
	global_load_dwordx4 v[70:73], v[70:71], off
                                        ; implicit-def: $sgpr22_sgpr23
	s_nop 0
	global_load_dwordx4 v[78:81], v[78:79], off offset:-8
.LBB125_134:                            ;   in Loop: Header=BB125_100 Depth=1
	v_mov_b64_e32 v[90:91], s[22:23]
	v_mov_b64_e32 v[92:93], s[22:23]
	s_and_saveexec_b64 s[22:23], s[16:17]
	s_cbranch_execz .LBB125_136
; %bb.135:                              ;   in Loop: Header=BB125_100 Depth=1
	v_lshl_add_u64 v[90:91], v[198:199], 0, v[174:175]
	global_load_dwordx4 v[90:93], v[90:91], off
.LBB125_136:                            ;   in Loop: Header=BB125_100 Depth=1
	s_or_b64 exec, exec, s[22:23]
	ds_read_b128 v[114:117], v218
	ds_read_b128 v[102:105], v225 offset:512
	s_and_b64 vcc, exec, s[0:1]
	v_lshl_add_u64 v[130:131], v[194:195], 0, v[174:175]
	s_waitcnt vmcnt(0) lgkmcnt(1)
	v_mul_f64 v[106:107], v[68:69], v[116:117]
	v_mul_f64 v[108:109], v[66:67], v[116:117]
	;; [unrolled: 1-line block ×3, first 2 shown]
	v_fma_f64 v[106:107], v[66:67], v[114:115], -v[106:107]
	v_fmac_f64_e32 v[108:109], v[68:69], v[114:115]
	v_mul_f64 v[112:113], v[70:71], v[116:117]
	ds_write_b128 v226, v[106:109]
	v_fma_f64 v[110:111], v[70:71], v[114:115], -v[110:111]
	v_fmac_f64_e32 v[112:113], v[72:73], v[114:115]
	v_mul_f64 v[118:119], v[80:81], v[116:117]
	v_mul_f64 v[120:121], v[78:79], v[116:117]
	ds_read_b128 v[106:109], v225 offset:528
	ds_write_b128 v226, v[110:113] offset:1072
	v_fma_f64 v[118:119], v[78:79], v[114:115], -v[118:119]
	v_fmac_f64_e32 v[120:121], v[80:81], v[114:115]
	v_mul_f64 v[122:123], v[92:93], v[116:117]
	v_mul_f64 v[124:125], v[90:91], v[116:117]
	ds_read_b128 v[110:113], v225 offset:544
	ds_write_b128 v226, v[118:121] offset:2144
	v_fma_f64 v[122:123], v[90:91], v[114:115], -v[122:123]
	v_fmac_f64_e32 v[124:125], v[92:93], v[114:115]
	ds_read_b128 v[118:121], v225 offset:560
	ds_write_b128 v226, v[122:125] offset:3216
	s_waitcnt lgkmcnt(0)
	s_barrier
	ds_read_b128 v[162:165], v221
	ds_read_b128 v[158:161], v221 offset:16
	ds_read_b128 v[154:157], v221 offset:32
	;; [unrolled: 1-line block ×3, first 2 shown]
	s_waitcnt lgkmcnt(0)
	s_barrier
	s_cbranch_vccnz .LBB125_144
; %bb.137:                              ;   in Loop: Header=BB125_100 Depth=1
	v_mov_b64_e32 v[122:123], 0
	v_cmp_gt_i32_e32 vcc, s26, v235
	v_mov_b64_e32 v[114:115], v[122:123]
	v_mov_b64_e32 v[116:117], v[122:123]
	s_and_saveexec_b64 s[0:1], vcc
	s_cbranch_execz .LBB125_139
; %bb.138:                              ;   in Loop: Header=BB125_100 Depth=1
	global_load_dwordx4 v[114:117], v[130:131], off
.LBB125_139:                            ;   in Loop: Header=BB125_100 Depth=1
	s_or_b64 exec, exec, s[0:1]
	v_cmp_gt_i32_e32 vcc, s26, v236
	v_mov_b64_e32 v[124:125], v[122:123]
	s_and_saveexec_b64 s[0:1], vcc
	s_cbranch_execz .LBB125_141
; %bb.140:                              ;   in Loop: Header=BB125_100 Depth=1
	v_lshl_add_u64 v[122:123], v[190:191], 0, v[174:175]
	global_load_dwordx4 v[122:125], v[122:123], off
.LBB125_141:                            ;   in Loop: Header=BB125_100 Depth=1
	s_or_b64 exec, exec, s[0:1]
	v_mov_b64_e32 v[126:127], 0
	v_cmp_gt_i32_e32 vcc, s26, v237
	s_mov_b64 s[22:23], 0
	v_mov_b64_e32 v[128:129], v[126:127]
	s_and_saveexec_b64 s[0:1], vcc
	s_cbranch_execz .LBB125_143
; %bb.142:                              ;   in Loop: Header=BB125_100 Depth=1
	v_lshl_add_u64 v[126:127], v[186:187], 0, v[174:175]
	global_load_dwordx4 v[126:129], v[126:127], off
.LBB125_143:                            ;   in Loop: Header=BB125_100 Depth=1
	s_or_b64 exec, exec, s[0:1]
	v_cmp_gt_i32_e64 s[0:1], s26, v238
	s_mov_b64 s[16:17], 0
	s_and_b64 vcc, exec, s[22:23]
	s_cbranch_vccnz .LBB125_145
	s_branch .LBB125_146
.LBB125_144:                            ;   in Loop: Header=BB125_100 Depth=1
	s_mov_b64 s[0:1], 0
                                        ; implicit-def: $sgpr16_sgpr17
                                        ; implicit-def: $vgpr128_vgpr129
                                        ; implicit-def: $vgpr124_vgpr125
                                        ; implicit-def: $vgpr116_vgpr117
	s_cbranch_execz .LBB125_146
.LBB125_145:                            ;   in Loop: Header=BB125_100 Depth=1
	s_waitcnt vmcnt(0)
	v_lshl_add_u64 v[122:123], v[190:191], 0, v[174:175]
	v_lshl_add_u64 v[126:127], v[182:183], 0, v[174:175]
	global_load_dwordx4 v[114:117], v[130:131], off
	s_or_b64 s[0:1], s[0:1], exec
	global_load_dwordx4 v[122:125], v[122:123], off
                                        ; implicit-def: $sgpr16_sgpr17
	s_nop 0
	global_load_dwordx4 v[126:129], v[126:127], off offset:-8
.LBB125_146:                            ;   in Loop: Header=BB125_100 Depth=1
	v_mov_b64_e32 v[130:131], s[16:17]
	v_mov_b64_e32 v[132:133], s[16:17]
	s_and_saveexec_b64 s[16:17], s[0:1]
	s_cbranch_execz .LBB125_148
; %bb.147:                              ;   in Loop: Header=BB125_100 Depth=1
	v_lshl_add_u64 v[130:131], v[178:179], 0, v[174:175]
	global_load_dwordx4 v[130:133], v[130:131], off
.LBB125_148:                            ;   in Loop: Header=BB125_100 Depth=1
	s_or_b64 exec, exec, s[16:17]
	v_add_f64 v[146:147], v[146:147], 0
	v_add_f64 v[148:149], v[148:149], 0
	v_add_f64 v[142:143], v[146:147], v[142:143]
	v_add_f64 v[144:145], v[148:149], v[144:145]
	v_add_f64 v[138:139], v[142:143], v[138:139]
	v_add_f64 v[140:141], v[144:145], v[140:141]
	ds_read_b128 v[142:145], v218
	v_add_f64 v[162:163], v[162:163], 0
	v_add_f64 v[98:99], v[98:99], 0
	;; [unrolled: 1-line block ×11, first 2 shown]
	ds_read_b128 v[86:89], v225 offset:768
	s_waitcnt vmcnt(0) lgkmcnt(1)
	v_mul_f64 v[94:95], v[116:117], v[144:145]
	v_mul_f64 v[96:97], v[114:115], v[144:145]
	v_fma_f64 v[94:95], v[114:115], v[142:143], -v[94:95]
	v_fmac_f64_e32 v[96:97], v[116:117], v[142:143]
	v_mul_f64 v[98:99], v[124:125], v[144:145]
	v_mul_f64 v[100:101], v[122:123], v[144:145]
	v_add_f64 v[138:139], v[138:139], v[134:135]
	v_add_f64 v[140:141], v[140:141], v[136:137]
	ds_write_b128 v226, v[94:97]
	v_fma_f64 v[98:99], v[122:123], v[142:143], -v[98:99]
	v_fmac_f64_e32 v[100:101], v[124:125], v[142:143]
	v_mul_f64 v[134:135], v[128:129], v[144:145]
	v_mul_f64 v[136:137], v[126:127], v[144:145]
	ds_read_b128 v[94:97], v225 offset:784
	ds_write_b128 v226, v[98:101] offset:1072
	v_fma_f64 v[134:135], v[126:127], v[142:143], -v[134:135]
	v_fmac_f64_e32 v[136:137], v[128:129], v[142:143]
	v_mul_f64 v[146:147], v[132:133], v[144:145]
	v_mul_f64 v[148:149], v[130:131], v[144:145]
	ds_read_b128 v[98:101], v225 offset:800
	ds_write_b128 v226, v[134:137] offset:2144
	v_fma_f64 v[146:147], v[130:131], v[142:143], -v[146:147]
	v_fmac_f64_e32 v[148:149], v[132:133], v[142:143]
	v_add_f64 v[164:165], v[164:165], 0
	ds_read_b128 v[134:137], v225 offset:816
	ds_write_b128 v226, v[146:149] offset:3216
	s_waitcnt lgkmcnt(0)
	s_barrier
	ds_read_b128 v[142:145], v221
	v_add_f64 v[160:161], v[164:165], v[160:161]
	v_add_f64 v[156:157], v[160:161], v[156:157]
	;; [unrolled: 1-line block ×4, first 2 shown]
	ds_read_b128 v[146:149], v221 offset:16
	ds_read_b128 v[154:157], v221 offset:32
	;; [unrolled: 1-line block ×3, first 2 shown]
	s_waitcnt lgkmcnt(3)
	v_add_f64 v[142:143], v[142:143], 0
	v_add_f64 v[144:145], v[144:145], 0
	v_cmp_gt_i32_e32 vcc, s26, v168
	s_waitcnt lgkmcnt(2)
	v_add_f64 v[142:143], v[142:143], v[146:147]
	v_add_f64 v[144:145], v[144:145], v[148:149]
	s_or_b64 s[0:1], s[14:15], vcc
	s_waitcnt lgkmcnt(1)
	v_add_f64 v[142:143], v[142:143], v[154:155]
	v_add_f64 v[144:145], v[144:145], v[156:157]
	s_and_b64 s[14:15], s[6:7], s[0:1]
	s_waitcnt lgkmcnt(0)
	v_add_f64 v[142:143], v[142:143], v[158:159]
	v_add_f64 v[144:145], v[144:145], v[160:161]
	s_barrier
	ds_write_b128 v239, v[82:85]
	ds_write_b128 v239, v[138:141] offset:256
	ds_write_b128 v239, v[150:153] offset:512
	;; [unrolled: 1-line block ×3, first 2 shown]
	s_waitcnt lgkmcnt(0)
	s_barrier
	s_and_saveexec_b64 s[0:1], s[14:15]
	s_cbranch_execz .LBB125_150
; %bb.149:                              ;   in Loop: Header=BB125_100 Depth=1
	ds_read_b128 v[82:85], v219
	ds_read_b128 v[138:141], v219 offset:16
	ds_read_b128 v[142:145], v219 offset:32
	;; [unrolled: 1-line block ×3, first 2 shown]
	v_ashrrev_i32_e32 v173, 31, v172
	s_waitcnt lgkmcnt(2)
	v_add_f64 v[82:83], v[138:139], v[82:83]
	v_add_f64 v[138:139], v[140:141], v[84:85]
	s_waitcnt lgkmcnt(1)
	v_add_f64 v[140:141], v[82:83], v[142:143]
	ds_read_b128 v[82:85], v219 offset:64
	v_add_f64 v[142:143], v[138:139], v[144:145]
	s_waitcnt lgkmcnt(1)
	v_add_f64 v[144:145], v[140:141], v[146:147]
	ds_read_b128 v[138:141], v219 offset:80
	;; [unrolled: 4-line block ×9, first 2 shown]
	v_add_f64 v[84:85], v[146:147], v[84:85]
	s_waitcnt lgkmcnt(1)
	v_add_f64 v[138:139], v[82:83], v[138:139]
	v_add_f64 v[146:147], v[84:85], v[140:141]
	ds_read_b128 v[82:85], v219 offset:208
	s_waitcnt lgkmcnt(1)
	v_add_f64 v[148:149], v[138:139], v[142:143]
	ds_read_b128 v[138:141], v219 offset:224
	v_add_f64 v[146:147], v[146:147], v[144:145]
	ds_read_b128 v[142:145], v220
	s_waitcnt lgkmcnt(2)
	v_add_f64 v[82:83], v[148:149], v[82:83]
	v_add_f64 v[84:85], v[146:147], v[84:85]
	s_waitcnt lgkmcnt(1)
	v_add_f64 v[82:83], v[82:83], v[138:139]
	v_add_f64 v[84:85], v[84:85], v[140:141]
	;; [unrolled: 3-line block ×3, first 2 shown]
	v_lshl_add_u64 v[138:139], v[172:173], 4, s[8:9]
	global_store_dwordx4 v[138:139], v[82:85], off
.LBB125_150:                            ;   in Loop: Header=BB125_100 Depth=1
	s_or_b64 exec, exec, s[0:1]
	s_nop 0
	v_mul_f64 v[82:83], v[8:9], v[24:25]
	v_fma_f64 v[82:83], v[6:7], v[22:23], -v[82:83]
	v_mul_f64 v[6:7], v[6:7], v[24:25]
	v_mul_f64 v[24:25], v[12:13], v[28:29]
	v_add_f64 v[0:1], v[0:1], v[82:83]
	v_fma_f64 v[24:25], v[10:11], v[26:27], -v[24:25]
	v_add_f64 v[0:1], v[0:1], v[24:25]
	v_mul_f64 v[24:25], v[16:17], v[32:33]
	v_fma_f64 v[24:25], v[14:15], v[30:31], -v[24:25]
	v_add_f64 v[0:1], v[0:1], v[24:25]
	v_mul_f64 v[24:25], v[20:21], v[40:41]
	v_fmac_f64_e32 v[6:7], v[8:9], v[22:23]
	v_fma_f64 v[24:25], v[18:19], v[38:39], -v[24:25]
	v_add_f64 v[2:3], v[2:3], v[6:7]
	v_mul_f64 v[6:7], v[36:37], v[56:57]
	v_add_f64 v[0:1], v[0:1], v[24:25]
	v_fma_f64 v[6:7], v[34:35], v[54:55], -v[6:7]
	v_add_f64 v[0:1], v[0:1], v[6:7]
	v_mul_f64 v[6:7], v[44:45], v[60:61]
	v_fma_f64 v[6:7], v[42:43], v[58:59], -v[6:7]
	v_add_f64 v[0:1], v[0:1], v[6:7]
	v_mul_f64 v[6:7], v[48:49], v[64:65]
	;; [unrolled: 3-line block ×3, first 2 shown]
	v_fma_f64 v[6:7], v[50:51], v[74:75], -v[6:7]
	v_mul_f64 v[10:11], v[10:11], v[28:29]
	v_add_f64 v[0:1], v[0:1], v[6:7]
	v_mul_f64 v[6:7], v[68:69], v[104:105]
	v_mul_f64 v[14:15], v[14:15], v[32:33]
	v_fmac_f64_e32 v[10:11], v[12:13], v[26:27]
	v_fma_f64 v[6:7], v[66:67], v[102:103], -v[6:7]
	v_mul_f64 v[18:19], v[18:19], v[40:41]
	v_add_f64 v[2:3], v[2:3], v[10:11]
	v_fmac_f64_e32 v[14:15], v[16:17], v[30:31]
	v_add_f64 v[0:1], v[0:1], v[6:7]
	v_mul_f64 v[6:7], v[72:73], v[108:109]
	v_add_f64 v[2:3], v[2:3], v[14:15]
	v_fmac_f64_e32 v[18:19], v[20:21], v[38:39]
	v_mul_f64 v[8:9], v[34:35], v[56:57]
	v_fma_f64 v[6:7], v[70:71], v[106:107], -v[6:7]
	v_add_f64 v[2:3], v[2:3], v[18:19]
	v_mul_f64 v[10:11], v[42:43], v[60:61]
	v_fmac_f64_e32 v[8:9], v[36:37], v[54:55]
	v_add_f64 v[0:1], v[0:1], v[6:7]
	v_mul_f64 v[6:7], v[80:81], v[112:113]
	v_mul_f64 v[12:13], v[46:47], v[64:65]
	v_add_f64 v[2:3], v[2:3], v[8:9]
	v_fmac_f64_e32 v[10:11], v[44:45], v[58:59]
	v_fma_f64 v[6:7], v[78:79], v[110:111], -v[6:7]
	v_mul_f64 v[14:15], v[50:51], v[76:77]
	v_add_f64 v[2:3], v[2:3], v[10:11]
	v_fmac_f64_e32 v[12:13], v[48:49], v[62:63]
	v_add_f64 v[0:1], v[0:1], v[6:7]
	v_mul_f64 v[6:7], v[92:93], v[120:121]
	v_add_f64 v[2:3], v[2:3], v[12:13]
	v_fmac_f64_e32 v[14:15], v[52:53], v[74:75]
	v_mul_f64 v[8:9], v[66:67], v[104:105]
	v_fma_f64 v[6:7], v[90:91], v[118:119], -v[6:7]
	v_add_f64 v[2:3], v[2:3], v[14:15]
	v_mul_f64 v[10:11], v[70:71], v[108:109]
	v_add_f64 v[0:1], v[0:1], v[6:7]
	v_fmac_f64_e32 v[8:9], v[68:69], v[102:103]
	v_mul_f64 v[6:7], v[116:117], v[88:89]
	v_mul_f64 v[12:13], v[78:79], v[112:113]
	v_add_f64 v[2:3], v[2:3], v[8:9]
	v_fmac_f64_e32 v[10:11], v[72:73], v[106:107]
	v_fma_f64 v[6:7], v[114:115], v[86:87], -v[6:7]
	v_mul_f64 v[14:15], v[90:91], v[120:121]
	v_add_f64 v[2:3], v[2:3], v[10:11]
	v_fmac_f64_e32 v[12:13], v[80:81], v[110:111]
	v_add_f64 v[0:1], v[0:1], v[6:7]
	v_mul_f64 v[6:7], v[124:125], v[96:97]
	v_add_f64 v[2:3], v[2:3], v[12:13]
	v_fmac_f64_e32 v[14:15], v[92:93], v[118:119]
	v_mul_f64 v[8:9], v[114:115], v[88:89]
	v_fma_f64 v[6:7], v[122:123], v[94:95], -v[6:7]
	v_add_f64 v[2:3], v[2:3], v[14:15]
	v_mul_f64 v[10:11], v[122:123], v[96:97]
	v_add_f64 v[0:1], v[0:1], v[6:7]
	v_mul_f64 v[6:7], v[128:129], v[100:101]
	v_fmac_f64_e32 v[8:9], v[116:117], v[86:87]
	v_fma_f64 v[6:7], v[126:127], v[98:99], -v[6:7]
	v_mul_f64 v[12:13], v[126:127], v[100:101]
	v_fmac_f64_e32 v[10:11], v[124:125], v[94:95]
	v_add_f64 v[2:3], v[2:3], v[8:9]
	v_add_f64 v[0:1], v[0:1], v[6:7]
	v_mul_f64 v[6:7], v[132:133], v[136:137]
	v_mul_f64 v[14:15], v[130:131], v[136:137]
	v_fmac_f64_e32 v[12:13], v[128:129], v[98:99]
	v_add_f64 v[2:3], v[2:3], v[10:11]
	v_fma_f64 v[6:7], v[130:131], v[134:135], -v[6:7]
	v_fmac_f64_e32 v[14:15], v[132:133], v[134:135]
	v_add_f64 v[2:3], v[2:3], v[12:13]
	s_add_i32 s0, s2, 1
	s_add_i32 s10, s10, s19
	;; [unrolled: 1-line block ×3, first 2 shown]
	v_add_f64 v[0:1], v[0:1], v[6:7]
	v_add_f64 v[2:3], v[2:3], v[14:15]
	v_add_u32_e32 v172, 64, v172
	v_lshl_add_u64 v[176:177], v[176:177], 0, s[12:13]
	v_lshl_add_u64 v[178:179], v[178:179], 0, s[12:13]
	;; [unrolled: 1-line block ×19, first 2 shown]
	s_cmp_ge_u32 s1, s30
	v_lshl_add_u64 v[214:215], v[214:215], 0, s[12:13]
	s_barrier
	s_cbranch_scc1 .LBB125_152
; %bb.151:                              ;   in Loop: Header=BB125_100 Depth=1
	s_mov_b32 s2, s0
	s_cmp_eq_u32 s3, s2
	s_cselect_b32 s26, s31, 0
	s_and_saveexec_b64 s[0:1], s[4:5]
	s_cbranch_execnz .LBB125_96
	s_branch .LBB125_100
.LBB125_152:
	s_movk_i32 s0, 0x430
	v_cmp_gt_i32_e32 vcc, s18, v168
	v_mad_u32_u24 v4, v167, s0, v169
	s_or_b64 s[0:1], s[20:21], vcc
	s_and_b64 s[0:1], s[4:5], s[0:1]
	ds_write_b128 v4, v[0:3]
	s_waitcnt lgkmcnt(0)
	s_barrier
	s_and_saveexec_b64 s[2:3], s[0:1]
	s_cbranch_execz .LBB125_154
; %bb.153:
	ds_read_b128 v[0:3], v169 offset:1072
	ds_read_b128 v[4:7], v169
	ds_read_b128 v[8:11], v169 offset:2144
	ds_read_b128 v[12:15], v169 offset:3216
	v_ashrrev_i32_e32 v167, 31, v166
	s_waitcnt lgkmcnt(2)
	v_add_f64 v[0:1], v[0:1], v[4:5]
	v_add_f64 v[2:3], v[2:3], v[6:7]
	s_waitcnt lgkmcnt(1)
	v_add_f64 v[0:1], v[0:1], v[8:9]
	v_add_f64 v[2:3], v[2:3], v[10:11]
	;; [unrolled: 3-line block ×3, first 2 shown]
	v_lshl_add_u64 v[4:5], v[166:167], 4, s[8:9]
	global_store_dwordx4 v[4:5], v[0:3], off
.LBB125_154:
	s_endpgm
	.section	.rodata,"a",@progbits
	.p2align	6, 0x0
	.amdhsa_kernel _ZL26rocblas_hemvn_kernel_upperILb0ELi64ELi4ELi33ELi32ELi16Ei19rocblas_complex_numIdEPKS1_PS1_EviT6_lT7_lT5_lS6_lS7_lS5_lT8_i
		.amdhsa_group_segment_fixed_size 19200
		.amdhsa_private_segment_fixed_size 0
		.amdhsa_kernarg_size 392
		.amdhsa_user_sgpr_count 2
		.amdhsa_user_sgpr_dispatch_ptr 0
		.amdhsa_user_sgpr_queue_ptr 0
		.amdhsa_user_sgpr_kernarg_segment_ptr 1
		.amdhsa_user_sgpr_dispatch_id 0
		.amdhsa_user_sgpr_kernarg_preload_length 0
		.amdhsa_user_sgpr_kernarg_preload_offset 0
		.amdhsa_user_sgpr_private_segment_size 0
		.amdhsa_uses_dynamic_stack 0
		.amdhsa_enable_private_segment 0
		.amdhsa_system_sgpr_workgroup_id_x 1
		.amdhsa_system_sgpr_workgroup_id_y 0
		.amdhsa_system_sgpr_workgroup_id_z 1
		.amdhsa_system_sgpr_workgroup_info 0
		.amdhsa_system_vgpr_workitem_id 1
		.amdhsa_next_free_vgpr 240
		.amdhsa_next_free_sgpr 40
		.amdhsa_accum_offset 240
		.amdhsa_reserve_vcc 1
		.amdhsa_float_round_mode_32 0
		.amdhsa_float_round_mode_16_64 0
		.amdhsa_float_denorm_mode_32 3
		.amdhsa_float_denorm_mode_16_64 3
		.amdhsa_dx10_clamp 1
		.amdhsa_ieee_mode 1
		.amdhsa_fp16_overflow 0
		.amdhsa_tg_split 0
		.amdhsa_exception_fp_ieee_invalid_op 0
		.amdhsa_exception_fp_denorm_src 0
		.amdhsa_exception_fp_ieee_div_zero 0
		.amdhsa_exception_fp_ieee_overflow 0
		.amdhsa_exception_fp_ieee_underflow 0
		.amdhsa_exception_fp_ieee_inexact 0
		.amdhsa_exception_int_div_zero 0
	.end_amdhsa_kernel
	.section	.text._ZL26rocblas_hemvn_kernel_upperILb0ELi64ELi4ELi33ELi32ELi16Ei19rocblas_complex_numIdEPKS1_PS1_EviT6_lT7_lT5_lS6_lS7_lS5_lT8_i,"axG",@progbits,_ZL26rocblas_hemvn_kernel_upperILb0ELi64ELi4ELi33ELi32ELi16Ei19rocblas_complex_numIdEPKS1_PS1_EviT6_lT7_lT5_lS6_lS7_lS5_lT8_i,comdat
.Lfunc_end125:
	.size	_ZL26rocblas_hemvn_kernel_upperILb0ELi64ELi4ELi33ELi32ELi16Ei19rocblas_complex_numIdEPKS1_PS1_EviT6_lT7_lT5_lS6_lS7_lS5_lT8_i, .Lfunc_end125-_ZL26rocblas_hemvn_kernel_upperILb0ELi64ELi4ELi33ELi32ELi16Ei19rocblas_complex_numIdEPKS1_PS1_EviT6_lT7_lT5_lS6_lS7_lS5_lT8_i
                                        ; -- End function
	.section	.AMDGPU.csdata,"",@progbits
; Kernel info:
; codeLenInByte = 10300
; NumSgprs: 46
; NumVgprs: 240
; NumAgprs: 0
; TotalNumVgprs: 240
; ScratchSize: 0
; MemoryBound: 1
; FloatMode: 240
; IeeeMode: 1
; LDSByteSize: 19200 bytes/workgroup (compile time only)
; SGPRBlocks: 5
; VGPRBlocks: 29
; NumSGPRsForWavesPerEU: 46
; NumVGPRsForWavesPerEU: 240
; AccumOffset: 240
; Occupancy: 2
; WaveLimiterHint : 1
; COMPUTE_PGM_RSRC2:SCRATCH_EN: 0
; COMPUTE_PGM_RSRC2:USER_SGPR: 2
; COMPUTE_PGM_RSRC2:TRAP_HANDLER: 0
; COMPUTE_PGM_RSRC2:TGID_X_EN: 1
; COMPUTE_PGM_RSRC2:TGID_Y_EN: 0
; COMPUTE_PGM_RSRC2:TGID_Z_EN: 1
; COMPUTE_PGM_RSRC2:TIDIG_COMP_CNT: 1
; COMPUTE_PGM_RSRC3_GFX90A:ACCUM_OFFSET: 59
; COMPUTE_PGM_RSRC3_GFX90A:TG_SPLIT: 0
	.section	.text._ZL26rocblas_hemvn_kernel_lowerILb0ELi64ELi4ELi33ELi32ELi16ElPK19rocblas_complex_numIdES3_PS1_EviT6_lT7_lT5_lS6_lS7_lS5_lT8_i,"axG",@progbits,_ZL26rocblas_hemvn_kernel_lowerILb0ELi64ELi4ELi33ELi32ELi16ElPK19rocblas_complex_numIdES3_PS1_EviT6_lT7_lT5_lS6_lS7_lS5_lT8_i,comdat
	.globl	_ZL26rocblas_hemvn_kernel_lowerILb0ELi64ELi4ELi33ELi32ELi16ElPK19rocblas_complex_numIdES3_PS1_EviT6_lT7_lT5_lS6_lS7_lS5_lT8_i ; -- Begin function _ZL26rocblas_hemvn_kernel_lowerILb0ELi64ELi4ELi33ELi32ELi16ElPK19rocblas_complex_numIdES3_PS1_EviT6_lT7_lT5_lS6_lS7_lS5_lT8_i
	.p2align	8
	.type	_ZL26rocblas_hemvn_kernel_lowerILb0ELi64ELi4ELi33ELi32ELi16ElPK19rocblas_complex_numIdES3_PS1_EviT6_lT7_lT5_lS6_lS7_lS5_lT8_i,@function
_ZL26rocblas_hemvn_kernel_lowerILb0ELi64ELi4ELi33ELi32ELi16ElPK19rocblas_complex_numIdES3_PS1_EviT6_lT7_lT5_lS6_lS7_lS5_lT8_i: ; @_ZL26rocblas_hemvn_kernel_lowerILb0ELi64ELi4ELi33ELi32ELi16ElPK19rocblas_complex_numIdES3_PS1_EviT6_lT7_lT5_lS6_lS7_lS5_lT8_i
; %bb.0:
	s_load_dwordx2 s[6:7], s[0:1], 0x84
	s_add_u32 s4, s0, 0x78
	s_addc_u32 s5, s1, 0
	s_waitcnt lgkmcnt(0)
	s_lshr_b32 s8, s6, 16
	s_and_b32 s6, s6, 0xffff
	s_and_b32 s7, s7, 0xffff
	s_mul_i32 s6, s8, s6
	s_mul_i32 s6, s6, s7
	s_cmpk_lg_i32 s6, 0x100
	s_cbranch_scc1 .LBB126_103
; %bb.1:
	s_load_dwordx16 s[16:31], s[0:1], 0x8
	s_waitcnt lgkmcnt(0)
	s_mul_i32 s7, s3, s19
	s_mul_hi_u32 s8, s3, s18
	s_mul_i32 s6, s3, s18
	s_add_i32 s7, s8, s7
	s_lshl_b64 s[6:7], s[6:7], 4
	s_add_u32 s6, s16, s6
	s_addc_u32 s7, s17, s7
	s_load_dwordx4 s[8:11], s[6:7], 0x0
	s_load_dwordx2 s[34:35], s[0:1], 0x68
	s_load_dwordx8 s[36:43], s[0:1], 0x48
	s_waitcnt lgkmcnt(0)
	v_cmp_neq_f64_e64 s[6:7], s[8:9], 0
	v_cmp_neq_f64_e64 s[8:9], s[10:11], 0
	s_or_b64 s[6:7], s[6:7], s[8:9]
	s_mov_b64 s[8:9], -1
	s_and_b64 vcc, exec, s[6:7]
	s_cbranch_vccnz .LBB126_3
; %bb.2:
	s_mul_i32 s8, s3, s43
	s_mul_hi_u32 s9, s3, s42
	s_add_i32 s9, s9, s8
	s_mul_i32 s8, s3, s42
	s_lshl_b64 s[8:9], s[8:9], 4
	s_add_u32 s8, s40, s8
	s_addc_u32 s9, s41, s9
	s_load_dwordx4 s[8:11], s[8:9], 0x0
	s_waitcnt lgkmcnt(0)
	v_cmp_neq_f64_e64 s[8:9], s[8:9], 1.0
	v_cmp_neq_f64_e64 s[10:11], s[10:11], 0
	s_or_b64 s[8:9], s[8:9], s[10:11]
.LBB126_3:
	s_andn2_b64 vcc, exec, s[8:9]
	s_cbranch_vccnz .LBB126_103
; %bb.4:
	s_andn2_b64 vcc, exec, s[6:7]
	s_cbranch_vccnz .LBB126_103
; %bb.5:
	s_load_dword s40, s[4:5], 0x0
	s_load_dword s33, s[0:1], 0x0
	s_mul_i32 s0, s3, s39
	s_mul_hi_u32 s1, s3, s38
	s_add_i32 s1, s1, s0
	s_mul_i32 s0, s3, s38
	s_lshl_b64 s[0:1], s[0:1], 4
	s_add_u32 s4, s28, s0
	s_addc_u32 s5, s29, s1
	s_lshl_b64 s[0:1], s[30:31], 4
	s_add_u32 s0, s4, s0
	s_addc_u32 s1, s5, s1
	s_waitcnt lgkmcnt(0)
	s_ashr_i32 s38, s33, 31
	s_lshr_b32 s5, s38, 26
	s_add_i32 s5, s33, s5
	v_and_b32_e32 v42, 0x3ff, v0
	s_lshl_b32 s30, s2, 6
	s_andn2_b32 s5, s5, 63
	s_add_i32 s4, s40, -1
	s_sub_i32 s5, s33, s5
	v_add_u32_e32 v132, s30, v42
	s_cmp_eq_u32 s2, s4
	v_ashrrev_i32_e32 v133, 31, v132
	v_bfe_u32 v142, v0, 10, 10
	s_cselect_b32 s28, s5, 0
	v_mul_lo_u32 v2, v133, s36
	v_mul_lo_u32 v3, v132, s37
	v_mad_u64_u32 v[0:1], s[4:5], v132, s36, 0
	v_add3_u32 v1, v1, v3, v2
	v_lshl_add_u64 v[36:37], v[0:1], 4, s[0:1]
	v_cmp_ne_u32_e64 s[0:1], 0, v142
	v_cmp_eq_u32_e64 s[16:17], 0, v142
	s_and_saveexec_b64 s[4:5], s[16:17]
	s_cbranch_execz .LBB126_10
; %bb.6:
	s_cmp_lg_u32 s28, 0
	s_cselect_b64 s[6:7], -1, 0
	v_cmp_le_i32_e32 vcc, s28, v42
	v_mov_b32_e32 v0, 0x4700
	s_and_b64 s[6:7], s[6:7], vcc
	v_lshl_add_u32 v0, v42, 4, v0
	s_and_saveexec_b64 s[8:9], s[6:7]
	s_xor_b64 s[6:7], exec, s[8:9]
	s_cbranch_execz .LBB126_8
; %bb.7:
	v_mov_b32_e32 v2, 0
	v_mov_b32_e32 v3, v2
	;; [unrolled: 1-line block ×4, first 2 shown]
	ds_write_b128 v0, v[2:5]
                                        ; implicit-def: $vgpr0
.LBB126_8:
	s_andn2_saveexec_b64 s[6:7], s[6:7]
	s_cbranch_execz .LBB126_10
; %bb.9:
	global_load_dwordx4 v[2:5], v[36:37], off
	s_waitcnt vmcnt(0)
	ds_write2_b64 v0, v[2:3], v[4:5] offset1:1
.LBB126_10:
	s_or_b64 exec, exec, s[4:5]
	s_mul_i32 s4, s3, s27
	s_mul_hi_u32 s5, s3, s26
	s_add_i32 s5, s5, s4
	s_mul_i32 s4, s3, s26
	s_lshl_b64 s[4:5], s[4:5], 4
	s_add_u32 s6, s20, s4
	s_addc_u32 s7, s21, s5
	s_lshl_b64 s[4:5], s[22:23], 4
	s_add_u32 s6, s6, s4
	s_addc_u32 s7, s7, s5
	s_ashr_i32 s31, s30, 31
	v_lshl_add_u32 v43, v142, 6, v42
	s_lshl_b64 s[4:5], s[30:31], 4
	v_and_b32_e32 v4, 31, v42
	v_lshrrev_b32_e32 v12, 5, v43
	s_add_u32 s6, s6, s4
	v_mov_b32_e32 v5, 0
	s_addc_u32 s7, s7, s5
	v_mad_u64_u32 v[38:39], s[4:5], v12, s24, v[4:5]
	v_mov_b32_e32 v0, v39
	v_mad_u64_u32 v[0:1], s[4:5], v12, s25, v[0:1]
	s_mul_i32 s4, s30, s25
	s_mul_hi_u32 s5, s30, s24
	s_add_i32 s4, s5, s4
	s_mul_i32 s5, s31, s24
	s_add_i32 s5, s4, s5
	s_mul_i32 s4, s30, s24
	s_lshl_b64 s[20:21], s[4:5], 4
	s_add_u32 s4, s20, s6
	s_addc_u32 s5, s21, s7
	s_cmp_lg_u32 s28, 0
	v_mov_b32_e32 v39, v0
	s_cselect_b64 s[22:23], -1, 0
	s_cmp_eq_u32 s28, 0
	v_lshl_add_u64 v[6:7], v[38:39], 4, s[4:5]
	s_cselect_b64 s[18:19], -1, 0
	s_and_b64 vcc, exec, s[22:23]
	s_cbranch_vccnz .LBB126_12
; %bb.11:
	s_lshl_b64 s[4:5], s[24:25], 7
	v_lshl_add_u64 v[8:9], v[6:7], 0, s[4:5]
	v_mov_b32_e32 v5, 0x180
	global_load_dwordx4 v[0:3], v[8:9], off
	global_load_dwordx4 v[14:17], v[6:7], off
	v_lshl_add_u64 v[8:9], v[8:9], 0, s[4:5]
	v_mad_u64_u32 v[18:19], s[4:5], s24, v5, v[6:7]
	s_mul_i32 s4, s25, 0x180
	global_load_dwordx4 v[8:11], v[8:9], off
	v_add_u32_e32 v19, s4, v19
	global_load_dwordx4 v[18:21], v[18:19], off
	v_mul_u32_u24_e32 v5, 33, v12
	v_add_lshl_u32 v5, v5, v4, 4
	v_add_u32_e32 v13, 0x1080, v5
	v_add_u32_e32 v22, 0x2100, v5
	v_add_u32_e32 v23, 0x3180, v5
	s_waitcnt vmcnt(2)
	ds_write2_b64 v5, v[14:15], v[16:17] offset1:1
	ds_write2_b64 v13, v[0:1], v[2:3] offset1:1
	s_waitcnt vmcnt(1)
	ds_write2_b64 v22, v[8:9], v[10:11] offset1:1
	s_waitcnt vmcnt(0)
	ds_write2_b64 v23, v[18:19], v[20:21] offset1:1
	s_cbranch_execz .LBB126_13
	s_branch .LBB126_30
.LBB126_12:
.LBB126_13:
	v_lshlrev_b32_e32 v0, 4, v4
	v_sub_co_u32_e32 v2, vcc, v6, v0
	s_ashr_i32 s29, s28, 31
	s_nop 0
	v_subbrev_co_u32_e32 v3, vcc, 0, v7, vcc
	v_lshl_add_u64 v[2:3], s[28:29], 4, v[2:3]
	v_lshl_add_u64 v[2:3], v[2:3], 0, -16
	v_cmp_gt_i32_e32 vcc, s28, v4
	v_mul_u32_u24_e32 v1, 33, v12
	v_cmp_le_i32_e64 s[4:5], s28, v12
	v_cndmask_b32_e32 v3, v3, v7, vcc
	v_cndmask_b32_e32 v2, v2, v6, vcc
	v_add_lshl_u32 v1, v1, v4, 4
	s_and_saveexec_b64 s[6:7], s[4:5]
	s_xor_b64 s[4:5], exec, s[6:7]
	s_cbranch_execz .LBB126_15
; %bb.14:
	v_mov_b32_e32 v8, 0
	v_mov_b32_e32 v9, v8
	;; [unrolled: 1-line block ×4, first 2 shown]
	ds_write_b128 v1, v[8:11]
.LBB126_15:
	s_andn2_saveexec_b64 s[4:5], s[4:5]
	s_cbranch_execz .LBB126_17
; %bb.16:
	global_load_dwordx4 v[8:11], v[2:3], off
	s_waitcnt vmcnt(0)
	ds_write2_b64 v1, v[8:9], v[10:11] offset1:1
.LBB126_17:
	s_or_b64 exec, exec, s[4:5]
	v_add_u32_e32 v5, 8, v12
	v_cmp_le_i32_e64 s[4:5], s28, v5
	s_and_saveexec_b64 s[6:7], s[4:5]
	s_xor_b64 s[4:5], exec, s[6:7]
	s_cbranch_execz .LBB126_19
; %bb.18:
	v_mul_u32_u24_e32 v5, 33, v5
	v_mov_b32_e32 v8, 0
	v_add_lshl_u32 v5, v5, v4, 4
	v_mov_b32_e32 v9, v8
	v_mov_b32_e32 v10, v8
	;; [unrolled: 1-line block ×3, first 2 shown]
	ds_write_b128 v5, v[8:11]
.LBB126_19:
	s_andn2_saveexec_b64 s[4:5], s[4:5]
	s_cbranch_execz .LBB126_21
; %bb.20:
	s_lshl_b64 s[6:7], s[24:25], 7
	v_lshl_add_u64 v[8:9], v[2:3], 0, s[6:7]
	global_load_dwordx4 v[8:11], v[8:9], off
	v_add_u32_e32 v5, 0x1080, v1
	s_waitcnt vmcnt(0)
	ds_write2_b64 v5, v[8:9], v[10:11] offset1:1
.LBB126_21:
	s_or_b64 exec, exec, s[4:5]
	v_add_u32_e32 v5, 16, v12
	v_cmp_le_i32_e64 s[4:5], s28, v5
	s_and_saveexec_b64 s[6:7], s[4:5]
	s_xor_b64 s[4:5], exec, s[6:7]
	s_cbranch_execz .LBB126_23
; %bb.22:
	v_mov_b32_e32 v8, 0
	v_mov_b32_e32 v9, v8
	;; [unrolled: 1-line block ×4, first 2 shown]
	ds_write_b128 v1, v[8:11] offset:8448
.LBB126_23:
	s_andn2_saveexec_b64 s[4:5], s[4:5]
	s_cbranch_execz .LBB126_25
; %bb.24:
	s_lshl_b64 s[6:7], s[24:25], 8
	v_lshl_add_u64 v[8:9], v[2:3], 0, s[6:7]
	global_load_dwordx4 v[8:11], v[8:9], off
	v_add_u32_e32 v5, 0x2100, v1
	s_waitcnt vmcnt(0)
	ds_write2_b64 v5, v[8:9], v[10:11] offset1:1
.LBB126_25:
	s_or_b64 exec, exec, s[4:5]
	v_add_u32_e32 v5, 24, v12
	v_cmp_le_i32_e64 s[4:5], s28, v5
	s_and_saveexec_b64 s[6:7], s[4:5]
	s_xor_b64 s[4:5], exec, s[6:7]
	s_cbranch_execz .LBB126_27
; %bb.26:
	v_mov_b32_e32 v8, 0
	v_mov_b32_e32 v9, v8
	;; [unrolled: 1-line block ×4, first 2 shown]
	ds_write_b128 v1, v[8:11] offset:12672
                                        ; implicit-def: $vgpr1
.LBB126_27:
	s_andn2_saveexec_b64 s[4:5], s[4:5]
	s_cbranch_execz .LBB126_29
; %bb.28:
	v_mov_b32_e32 v5, 0x180
	v_mad_u64_u32 v[8:9], s[6:7], s24, v5, v[2:3]
	s_mul_i32 s6, s25, 0x180
	s_nop 0
	v_add_u32_e32 v9, s6, v9
	global_load_dwordx4 v[8:11], v[8:9], off
	v_add_u32_e32 v1, 0x3180, v1
	s_waitcnt vmcnt(0)
	ds_write2_b64 v1, v[8:9], v[10:11] offset1:1
.LBB126_29:
	s_or_b64 exec, exec, s[4:5]
	v_mov_b32_e32 v1, 0
	v_lshl_add_u64 v[0:1], v[2:3], 0, v[0:1]
	s_lshl_b64 s[4:5], s[28:29], 4
	v_mov_b32_e32 v2, s5
	v_subrev_co_u32_e64 v0, s[4:5], s4, v0
	s_nop 1
	v_subb_co_u32_e64 v1, s[4:5], v1, v2, s[4:5]
	v_lshl_add_u64 v[0:1], v[0:1], 0, 16
	v_cndmask_b32_e32 v7, v1, v7, vcc
	v_cndmask_b32_e32 v6, v0, v6, vcc
.LBB126_30:
	v_lshlrev_b32_e32 v0, 2, v12
	v_mul_u32_u24_e32 v44, 33, v4
	v_cmp_lt_u32_e64 s[6:7], v0, v4
	v_add_lshl_u32 v5, v0, v44, 4
	s_waitcnt lgkmcnt(0)
	s_barrier
	s_and_saveexec_b64 s[4:5], s[6:7]
	s_cbranch_execz .LBB126_32
; %bb.31:
	v_mul_u32_u24_e32 v1, 0x84, v12
	v_add_lshl_u32 v1, v1, v4, 4
	ds_read_b128 v[8:11], v1
	s_waitcnt lgkmcnt(0)
	ds_write_b128 v5, v[8:11]
.LBB126_32:
	s_or_b64 exec, exec, s[4:5]
	v_or_b32_e32 v1, 1, v0
	v_cmp_lt_u32_e64 s[8:9], v1, v4
	s_and_saveexec_b64 s[4:5], s[8:9]
	s_cbranch_execz .LBB126_34
; %bb.33:
	v_mul_u32_u24_e32 v1, 33, v1
	v_add_lshl_u32 v1, v1, v4, 4
	ds_read_b128 v[8:11], v1
	s_waitcnt lgkmcnt(0)
	ds_write_b128 v5, v[8:11] offset:16
.LBB126_34:
	s_or_b64 exec, exec, s[4:5]
	v_or_b32_e32 v1, 2, v0
	v_cmp_lt_u32_e64 s[10:11], v1, v4
	s_and_saveexec_b64 s[4:5], s[10:11]
	s_cbranch_execz .LBB126_36
; %bb.35:
	v_mul_u32_u24_e32 v1, 33, v1
	v_add_lshl_u32 v1, v1, v4, 4
	ds_read_b128 v[8:11], v1
	s_waitcnt lgkmcnt(0)
	ds_write_b128 v5, v[8:11] offset:32
.LBB126_36:
	s_or_b64 exec, exec, s[4:5]
	v_or_b32_e32 v1, 3, v0
	v_cmp_lt_u32_e64 s[12:13], v1, v4
	v_mad_u32_u24 v1, v1, 33, v4
	v_lshlrev_b32_e32 v13, 4, v1
	s_and_saveexec_b64 s[4:5], s[12:13]
	s_cbranch_execz .LBB126_38
; %bb.37:
	ds_read_b128 v[8:11], v13
	s_waitcnt lgkmcnt(0)
	ds_write_b128 v5, v[8:11] offset:48
.LBB126_38:
	s_or_b64 exec, exec, s[4:5]
	v_mul_u32_u24_e32 v1, 0x84, v12
	v_lshlrev_b32_e32 v16, 4, v0
	s_waitcnt lgkmcnt(0)
	s_barrier
	v_add_lshl_u32 v15, v1, v4, 4
	ds_read_b128 v[0:3], v16 offset:18176
	ds_read_b128 v[8:11], v15
	ds_read_b128 v[18:21], v16 offset:18192
	ds_read_b128 v[22:25], v16 offset:18208
	v_add_u32_e32 v14, 0xfffffbe0, v13
	ds_read_b128 v[26:29], v14
	ds_read_b128 v[30:33], v14 offset:528
	s_waitcnt lgkmcnt(4)
	v_mul_f64 v[34:35], v[2:3], v[10:11]
	v_fma_f64 v[34:35], v[0:1], v[8:9], -v[34:35]
	v_mul_f64 v[0:1], v[0:1], v[10:11]
	v_fmac_f64_e32 v[0:1], v[2:3], v[8:9]
	s_waitcnt lgkmcnt(1)
	v_mul_f64 v[10:11], v[18:19], v[28:29]
	v_add_f64 v[0:1], v[0:1], 0
	v_mul_f64 v[8:9], v[20:21], v[28:29]
	v_fmac_f64_e32 v[10:11], v[20:21], v[26:27]
	v_add_f64 v[2:3], v[34:35], 0
	v_fma_f64 v[8:9], v[18:19], v[26:27], -v[8:9]
	v_add_f64 v[20:21], v[0:1], v[10:11]
	s_waitcnt lgkmcnt(0)
	v_mul_f64 v[0:1], v[24:25], v[32:33]
	v_add_f64 v[18:19], v[2:3], v[8:9]
	v_fma_f64 v[26:27], v[22:23], v[30:31], -v[0:1]
	ds_read_b128 v[0:3], v16 offset:18224
	ds_read_b128 v[8:11], v13
	v_mul_f64 v[22:23], v[22:23], v[32:33]
	v_fmac_f64_e32 v[22:23], v[24:25], v[30:31]
	v_add_f64 v[20:21], v[20:21], v[22:23]
	v_add_f64 v[18:19], v[18:19], v[26:27]
	s_waitcnt lgkmcnt(0)
	v_mul_f64 v[22:23], v[2:3], v[10:11]
	v_mul_f64 v[10:11], v[0:1], v[10:11]
	v_fma_f64 v[22:23], v[0:1], v[8:9], -v[22:23]
	v_fmac_f64_e32 v[10:11], v[2:3], v[8:9]
	v_add_f64 v[0:1], v[18:19], v[22:23]
	v_add_f64 v[2:3], v[20:21], v[10:11]
	v_add_lshl_u32 v45, v12, v44, 4
	s_barrier
	ds_write_b128 v45, v[0:3]
	v_mov_b64_e32 v[0:1], 0
	v_cmp_gt_u32_e64 s[4:5], 32, v43
	v_mov_b64_e32 v[2:3], v[0:1]
	s_waitcnt lgkmcnt(0)
	s_barrier
	s_and_saveexec_b64 s[14:15], s[4:5]
	s_cbranch_execz .LBB126_40
; %bb.39:
	v_lshlrev_b32_e32 v17, 4, v44
	ds_read_b128 v[0:3], v17
	ds_read_b128 v[8:11], v17 offset:16
	ds_read_b128 v[18:21], v17 offset:32
	;; [unrolled: 1-line block ×3, first 2 shown]
	s_waitcnt lgkmcnt(2)
	v_add_f64 v[0:1], v[8:9], v[0:1]
	v_add_f64 v[8:9], v[10:11], v[2:3]
	s_waitcnt lgkmcnt(1)
	v_add_f64 v[10:11], v[0:1], v[18:19]
	ds_read_b128 v[0:3], v17 offset:64
	v_add_f64 v[8:9], v[8:9], v[20:21]
	s_waitcnt lgkmcnt(1)
	v_add_f64 v[18:19], v[10:11], v[22:23]
	v_add_f64 v[22:23], v[8:9], v[24:25]
	ds_read_b128 v[8:11], v17 offset:80
	s_waitcnt lgkmcnt(1)
	v_add_f64 v[24:25], v[18:19], v[0:1]
	ds_read_b128 v[18:21], v17 offset:96
	v_add_f64 v[22:23], v[22:23], v[2:3]
	ds_read_b128 v[0:3], v17 offset:112
	s_waitcnt lgkmcnt(2)
	v_add_f64 v[8:9], v[24:25], v[8:9]
	v_add_f64 v[10:11], v[22:23], v[10:11]
	s_waitcnt lgkmcnt(1)
	v_add_f64 v[8:9], v[8:9], v[18:19]
	v_add_f64 v[10:11], v[10:11], v[20:21]
	s_waitcnt lgkmcnt(0)
	v_add_f64 v[0:1], v[8:9], v[0:1]
	v_add_f64 v[2:3], v[10:11], v[2:3]
.LBB126_40:
	s_or_b64 exec, exec, s[14:15]
	s_lshl_b64 s[14:15], s[24:25], 9
	v_lshl_add_u64 v[8:9], v[6:7], 0, s[14:15]
	s_mov_b64 s[26:27], 0x200
	v_cndmask_b32_e64 v6, 0, 1, s[18:19]
	v_cmp_ne_u32_e64 s[14:15], 1, v6
	s_andn2_b64 vcc, exec, s[18:19]
	v_lshl_add_u64 v[6:7], v[8:9], 0, s[26:27]
	s_barrier
	s_cbranch_vccnz .LBB126_42
; %bb.41:
	s_lshl_b64 s[18:19], s[24:25], 7
	v_lshl_add_u64 v[10:11], v[8:9], 0, s[18:19]
	v_lshl_add_u64 v[26:27], v[10:11], 0, s[18:19]
	global_load_dwordx4 v[18:21], v[10:11], off offset:512
	global_load_dwordx4 v[22:25], v[26:27], off offset:512
	v_mov_b32_e32 v10, 0x180
	v_mad_u64_u32 v[26:27], s[18:19], s24, v10, v[8:9]
	global_load_dwordx4 v[8:11], v[6:7], off
	s_mul_i32 s18, s25, 0x180
	v_add_u32_e32 v27, s18, v27
	global_load_dwordx4 v[26:29], v[26:27], off offset:512
	v_mul_u32_u24_e32 v17, 33, v12
	v_add_lshl_u32 v17, v17, v4, 4
	v_add_u32_e32 v30, 0x1080, v17
	v_add_u32_e32 v31, 0x2100, v17
	;; [unrolled: 1-line block ×3, first 2 shown]
	s_waitcnt vmcnt(1)
	ds_write2_b64 v17, v[8:9], v[10:11] offset1:1
	ds_write2_b64 v30, v[18:19], v[20:21] offset1:1
	;; [unrolled: 1-line block ×3, first 2 shown]
	s_waitcnt vmcnt(0)
	ds_write2_b64 v32, v[26:27], v[28:29] offset1:1
	s_cbranch_execz .LBB126_43
	s_branch .LBB126_60
.LBB126_42:
.LBB126_43:
	v_lshlrev_b32_e32 v8, 4, v4
	v_sub_co_u32_e32 v10, vcc, v6, v8
	s_ashr_i32 s29, s28, 31
	s_nop 0
	v_subbrev_co_u32_e32 v11, vcc, 0, v7, vcc
	s_movk_i32 s18, 0xfdf0
	v_or_b32_e32 v9, 32, v4
	v_lshl_add_u64 v[10:11], s[28:29], 4, v[10:11]
	s_mov_b32 s19, -1
	v_lshl_add_u64 v[10:11], v[10:11], 0, s[18:19]
	v_cmp_gt_i32_e32 vcc, s28, v9
	s_sub_i32 s26, s28, 32
	v_mul_u32_u24_e32 v9, 33, v12
	v_cndmask_b32_e32 v11, v11, v7, vcc
	v_cndmask_b32_e32 v10, v10, v6, vcc
	v_cmp_le_i32_e64 s[18:19], s26, v12
	v_add_lshl_u32 v9, v9, v4, 4
	s_and_saveexec_b64 s[42:43], s[18:19]
	s_xor_b64 s[18:19], exec, s[42:43]
	s_cbranch_execz .LBB126_45
; %bb.44:
	v_mov_b32_e32 v18, 0
	v_mov_b32_e32 v19, v18
	;; [unrolled: 1-line block ×4, first 2 shown]
	ds_write_b128 v9, v[18:21]
.LBB126_45:
	s_andn2_saveexec_b64 s[18:19], s[18:19]
	s_cbranch_execz .LBB126_47
; %bb.46:
	global_load_dwordx4 v[18:21], v[10:11], off
	s_waitcnt vmcnt(0)
	ds_write2_b64 v9, v[18:19], v[20:21] offset1:1
.LBB126_47:
	s_or_b64 exec, exec, s[18:19]
	v_add_u32_e32 v17, 8, v12
	v_cmp_le_i32_e64 s[18:19], s26, v17
	s_and_saveexec_b64 s[42:43], s[18:19]
	s_xor_b64 s[18:19], exec, s[42:43]
	s_cbranch_execz .LBB126_49
; %bb.48:
	v_mul_u32_u24_e32 v17, 33, v17
	v_mov_b32_e32 v18, 0
	v_add_lshl_u32 v17, v17, v4, 4
	v_mov_b32_e32 v19, v18
	v_mov_b32_e32 v20, v18
	;; [unrolled: 1-line block ×3, first 2 shown]
	ds_write_b128 v17, v[18:21]
.LBB126_49:
	s_andn2_saveexec_b64 s[18:19], s[18:19]
	s_cbranch_execz .LBB126_51
; %bb.50:
	s_lshl_b64 s[42:43], s[24:25], 7
	v_lshl_add_u64 v[18:19], v[10:11], 0, s[42:43]
	global_load_dwordx4 v[18:21], v[18:19], off
	v_add_u32_e32 v17, 0x1080, v9
	s_waitcnt vmcnt(0)
	ds_write2_b64 v17, v[18:19], v[20:21] offset1:1
.LBB126_51:
	s_or_b64 exec, exec, s[18:19]
	v_add_u32_e32 v17, 16, v12
	v_cmp_le_i32_e64 s[18:19], s26, v17
	s_and_saveexec_b64 s[42:43], s[18:19]
	s_xor_b64 s[18:19], exec, s[42:43]
	s_cbranch_execz .LBB126_53
; %bb.52:
	v_mov_b32_e32 v18, 0
	v_mov_b32_e32 v19, v18
	;; [unrolled: 1-line block ×4, first 2 shown]
	ds_write_b128 v9, v[18:21] offset:8448
.LBB126_53:
	s_andn2_saveexec_b64 s[18:19], s[18:19]
	s_cbranch_execz .LBB126_55
; %bb.54:
	s_lshl_b64 s[42:43], s[24:25], 8
	v_lshl_add_u64 v[18:19], v[10:11], 0, s[42:43]
	global_load_dwordx4 v[18:21], v[18:19], off
	v_add_u32_e32 v17, 0x2100, v9
	s_waitcnt vmcnt(0)
	ds_write2_b64 v17, v[18:19], v[20:21] offset1:1
.LBB126_55:
	s_or_b64 exec, exec, s[18:19]
	v_add_u32_e32 v17, 24, v12
	v_cmp_le_i32_e64 s[18:19], s26, v17
	s_and_saveexec_b64 s[26:27], s[18:19]
	s_xor_b64 s[18:19], exec, s[26:27]
	s_cbranch_execz .LBB126_57
; %bb.56:
	v_mov_b32_e32 v18, 0
	v_mov_b32_e32 v19, v18
	;; [unrolled: 1-line block ×4, first 2 shown]
	ds_write_b128 v9, v[18:21] offset:12672
                                        ; implicit-def: $vgpr9
.LBB126_57:
	s_andn2_saveexec_b64 s[18:19], s[18:19]
	s_cbranch_execz .LBB126_59
; %bb.58:
	v_mov_b32_e32 v17, 0x180
	v_mad_u64_u32 v[18:19], s[26:27], s24, v17, v[10:11]
	s_mul_i32 s26, s25, 0x180
	s_nop 0
	v_add_u32_e32 v19, s26, v19
	global_load_dwordx4 v[18:21], v[18:19], off
	v_add_u32_e32 v9, 0x3180, v9
	s_waitcnt vmcnt(0)
	ds_write2_b64 v9, v[18:19], v[20:21] offset1:1
.LBB126_59:
	s_or_b64 exec, exec, s[18:19]
	v_mov_b32_e32 v9, 0
	v_lshl_add_u64 v[8:9], v[10:11], 0, v[8:9]
	s_lshl_b64 s[18:19], s[28:29], 4
	v_mov_b32_e32 v10, s19
	v_subrev_co_u32_e64 v8, s[18:19], s18, v8
	s_nop 1
	v_subb_co_u32_e64 v9, s[18:19], v9, v10, s[18:19]
	s_mov_b64 s[18:19], 0x210
	s_nop 0
	v_lshl_add_u64 v[8:9], v[8:9], 0, s[18:19]
	v_cndmask_b32_e32 v7, v9, v7, vcc
	v_cndmask_b32_e32 v6, v8, v6, vcc
.LBB126_60:
	v_add_u32_e32 v10, 0x4700, v16
	v_add_u32_e32 v8, 0x210, v14
	s_lshl_b64 s[18:19], s[24:25], 5
	s_waitcnt lgkmcnt(0)
	s_barrier
	s_and_saveexec_b64 s[26:27], s[6:7]
	s_cbranch_execnz .LBB126_69
; %bb.61:
	s_or_b64 exec, exec, s[26:27]
	s_and_saveexec_b64 s[6:7], s[8:9]
	s_cbranch_execnz .LBB126_70
.LBB126_62:
	s_or_b64 exec, exec, s[6:7]
	s_and_saveexec_b64 s[6:7], s[10:11]
	s_cbranch_execnz .LBB126_71
.LBB126_63:
	s_or_b64 exec, exec, s[6:7]
	s_and_saveexec_b64 s[6:7], s[12:13]
	s_cbranch_execz .LBB126_65
.LBB126_64:
	ds_read_b128 v[16:19], v13
	s_waitcnt lgkmcnt(0)
	ds_write_b128 v5, v[16:19] offset:48
.LBB126_65:
	s_or_b64 exec, exec, s[6:7]
	s_waitcnt lgkmcnt(0)
	s_barrier
	ds_read_b128 v[16:19], v10 offset:512
	ds_read_b128 v[20:23], v15
	ds_read_b128 v[24:27], v10 offset:528
	ds_read_b128 v[28:31], v10 offset:544
	ds_read_b128 v[32:35], v10 offset:560
	ds_read_b128 v[46:49], v14
	v_cmp_eq_u32_e64 s[6:7], 1, v12
	s_waitcnt lgkmcnt(4)
	v_mul_f64 v[8:9], v[18:19], v[22:23]
	v_fma_f64 v[8:9], v[16:17], v[20:21], -v[8:9]
	v_mul_f64 v[16:17], v[16:17], v[22:23]
	v_fmac_f64_e32 v[16:17], v[18:19], v[20:21]
	v_add_f64 v[18:19], v[16:17], 0
	s_waitcnt lgkmcnt(0)
	v_mul_f64 v[16:17], v[26:27], v[48:49]
	v_mul_f64 v[22:23], v[24:25], v[48:49]
	v_add_f64 v[8:9], v[8:9], 0
	v_fma_f64 v[20:21], v[24:25], v[46:47], -v[16:17]
	ds_read_b128 v[14:17], v14 offset:528
	v_fmac_f64_e32 v[22:23], v[26:27], v[46:47]
	v_add_f64 v[8:9], v[8:9], v[20:21]
	v_add_f64 v[22:23], v[18:19], v[22:23]
	ds_read_b128 v[18:21], v13
	s_waitcnt lgkmcnt(1)
	v_mul_f64 v[24:25], v[30:31], v[16:17]
	v_mul_f64 v[16:17], v[28:29], v[16:17]
	v_fma_f64 v[24:25], v[28:29], v[14:15], -v[24:25]
	v_fmac_f64_e32 v[16:17], v[30:31], v[14:15]
	s_waitcnt lgkmcnt(0)
	v_mul_f64 v[14:15], v[34:35], v[20:21]
	v_mul_f64 v[20:21], v[32:33], v[20:21]
	v_add_f64 v[8:9], v[8:9], v[24:25]
	v_add_f64 v[16:17], v[22:23], v[16:17]
	v_fma_f64 v[14:15], v[32:33], v[18:19], -v[14:15]
	v_fmac_f64_e32 v[20:21], v[34:35], v[18:19]
	v_add_f64 v[14:15], v[8:9], v[14:15]
	v_add_f64 v[16:17], v[16:17], v[20:21]
	s_barrier
	ds_write_b128 v45, v[14:17]
	s_waitcnt lgkmcnt(0)
	s_barrier
	s_and_saveexec_b64 s[8:9], s[6:7]
	s_cbranch_execz .LBB126_67
; %bb.66:
	v_lshlrev_b32_e32 v11, 4, v44
	ds_read_b128 v[0:3], v11
	ds_read_b128 v[14:17], v11 offset:16
	ds_read_b128 v[18:21], v11 offset:32
	;; [unrolled: 1-line block ×3, first 2 shown]
	s_waitcnt lgkmcnt(2)
	v_add_f64 v[0:1], v[14:15], v[0:1]
	v_add_f64 v[8:9], v[16:17], v[2:3]
	s_waitcnt lgkmcnt(1)
	v_add_f64 v[14:15], v[0:1], v[18:19]
	ds_read_b128 v[0:3], v11 offset:64
	v_add_f64 v[8:9], v[8:9], v[20:21]
	s_waitcnt lgkmcnt(1)
	v_add_f64 v[18:19], v[14:15], v[22:23]
	ds_read_b128 v[14:17], v11 offset:80
	;; [unrolled: 4-line block ×3, first 2 shown]
	v_add_f64 v[8:9], v[8:9], v[2:3]
	ds_read_b128 v[0:3], v11 offset:112
	s_waitcnt lgkmcnt(2)
	v_add_f64 v[14:15], v[22:23], v[14:15]
	v_add_f64 v[8:9], v[8:9], v[16:17]
	s_waitcnt lgkmcnt(1)
	v_add_f64 v[14:15], v[14:15], v[18:19]
	v_add_f64 v[8:9], v[8:9], v[20:21]
	;; [unrolled: 3-line block ×3, first 2 shown]
.LBB126_67:
	s_or_b64 exec, exec, s[8:9]
	s_lshl_b64 s[8:9], s[18:19], 4
	v_mov_b32_e32 v8, s9
	v_subrev_co_u32_e64 v40, s[8:9], s8, v6
	s_and_b64 vcc, exec, s[14:15]
	s_nop 0
	v_subb_co_u32_e64 v41, s[8:9], v7, v8, s[8:9]
	s_barrier
	s_cbranch_vccnz .LBB126_72
; %bb.68:
	s_lshl_b64 s[8:9], s[24:25], 7
	v_lshl_add_u64 v[6:7], v[40:41], 0, s[8:9]
	v_mov_b32_e32 v8, 0x180
	global_load_dwordx4 v[18:21], v[40:41], off
	global_load_dwordx4 v[22:25], v[6:7], off
	v_lshl_add_u64 v[6:7], v[6:7], 0, s[8:9]
	v_mad_u64_u32 v[8:9], s[8:9], s24, v8, v[40:41]
	s_mul_i32 s8, s25, 0x180
	s_nop 0
	v_add_u32_e32 v9, s8, v9
	global_load_dwordx4 v[26:29], v[6:7], off
	global_load_dwordx4 v[30:33], v[8:9], off
	v_mad_u32_u24 v11, v12, 33, v4
	v_add_u32_e32 v13, 8, v12
	v_add_u32_e32 v14, 16, v12
	v_add_u32_e32 v15, 24, v12
	v_lshlrev_b32_e32 v8, 4, v11
	v_add_u32_e32 v7, 0x108, v11
	v_add_u32_e32 v6, 0x210, v11
	;; [unrolled: 1-line block ×6, first 2 shown]
	s_waitcnt vmcnt(3)
	ds_write2_b64 v8, v[18:19], v[20:21] offset1:1
	s_waitcnt vmcnt(2)
	ds_write2_b64 v9, v[22:23], v[24:25] offset1:1
	;; [unrolled: 2-line block ×4, first 2 shown]
	s_cbranch_execz .LBB126_73
	s_branch .LBB126_90
.LBB126_69:
	ds_read_b128 v[16:19], v15
	s_waitcnt lgkmcnt(0)
	ds_write_b128 v5, v[16:19]
	s_or_b64 exec, exec, s[26:27]
	s_and_saveexec_b64 s[6:7], s[8:9]
	s_cbranch_execz .LBB126_62
.LBB126_70:
	ds_read_b128 v[16:19], v14
	s_waitcnt lgkmcnt(0)
	ds_write_b128 v5, v[16:19] offset:16
	s_or_b64 exec, exec, s[6:7]
	s_and_saveexec_b64 s[6:7], s[10:11]
	s_cbranch_execz .LBB126_63
.LBB126_71:
	ds_read_b128 v[16:19], v8
	s_waitcnt lgkmcnt(0)
	ds_write_b128 v5, v[16:19] offset:32
	s_or_b64 exec, exec, s[6:7]
	s_and_saveexec_b64 s[6:7], s[12:13]
	s_cbranch_execnz .LBB126_64
	s_branch .LBB126_65
.LBB126_72:
                                        ; implicit-def: $vgpr11
                                        ; implicit-def: $vgpr13
                                        ; implicit-def: $vgpr7
                                        ; implicit-def: $vgpr14
                                        ; implicit-def: $vgpr6
                                        ; implicit-def: $vgpr15
                                        ; implicit-def: $vgpr16
.LBB126_73:
	v_lshlrev_b32_e32 v6, 4, v4
	v_sub_co_u32_e32 v8, vcc, v40, v6
	s_ashr_i32 s29, s28, 31
	s_nop 0
	v_subbrev_co_u32_e32 v9, vcc, 0, v41, vcc
	s_movk_i32 s8, 0xfdf0
	v_or_b32_e32 v7, 32, v4
	v_lshl_add_u64 v[8:9], s[28:29], 4, v[8:9]
	s_mov_b32 s9, -1
	v_lshl_add_u64 v[8:9], v[8:9], 0, s[8:9]
	v_cmp_gt_i32_e32 vcc, s28, v7
	v_mad_u32_u24 v11, v12, 33, v4
	v_cmp_le_i32_e64 s[8:9], s28, v12
	v_cndmask_b32_e32 v9, v9, v41, vcc
	v_cndmask_b32_e32 v8, v8, v40, vcc
	v_lshlrev_b32_e32 v7, 4, v11
	s_and_saveexec_b64 s[10:11], s[8:9]
	s_xor_b64 s[8:9], exec, s[10:11]
	s_cbranch_execz .LBB126_75
; %bb.74:
	v_mov_b32_e32 v14, 0
	v_mov_b32_e32 v15, v14
	v_mov_b32_e32 v16, v14
	v_mov_b32_e32 v17, v14
	ds_write_b128 v7, v[14:17]
.LBB126_75:
	s_andn2_saveexec_b64 s[8:9], s[8:9]
	s_cbranch_execz .LBB126_77
; %bb.76:
	global_load_dwordx4 v[14:17], v[8:9], off
	s_waitcnt vmcnt(0)
	ds_write2_b64 v7, v[14:15], v[16:17] offset1:1
.LBB126_77:
	s_or_b64 exec, exec, s[8:9]
	v_add_u32_e32 v13, 8, v12
	v_cmp_le_i32_e64 s[8:9], s28, v13
	s_and_saveexec_b64 s[10:11], s[8:9]
	s_xor_b64 s[8:9], exec, s[10:11]
	s_cbranch_execz .LBB126_79
; %bb.78:
	v_mul_u32_u24_e32 v14, 33, v13
	v_add_lshl_u32 v18, v14, v4, 4
	v_mov_b32_e32 v14, 0
	v_mov_b32_e32 v15, v14
	;; [unrolled: 1-line block ×4, first 2 shown]
	ds_write_b128 v18, v[14:17]
.LBB126_79:
	s_andn2_saveexec_b64 s[8:9], s[8:9]
	s_cbranch_execz .LBB126_81
; %bb.80:
	s_lshl_b64 s[10:11], s[24:25], 7
	v_lshl_add_u64 v[14:15], v[8:9], 0, s[10:11]
	global_load_dwordx4 v[14:17], v[14:15], off
	v_add_u32_e32 v18, 0x1080, v7
	s_waitcnt vmcnt(0)
	ds_write2_b64 v18, v[14:15], v[16:17] offset1:1
.LBB126_81:
	s_or_b64 exec, exec, s[8:9]
	v_add_u32_e32 v14, 16, v12
	v_cmp_le_i32_e64 s[8:9], s28, v14
	s_and_saveexec_b64 s[10:11], s[8:9]
	s_xor_b64 s[8:9], exec, s[10:11]
	s_cbranch_execz .LBB126_83
; %bb.82:
	v_mul_u32_u24_e32 v15, 33, v14
	v_mov_b32_e32 v16, 0
	v_add_lshl_u32 v4, v15, v4, 4
	v_mov_b32_e32 v17, v16
	v_mov_b32_e32 v18, v16
	;; [unrolled: 1-line block ×3, first 2 shown]
	ds_write_b128 v4, v[16:19]
.LBB126_83:
	s_andn2_saveexec_b64 s[8:9], s[8:9]
	s_cbranch_execz .LBB126_85
; %bb.84:
	s_lshl_b64 s[10:11], s[24:25], 8
	v_lshl_add_u64 v[16:17], v[8:9], 0, s[10:11]
	global_load_dwordx4 v[16:19], v[16:17], off
	v_add_u32_e32 v4, 0x2100, v7
	s_waitcnt vmcnt(0)
	ds_write2_b64 v4, v[16:17], v[18:19] offset1:1
.LBB126_85:
	s_or_b64 exec, exec, s[8:9]
	v_add_u32_e32 v15, 24, v12
	v_cmp_le_i32_e64 s[8:9], s28, v15
                                        ; implicit-def: $vgpr16
	s_and_saveexec_b64 s[10:11], s[8:9]
	s_xor_b64 s[8:9], exec, s[10:11]
	s_cbranch_execz .LBB126_87
; %bb.86:
	v_mov_b32_e32 v18, 0
	v_add_u32_e32 v16, 0x318, v11
	v_mov_b32_e32 v19, v18
	v_mov_b32_e32 v20, v18
	;; [unrolled: 1-line block ×3, first 2 shown]
	ds_write_b128 v7, v[18:21] offset:12672
                                        ; implicit-def: $vgpr7
.LBB126_87:
	s_andn2_saveexec_b64 s[8:9], s[8:9]
	s_cbranch_execz .LBB126_89
; %bb.88:
	v_mov_b32_e32 v4, 0x180
	v_mad_u64_u32 v[16:17], s[10:11], s24, v4, v[8:9]
	s_mul_i32 s10, s25, 0x180
	s_nop 0
	v_add_u32_e32 v17, s10, v17
	global_load_dwordx4 v[18:21], v[16:17], off
	v_add_u32_e32 v16, 0x318, v11
	v_add_u32_e32 v4, 0x3180, v7
	s_waitcnt vmcnt(0)
	ds_write2_b64 v4, v[18:19], v[20:21] offset1:1
.LBB126_89:
	s_or_b64 exec, exec, s[8:9]
	v_mov_b32_e32 v7, 0
	v_lshl_add_u64 v[6:7], v[8:9], 0, v[6:7]
	s_lshl_b64 s[8:9], s[28:29], 4
	v_mov_b32_e32 v4, s9
	v_subrev_co_u32_e64 v6, s[8:9], s8, v6
	s_nop 1
	v_subb_co_u32_e64 v7, s[8:9], v7, v4, s[8:9]
	s_mov_b64 s[8:9], 0x210
	s_nop 0
	v_lshl_add_u64 v[6:7], v[6:7], 0, s[8:9]
	v_cndmask_b32_e32 v41, v7, v41, vcc
	v_cndmask_b32_e32 v40, v6, v40, vcc
	v_add_u32_e32 v7, 0x108, v11
	v_add_u32_e32 v6, 0x210, v11
.LBB126_90:
	v_lshlrev_b32_e32 v4, 4, v11
	v_lshlrev_b32_e32 v8, 4, v12
	s_waitcnt lgkmcnt(0)
	s_barrier
	ds_read_b128 v[46:49], v8 offset:18176
	ds_read_b128 v[50:53], v4
	v_lshlrev_b32_e32 v4, 4, v7
	v_lshlrev_b32_e32 v7, 4, v13
	ds_read_b128 v[54:57], v7 offset:18176
	ds_read_b128 v[58:61], v4
	v_lshlrev_b32_e32 v4, 4, v6
	v_lshlrev_b32_e32 v6, 4, v14
	ds_read_b128 v[62:65], v6 offset:18176
	ds_read_b128 v[66:69], v4
	v_lshlrev_b32_e32 v6, 4, v15
	s_waitcnt lgkmcnt(4)
	v_mul_f64 v[8:9], v[48:49], v[52:53]
	v_lshlrev_b32_e32 v4, 4, v16
	ds_read_b128 v[70:73], v6 offset:18176
	ds_read_b128 v[74:77], v4
	v_fma_f64 v[8:9], v[46:47], v[50:51], -v[8:9]
	s_waitcnt lgkmcnt(4)
	v_mul_f64 v[12:13], v[56:57], v[60:61]
	v_add_f64 v[8:9], v[8:9], 0
	v_fma_f64 v[12:13], v[54:55], v[58:59], -v[12:13]
	v_add_f64 v[6:7], v[8:9], v[12:13]
	s_waitcnt lgkmcnt(2)
	v_mul_f64 v[8:9], v[64:65], v[68:69]
	v_fma_f64 v[8:9], v[62:63], v[66:67], -v[8:9]
	v_add_f64 v[6:7], v[6:7], v[8:9]
	s_waitcnt lgkmcnt(0)
	v_mul_f64 v[8:9], v[72:73], v[76:77]
	v_fma_f64 v[8:9], v[70:71], v[74:75], -v[8:9]
	v_add_f64 v[78:79], v[6:7], v[8:9]
	ds_read_b128 v[28:31], v5
	ds_read_b128 v[20:23], v5 offset:16
	ds_read_b128 v[12:15], v5 offset:32
	;; [unrolled: 1-line block ×7, first 2 shown]
	v_mul_f64 v[46:47], v[46:47], v[52:53]
	v_fmac_f64_e32 v[46:47], v[48:49], v[50:51]
	v_mul_f64 v[48:49], v[54:55], v[60:61]
	v_add_f64 v[46:47], v[46:47], 0
	v_fmac_f64_e32 v[48:49], v[56:57], v[58:59]
	v_add_f64 v[46:47], v[46:47], v[48:49]
	v_mul_f64 v[48:49], v[62:63], v[68:69]
	v_fmac_f64_e32 v[48:49], v[64:65], v[66:67]
	v_add_f64 v[46:47], v[46:47], v[48:49]
	v_mul_f64 v[48:49], v[70:71], v[76:77]
	v_fmac_f64_e32 v[48:49], v[72:73], v[74:75]
	v_add_f64 v[80:81], v[46:47], v[48:49]
	s_waitcnt lgkmcnt(0)
	s_barrier
	ds_write_b128 v45, v[78:81]
	s_waitcnt lgkmcnt(0)
	s_barrier
	s_and_saveexec_b64 s[8:9], s[6:7]
	s_cbranch_execz .LBB126_92
; %bb.91:
	v_lshlrev_b32_e32 v62, 4, v44
	ds_read_b128 v[46:49], v62
	ds_read_b128 v[50:53], v62 offset:16
	ds_read_b128 v[54:57], v62 offset:32
	;; [unrolled: 1-line block ×3, first 2 shown]
	s_waitcnt lgkmcnt(3)
	v_add_f64 v[0:1], v[0:1], v[46:47]
	v_add_f64 v[2:3], v[2:3], v[48:49]
	s_waitcnt lgkmcnt(2)
	v_add_f64 v[0:1], v[0:1], v[50:51]
	v_add_f64 v[46:47], v[2:3], v[52:53]
	s_waitcnt lgkmcnt(1)
	v_add_f64 v[48:49], v[0:1], v[54:55]
	ds_read_b128 v[0:3], v62 offset:64
	v_add_f64 v[46:47], v[46:47], v[56:57]
	s_waitcnt lgkmcnt(1)
	v_add_f64 v[50:51], v[48:49], v[58:59]
	v_add_f64 v[54:55], v[46:47], v[60:61]
	ds_read_b128 v[46:49], v62 offset:80
	s_waitcnt lgkmcnt(1)
	v_add_f64 v[56:57], v[50:51], v[0:1]
	ds_read_b128 v[50:53], v62 offset:96
	v_add_f64 v[54:55], v[54:55], v[2:3]
	ds_read_b128 v[0:3], v62 offset:112
	s_waitcnt lgkmcnt(2)
	v_add_f64 v[46:47], v[56:57], v[46:47]
	v_add_f64 v[48:49], v[54:55], v[48:49]
	s_waitcnt lgkmcnt(1)
	v_add_f64 v[46:47], v[46:47], v[50:51]
	v_add_f64 v[48:49], v[48:49], v[52:53]
	;; [unrolled: 3-line block ×3, first 2 shown]
.LBB126_92:
	s_or_b64 exec, exec, s[8:9]
	v_mul_f64 v[46:47], v[30:31], v[34:35]
	v_fma_f64 v[46:47], v[28:29], v[32:33], -v[46:47]
	v_mul_f64 v[28:29], v[28:29], v[34:35]
	v_fmac_f64_e32 v[28:29], v[30:31], v[32:33]
	v_mul_f64 v[32:33], v[22:23], v[26:27]
	v_fma_f64 v[32:33], v[20:21], v[24:25], -v[32:33]
	v_mul_f64 v[20:21], v[20:21], v[26:27]
	v_fmac_f64_e32 v[20:21], v[22:23], v[24:25]
	v_mul_f64 v[24:25], v[14:15], v[18:19]
	v_add_f64 v[30:31], v[46:47], 0
	v_add_f64 v[28:29], v[28:29], 0
	v_fma_f64 v[24:25], v[12:13], v[16:17], -v[24:25]
	v_mul_f64 v[12:13], v[12:13], v[18:19]
	v_add_f64 v[22:23], v[30:31], v[32:33]
	v_add_f64 v[20:21], v[28:29], v[20:21]
	v_fmac_f64_e32 v[12:13], v[14:15], v[16:17]
	v_mul_f64 v[16:17], v[6:7], v[10:11]
	v_mul_f64 v[10:11], v[4:5], v[10:11]
	v_add_f64 v[14:15], v[22:23], v[24:25]
	v_add_f64 v[12:13], v[20:21], v[12:13]
	v_fma_f64 v[16:17], v[4:5], v[8:9], -v[16:17]
	v_fmac_f64_e32 v[10:11], v[6:7], v[8:9]
	v_add_f64 v[4:5], v[14:15], v[16:17]
	v_add_f64 v[6:7], v[12:13], v[10:11]
	s_barrier
	ds_write_b128 v45, v[4:7]
	s_waitcnt lgkmcnt(0)
	s_barrier
	s_and_saveexec_b64 s[6:7], s[4:5]
	s_cbranch_execz .LBB126_94
; %bb.93:
	v_lshlrev_b32_e32 v20, 4, v44
	ds_read_b128 v[4:7], v20
	ds_read_b128 v[8:11], v20 offset:16
	ds_read_b128 v[12:15], v20 offset:32
	;; [unrolled: 1-line block ×3, first 2 shown]
	s_waitcnt lgkmcnt(3)
	v_add_f64 v[0:1], v[0:1], v[4:5]
	v_add_f64 v[2:3], v[2:3], v[6:7]
	s_waitcnt lgkmcnt(2)
	v_add_f64 v[0:1], v[0:1], v[8:9]
	v_add_f64 v[4:5], v[2:3], v[10:11]
	s_waitcnt lgkmcnt(1)
	v_add_f64 v[6:7], v[0:1], v[12:13]
	ds_read_b128 v[0:3], v20 offset:64
	v_add_f64 v[4:5], v[4:5], v[14:15]
	s_waitcnt lgkmcnt(1)
	v_add_f64 v[8:9], v[6:7], v[16:17]
	v_add_f64 v[12:13], v[4:5], v[18:19]
	ds_read_b128 v[4:7], v20 offset:80
	s_waitcnt lgkmcnt(1)
	v_add_f64 v[14:15], v[8:9], v[0:1]
	ds_read_b128 v[8:11], v20 offset:96
	v_add_f64 v[12:13], v[12:13], v[2:3]
	ds_read_b128 v[0:3], v20 offset:112
	s_waitcnt lgkmcnt(2)
	v_add_f64 v[4:5], v[14:15], v[4:5]
	v_add_f64 v[6:7], v[12:13], v[6:7]
	s_waitcnt lgkmcnt(1)
	v_add_f64 v[4:5], v[4:5], v[8:9]
	v_add_f64 v[6:7], v[6:7], v[10:11]
	;; [unrolled: 3-line block ×3, first 2 shown]
.LBB126_94:
	s_or_b64 exec, exec, s[6:7]
	s_mul_hi_u32 s4, s33, s3
	s_mul_i32 s38, s38, s3
	s_add_i32 s4, s4, s38
	s_mul_i32 s3, s33, s3
	s_mul_i32 s4, s4, s40
	s_mul_hi_u32 s5, s3, s40
	s_add_i32 s5, s5, s4
	s_mul_i32 s4, s3, s40
	s_lshl_b64 s[4:5], s[4:5], 4
	s_add_u32 s3, s34, s4
	s_mul_i32 s4, s2, s33
	s_addc_u32 s7, s35, s5
	s_ashr_i32 s5, s4, 31
	s_lshl_b64 s[4:5], s[4:5], 4
	s_add_u32 s6, s3, s4
	v_cmp_le_i32_e32 vcc, s28, v42
	s_addc_u32 s7, s7, s5
	s_and_b64 vcc, s[22:23], vcc
	s_cmp_lt_i32 s2, 1
	v_lshlrev_b32_e32 v134, 4, v42
	s_barrier
	s_cbranch_scc1 .LBB126_101
; %bb.95:
	s_mul_i32 s3, s30, s37
	s_mul_hi_u32 s4, s30, s36
	s_add_i32 s3, s4, s3
	s_mul_i32 s4, s31, s36
	s_add_i32 s5, s3, s4
	s_mul_i32 s4, s30, s36
	s_lshl_b64 s[4:5], s[4:5], 4
	v_mov_b32_e32 v4, s5
	v_subrev_co_u32_e64 v136, s[4:5], s4, v36
	v_lshlrev_b32_e32 v9, 2, v142
	s_nop 0
	v_subb_co_u32_e64 v137, s[4:5], v37, v4, s[4:5]
	v_mov_b32_e32 v4, s21
	v_subrev_co_u32_e64 v6, s[4:5], s20, v40
	s_ashr_i32 s29, s28, 31
	s_nop 0
	v_subb_co_u32_e64 v7, s[4:5], v41, v4, s[4:5]
	v_lshlrev_b64 v[4:5], 4, v[38:39]
	v_sub_co_u32_e64 v4, s[4:5], v6, v4
	v_mov_b32_e32 v139, 0
	s_nop 0
	v_subb_co_u32_e64 v5, s[4:5], v7, v5, s[4:5]
	v_mad_u64_u32 v[6:7], s[4:5], v9, s24, 0
	v_mov_b32_e32 v8, v7
	v_mad_u64_u32 v[8:9], s[4:5], v9, s25, v[8:9]
	v_mov_b32_e32 v7, v8
	v_lshl_add_u64 v[4:5], v[6:7], 4, v[4:5]
	s_movk_i32 s4, 0xfdf0
	v_lshl_add_u64 v[6:7], s[28:29], 4, v[4:5]
	s_mov_b32 s5, -1
	v_lshl_add_u64 v[6:7], v[6:7], 0, s[4:5]
	v_mov_b32_e32 v135, v139
	s_movk_i32 s4, 0xfe00
	v_lshl_add_u64 v[4:5], v[4:5], 0, v[134:135]
	s_mov_b32 s5, -1
	v_lshl_add_u64 v[4:5], v[4:5], 0, s[4:5]
	v_cndmask_b32_e32 v8, v4, v6, vcc
	v_and_b32_e32 v4, 48, v42
	v_and_b32_e32 v10, 15, v42
	v_cndmask_b32_e32 v9, v5, v7, vcc
	v_lshlrev_b32_e32 v5, 4, v4
	s_movk_i32 s3, 0x430
	v_mad_u32_u24 v144, v10, s3, v5
	v_or_b32_e32 v5, 0xf0, v134
	v_mad_u32_u24 v145, v10, s3, v5
	v_lshlrev_b32_e32 v5, 2, v43
	v_and_b32_e32 v5, 0x7ffc0, v5
	v_mad_u32_u24 v146, v10, s3, v5
	v_mov_b32_e32 v5, 0x4300
	v_lshl_add_u32 v147, v142, 6, v5
	v_and_b32_e32 v5, 0x1fff0, v43
	s_movk_i32 s8, 0x10c0
	v_mad_u32_u24 v149, v10, s3, v5
	s_mul_i32 s3, s25, 0xd0
	s_mul_hi_u32 s10, s24, 0xd0
	v_add_u32_e32 v135, 0x4300, v134
	v_add_u32_e32 v143, 0x4700, v134
	v_cmp_gt_u32_e64 s[4:5], 64, v43
	v_mad_u32_u24 v148, v142, s8, v134
	s_lshl_b64 s[8:9], s[24:25], 4
	s_add_i32 s11, s10, s3
	s_mul_i32 s10, s24, 0xd0
	v_or_b32_e32 v150, v4, v10
	s_mov_b32 s3, 0
	s_branch .LBB126_97
.LBB126_96:                             ;   in Loop: Header=BB126_97 Depth=1
	s_or_b64 exec, exec, s[12:13]
	v_mul_f64 v[152:153], v[6:7], v[22:23]
	v_fma_f64 v[152:153], v[4:5], v[20:21], -v[152:153]
	v_mul_f64 v[4:5], v[4:5], v[22:23]
	v_mul_f64 v[22:23], v[10:11], v[42:43]
	v_add_f64 v[0:1], v[0:1], v[152:153]
	v_fma_f64 v[22:23], v[8:9], v[40:41], -v[22:23]
	v_add_f64 v[0:1], v[0:1], v[22:23]
	v_mul_f64 v[22:23], v[14:15], v[46:47]
	v_fma_f64 v[22:23], v[12:13], v[44:45], -v[22:23]
	v_add_f64 v[0:1], v[0:1], v[22:23]
	v_mul_f64 v[22:23], v[18:19], v[50:51]
	v_fmac_f64_e32 v[4:5], v[6:7], v[20:21]
	v_fma_f64 v[22:23], v[16:17], v[48:49], -v[22:23]
	v_add_f64 v[2:3], v[2:3], v[4:5]
	v_mul_f64 v[4:5], v[26:27], v[70:71]
	v_add_f64 v[0:1], v[0:1], v[22:23]
	v_fma_f64 v[4:5], v[24:25], v[68:69], -v[4:5]
	v_add_f64 v[0:1], v[0:1], v[4:5]
	v_mul_f64 v[4:5], v[30:31], v[82:83]
	v_fma_f64 v[4:5], v[28:29], v[80:81], -v[4:5]
	v_add_f64 v[0:1], v[0:1], v[4:5]
	v_mul_f64 v[4:5], v[38:39], v[78:79]
	;; [unrolled: 3-line block ×3, first 2 shown]
	v_fma_f64 v[4:5], v[32:33], v[72:73], -v[4:5]
	v_mul_f64 v[8:9], v[8:9], v[42:43]
	v_add_f64 v[0:1], v[0:1], v[4:5]
	v_mul_f64 v[4:5], v[66:67], v[102:103]
	v_mul_f64 v[12:13], v[12:13], v[46:47]
	v_fmac_f64_e32 v[8:9], v[10:11], v[40:41]
	v_fma_f64 v[4:5], v[64:65], v[100:101], -v[4:5]
	v_mul_f64 v[16:17], v[16:17], v[50:51]
	v_add_f64 v[2:3], v[2:3], v[8:9]
	v_fmac_f64_e32 v[12:13], v[14:15], v[44:45]
	v_add_f64 v[0:1], v[0:1], v[4:5]
	v_mul_f64 v[4:5], v[62:63], v[118:119]
	v_add_f64 v[2:3], v[2:3], v[12:13]
	v_fmac_f64_e32 v[16:17], v[18:19], v[48:49]
	v_mul_f64 v[6:7], v[24:25], v[70:71]
	v_fma_f64 v[4:5], v[60:61], v[116:117], -v[4:5]
	v_add_f64 v[2:3], v[2:3], v[16:17]
	v_mul_f64 v[8:9], v[28:29], v[82:83]
	v_fmac_f64_e32 v[6:7], v[26:27], v[68:69]
	v_add_f64 v[0:1], v[0:1], v[4:5]
	v_mul_f64 v[4:5], v[58:59], v[114:115]
	v_mul_f64 v[10:11], v[36:37], v[78:79]
	v_add_f64 v[2:3], v[2:3], v[6:7]
	v_fmac_f64_e32 v[8:9], v[30:31], v[80:81]
	v_fma_f64 v[4:5], v[56:57], v[112:113], -v[4:5]
	v_mul_f64 v[12:13], v[32:33], v[74:75]
	v_add_f64 v[2:3], v[2:3], v[8:9]
	v_fmac_f64_e32 v[10:11], v[38:39], v[76:77]
	v_add_f64 v[0:1], v[0:1], v[4:5]
	v_mul_f64 v[4:5], v[54:55], v[110:111]
	v_add_f64 v[2:3], v[2:3], v[10:11]
	v_fmac_f64_e32 v[12:13], v[34:35], v[72:73]
	v_mul_f64 v[6:7], v[64:65], v[102:103]
	v_fma_f64 v[4:5], v[52:53], v[108:109], -v[4:5]
	v_add_f64 v[2:3], v[2:3], v[12:13]
	v_mul_f64 v[8:9], v[60:61], v[118:119]
	v_add_f64 v[0:1], v[0:1], v[4:5]
	v_fmac_f64_e32 v[6:7], v[66:67], v[100:101]
	v_mul_f64 v[4:5], v[86:87], v[106:107]
	v_mul_f64 v[10:11], v[56:57], v[114:115]
	v_add_f64 v[2:3], v[2:3], v[6:7]
	v_fmac_f64_e32 v[8:9], v[62:63], v[116:117]
	v_fma_f64 v[4:5], v[84:85], v[104:105], -v[4:5]
	v_mul_f64 v[12:13], v[52:53], v[110:111]
	v_add_f64 v[2:3], v[2:3], v[8:9]
	v_fmac_f64_e32 v[10:11], v[58:59], v[112:113]
	v_add_f64 v[0:1], v[0:1], v[4:5]
	v_mul_f64 v[4:5], v[90:91], v[122:123]
	v_add_f64 v[2:3], v[2:3], v[10:11]
	v_fmac_f64_e32 v[12:13], v[54:55], v[108:109]
	v_mul_f64 v[6:7], v[84:85], v[106:107]
	v_fma_f64 v[4:5], v[88:89], v[120:121], -v[4:5]
	v_add_f64 v[2:3], v[2:3], v[12:13]
	v_mul_f64 v[8:9], v[88:89], v[122:123]
	v_add_f64 v[0:1], v[0:1], v[4:5]
	v_mul_f64 v[4:5], v[94:95], v[126:127]
	v_fmac_f64_e32 v[6:7], v[86:87], v[104:105]
	v_fma_f64 v[4:5], v[92:93], v[124:125], -v[4:5]
	v_mul_f64 v[10:11], v[92:93], v[126:127]
	v_fmac_f64_e32 v[8:9], v[90:91], v[120:121]
	v_add_f64 v[2:3], v[2:3], v[6:7]
	v_add_f64 v[0:1], v[0:1], v[4:5]
	v_mul_f64 v[4:5], v[98:99], v[130:131]
	v_mul_f64 v[12:13], v[96:97], v[130:131]
	v_fmac_f64_e32 v[10:11], v[94:95], v[124:125]
	v_add_f64 v[2:3], v[2:3], v[8:9]
	v_fma_f64 v[4:5], v[96:97], v[128:129], -v[4:5]
	v_fmac_f64_e32 v[12:13], v[98:99], v[128:129]
	v_add_f64 v[2:3], v[2:3], v[10:11]
	s_add_i32 s3, s3, 64
	s_add_i32 s2, s2, -1
	v_add_f64 v[0:1], v[0:1], v[4:5]
	v_add_f64 v[2:3], v[2:3], v[12:13]
	s_cmp_eq_u32 s2, 0
	v_lshl_add_u64 v[8:9], v[140:141], 0, s[10:11]
	s_barrier
	s_cbranch_scc1 .LBB126_101
.LBB126_97:                             ; =>This Inner Loop Header: Depth=1
	s_and_saveexec_b64 s[12:13], s[16:17]
	s_cbranch_execz .LBB126_99
; %bb.98:                               ;   in Loop: Header=BB126_97 Depth=1
	s_mul_i32 s14, s3, s37
	s_mul_hi_u32 s15, s3, s36
	s_add_i32 s15, s15, s14
	s_mul_i32 s14, s3, s36
	v_lshl_add_u64 v[4:5], s[14:15], 4, v[136:137]
	global_load_dwordx4 v[4:7], v[4:5], off
	s_waitcnt vmcnt(0)
	ds_write2_b64 v135, v[4:5], v[6:7] offset1:1
.LBB126_99:                             ;   in Loop: Header=BB126_97 Depth=1
	s_or_b64 exec, exec, s[12:13]
	s_waitcnt lgkmcnt(0)
	s_barrier
	global_load_dwordx4 v[4:7], v[8:9], off
	v_lshl_add_u64 v[12:13], v[8:9], 0, s[8:9]
	global_load_dwordx4 v[8:11], v[12:13], off
	v_lshl_add_u64 v[16:17], v[12:13], 0, s[8:9]
	;; [unrolled: 2-line block ×3, first 2 shown]
	global_load_dwordx4 v[16:19], v[28:29], off
	ds_read_b128 v[24:27], v143
	ds_read_b128 v[20:23], v147
	v_lshl_add_u64 v[36:37], v[28:29], 0, s[10:11]
	s_waitcnt vmcnt(3) lgkmcnt(1)
	v_mul_f64 v[28:29], v[6:7], v[26:27]
	v_mul_f64 v[30:31], v[4:5], v[26:27]
	v_fma_f64 v[28:29], v[4:5], v[24:25], -v[28:29]
	v_fmac_f64_e32 v[30:31], v[6:7], v[24:25]
	s_waitcnt vmcnt(2)
	v_mul_f64 v[34:35], v[10:11], v[26:27]
	v_mul_f64 v[32:33], v[8:9], v[26:27]
	ds_write_b128 v148, v[28:31]
	v_fma_f64 v[30:31], v[8:9], v[24:25], -v[34:35]
	v_fmac_f64_e32 v[32:33], v[10:11], v[24:25]
	s_waitcnt vmcnt(1)
	v_mul_f64 v[28:29], v[14:15], v[26:27]
	v_mul_f64 v[34:35], v[12:13], v[26:27]
	ds_read_b128 v[40:43], v147 offset:16
	ds_write_b128 v148, v[30:33] offset:1072
	v_fma_f64 v[32:33], v[12:13], v[24:25], -v[28:29]
	v_fmac_f64_e32 v[34:35], v[14:15], v[24:25]
	s_waitcnt vmcnt(0)
	v_mul_f64 v[30:31], v[18:19], v[26:27]
	v_mul_f64 v[28:29], v[16:17], v[26:27]
	ds_read_b128 v[44:47], v147 offset:32
	ds_write_b128 v148, v[32:35] offset:2144
	v_fma_f64 v[26:27], v[16:17], v[24:25], -v[30:31]
	v_fmac_f64_e32 v[28:29], v[18:19], v[24:25]
	v_lshl_add_u64 v[32:33], v[36:37], 0, s[8:9]
	ds_read_b128 v[48:51], v147 offset:48
	ds_write_b128 v148, v[26:29] offset:3216
	s_waitcnt lgkmcnt(0)
	s_barrier
	ds_read_b128 v[128:131], v146
	ds_read_b128 v[124:127], v146 offset:16
	ds_read_b128 v[120:123], v146 offset:32
	ds_read_b128 v[104:107], v146 offset:48
	s_waitcnt lgkmcnt(0)
	s_barrier
	global_load_dwordx4 v[24:27], v[36:37], off
	global_load_dwordx4 v[28:31], v[32:33], off
	v_lshl_add_u64 v[32:33], v[32:33], 0, s[8:9]
	v_lshl_add_u64 v[56:57], v[32:33], 0, s[8:9]
	global_load_dwordx4 v[36:39], v[32:33], off
	ds_read_b128 v[52:55], v143
	ds_read_b128 v[68:71], v147 offset:256
	global_load_dwordx4 v[32:35], v[56:57], off
	v_lshl_add_u64 v[88:89], v[56:57], 0, s[10:11]
	v_add_f64 v[128:129], v[128:129], 0
	v_add_f64 v[130:131], v[130:131], 0
	;; [unrolled: 1-line block ×8, first 2 shown]
	s_waitcnt vmcnt(3) lgkmcnt(1)
	v_mul_f64 v[58:59], v[26:27], v[54:55]
	v_mul_f64 v[56:57], v[24:25], v[54:55]
	s_waitcnt vmcnt(2)
	v_mul_f64 v[62:63], v[30:31], v[54:55]
	v_mul_f64 v[60:61], v[28:29], v[54:55]
	s_waitcnt vmcnt(1)
	v_mul_f64 v[66:67], v[38:39], v[54:55]
	v_mul_f64 v[64:65], v[36:37], v[54:55]
	v_fmac_f64_e32 v[56:57], v[26:27], v[52:53]
	s_waitcnt vmcnt(0)
	v_mul_f64 v[72:73], v[34:35], v[54:55]
	v_mul_f64 v[86:87], v[32:33], v[54:55]
	v_fma_f64 v[54:55], v[24:25], v[52:53], -v[58:59]
	v_fma_f64 v[58:59], v[28:29], v[52:53], -v[62:63]
	v_fmac_f64_e32 v[60:61], v[30:31], v[52:53]
	ds_write_b128 v148, v[54:57]
	v_fma_f64 v[62:63], v[36:37], v[52:53], -v[66:67]
	v_fmac_f64_e32 v[64:65], v[38:39], v[52:53]
	ds_read_b128 v[80:83], v147 offset:272
	ds_write_b128 v148, v[58:61] offset:1072
	v_fma_f64 v[84:85], v[32:33], v[52:53], -v[72:73]
	v_fmac_f64_e32 v[86:87], v[34:35], v[52:53]
	ds_read_b128 v[76:79], v147 offset:288
	ds_write_b128 v148, v[62:65] offset:2144
	v_lshl_add_u64 v[52:53], v[88:89], 0, s[8:9]
	ds_read_b128 v[72:75], v147 offset:304
	ds_write_b128 v148, v[84:87] offset:3216
	s_waitcnt lgkmcnt(0)
	s_barrier
	ds_read_b128 v[152:155], v146
	ds_read_b128 v[156:159], v146 offset:16
	ds_read_b128 v[160:163], v146 offset:32
	;; [unrolled: 1-line block ×3, first 2 shown]
	s_waitcnt lgkmcnt(0)
	s_barrier
	global_load_dwordx4 v[60:63], v[52:53], off
	v_lshl_add_u64 v[52:53], v[52:53], 0, s[8:9]
	global_load_dwordx4 v[64:67], v[88:89], off
	v_lshl_add_u64 v[88:89], v[52:53], 0, s[8:9]
	global_load_dwordx4 v[56:59], v[52:53], off
	ds_read_b128 v[84:87], v143
	ds_read_b128 v[100:103], v147 offset:512
	global_load_dwordx4 v[52:55], v[88:89], off
	v_lshl_add_u64 v[98:99], v[88:89], 0, s[10:11]
	v_add_f64 v[104:105], v[152:153], 0
	v_add_f64 v[106:107], v[154:155], 0
	;; [unrolled: 1-line block ×8, first 2 shown]
	s_waitcnt vmcnt(3) lgkmcnt(1)
	v_mul_f64 v[94:95], v[62:63], v[86:87]
	v_mul_f64 v[92:93], v[60:61], v[86:87]
	s_waitcnt vmcnt(2)
	v_mul_f64 v[90:91], v[66:67], v[86:87]
	v_mul_f64 v[88:89], v[64:65], v[86:87]
	s_waitcnt vmcnt(1)
	v_mul_f64 v[108:109], v[58:59], v[86:87]
	v_mul_f64 v[96:97], v[56:57], v[86:87]
	v_fmac_f64_e32 v[88:89], v[66:67], v[84:85]
	s_waitcnt vmcnt(0)
	v_mul_f64 v[110:111], v[54:55], v[86:87]
	v_mul_f64 v[170:171], v[52:53], v[86:87]
	v_fma_f64 v[86:87], v[64:65], v[84:85], -v[90:91]
	v_fma_f64 v[90:91], v[60:61], v[84:85], -v[94:95]
	v_fmac_f64_e32 v[92:93], v[62:63], v[84:85]
	ds_write_b128 v148, v[86:89]
	v_fma_f64 v[94:95], v[56:57], v[84:85], -v[108:109]
	v_fmac_f64_e32 v[96:97], v[58:59], v[84:85]
	ds_read_b128 v[116:119], v147 offset:528
	ds_write_b128 v148, v[90:93] offset:1072
	v_lshl_add_u64 v[92:93], v[98:99], 0, s[8:9]
	v_fma_f64 v[168:169], v[52:53], v[84:85], -v[110:111]
	v_fmac_f64_e32 v[170:171], v[54:55], v[84:85]
	ds_read_b128 v[112:115], v147 offset:544
	ds_write_b128 v148, v[94:97] offset:2144
	v_lshl_add_u64 v[96:97], v[92:93], 0, s[8:9]
	ds_read_b128 v[108:111], v147 offset:560
	ds_write_b128 v148, v[168:171] offset:3216
	s_waitcnt lgkmcnt(0)
	s_barrier
	ds_read_b128 v[168:171], v146
	ds_read_b128 v[172:175], v146 offset:16
	ds_read_b128 v[176:179], v146 offset:32
	;; [unrolled: 1-line block ×3, first 2 shown]
	s_waitcnt lgkmcnt(0)
	s_barrier
	global_load_dwordx4 v[84:87], v[98:99], off
	v_lshl_add_u64 v[140:141], v[96:97], 0, s[8:9]
	global_load_dwordx4 v[88:91], v[92:93], off
	v_add_f64 v[124:125], v[168:169], 0
	global_load_dwordx4 v[92:95], v[96:97], off
	v_add_f64 v[126:127], v[170:171], 0
	global_load_dwordx4 v[96:99], v[140:141], off
	ds_read_b128 v[120:123], v143
	ds_read_b128 v[104:107], v147 offset:768
	v_add_f64 v[124:125], v[124:125], v[172:173]
	v_add_f64 v[126:127], v[126:127], v[174:175]
	;; [unrolled: 1-line block ×6, first 2 shown]
	s_waitcnt vmcnt(3) lgkmcnt(1)
	v_mul_f64 v[126:127], v[86:87], v[122:123]
	v_mul_f64 v[124:125], v[84:85], v[122:123]
	s_waitcnt vmcnt(2)
	v_mul_f64 v[130:131], v[90:91], v[122:123]
	v_mul_f64 v[128:129], v[88:89], v[122:123]
	s_waitcnt vmcnt(1)
	;; [unrolled: 3-line block ×3, first 2 shown]
	v_mul_f64 v[164:165], v[98:99], v[122:123]
	v_mul_f64 v[166:167], v[96:97], v[122:123]
	v_fma_f64 v[122:123], v[84:85], v[120:121], -v[126:127]
	v_fmac_f64_e32 v[124:125], v[86:87], v[120:121]
	v_fma_f64 v[126:127], v[88:89], v[120:121], -v[130:131]
	v_fmac_f64_e32 v[128:129], v[90:91], v[120:121]
	ds_write_b128 v148, v[122:125]
	v_fma_f64 v[160:161], v[92:93], v[120:121], -v[160:161]
	v_fmac_f64_e32 v[162:163], v[94:95], v[120:121]
	v_fma_f64 v[164:165], v[96:97], v[120:121], -v[164:165]
	v_fmac_f64_e32 v[166:167], v[98:99], v[120:121]
	ds_read_b128 v[120:123], v147 offset:784
	ds_write_b128 v148, v[126:129] offset:1072
	ds_read_b128 v[124:127], v147 offset:800
	ds_write_b128 v148, v[160:163] offset:2144
	;; [unrolled: 2-line block ×3, first 2 shown]
	s_waitcnt lgkmcnt(0)
	s_barrier
	ds_read_b128 v[160:163], v146
	ds_read_b128 v[164:167], v146 offset:16
	ds_read_b128 v[168:171], v146 offset:32
	ds_read_b128 v[172:175], v146 offset:48
	s_waitcnt lgkmcnt(0)
	s_barrier
	ds_write_b128 v149, v[184:187]
	ds_write_b128 v149, v[152:155] offset:256
	ds_write_b128 v149, v[156:159] offset:512
	v_add_f64 v[152:153], v[160:161], 0
	v_add_f64 v[154:155], v[162:163], 0
	;; [unrolled: 1-line block ×8, first 2 shown]
	ds_write_b128 v149, v[152:155] offset:768
	s_waitcnt lgkmcnt(0)
	s_barrier
	s_and_saveexec_b64 s[12:13], s[4:5]
	s_cbranch_execz .LBB126_96
; %bb.100:                              ;   in Loop: Header=BB126_97 Depth=1
	ds_read_b128 v[152:155], v144
	ds_read_b128 v[156:159], v144 offset:16
	ds_read_b128 v[160:163], v144 offset:32
	;; [unrolled: 1-line block ×3, first 2 shown]
	v_add_u32_e32 v138, s3, v150
	s_waitcnt lgkmcnt(2)
	v_add_f64 v[152:153], v[156:157], v[152:153]
	v_add_f64 v[156:157], v[158:159], v[154:155]
	s_waitcnt lgkmcnt(1)
	v_add_f64 v[158:159], v[152:153], v[160:161]
	ds_read_b128 v[152:155], v144 offset:64
	v_add_f64 v[160:161], v[156:157], v[162:163]
	s_waitcnt lgkmcnt(1)
	v_add_f64 v[162:163], v[158:159], v[164:165]
	ds_read_b128 v[156:159], v144 offset:80
	;; [unrolled: 4-line block ×9, first 2 shown]
	v_add_f64 v[154:155], v[164:165], v[154:155]
	s_waitcnt lgkmcnt(1)
	v_add_f64 v[156:157], v[152:153], v[156:157]
	v_add_f64 v[164:165], v[154:155], v[158:159]
	ds_read_b128 v[152:155], v144 offset:208
	s_waitcnt lgkmcnt(1)
	v_add_f64 v[166:167], v[156:157], v[160:161]
	ds_read_b128 v[156:159], v144 offset:224
	v_add_f64 v[164:165], v[164:165], v[162:163]
	ds_read_b128 v[160:163], v145
	s_waitcnt lgkmcnt(2)
	v_add_f64 v[152:153], v[166:167], v[152:153]
	v_add_f64 v[154:155], v[164:165], v[154:155]
	s_waitcnt lgkmcnt(1)
	v_add_f64 v[152:153], v[152:153], v[156:157]
	v_add_f64 v[154:155], v[154:155], v[158:159]
	;; [unrolled: 3-line block ×3, first 2 shown]
	v_lshl_add_u64 v[156:157], v[138:139], 4, s[6:7]
	global_store_dwordx4 v[156:157], v[152:155], off
	s_branch .LBB126_96
.LBB126_101:
	s_movk_i32 s2, 0x430
	s_or_b64 s[0:1], s[0:1], vcc
	v_mad_u32_u24 v4, v142, s2, v134
	s_xor_b64 s[0:1], s[0:1], -1
	ds_write_b128 v4, v[0:3]
	s_waitcnt lgkmcnt(0)
	s_barrier
	s_and_saveexec_b64 s[2:3], s[0:1]
	s_cbranch_execz .LBB126_103
; %bb.102:
	ds_read_b128 v[0:3], v134 offset:1072
	ds_read_b128 v[4:7], v134
	ds_read_b128 v[8:11], v134 offset:2144
	ds_read_b128 v[12:15], v134 offset:3216
	s_waitcnt lgkmcnt(2)
	v_add_f64 v[0:1], v[0:1], v[4:5]
	v_add_f64 v[2:3], v[2:3], v[6:7]
	s_waitcnt lgkmcnt(1)
	v_add_f64 v[0:1], v[0:1], v[8:9]
	v_add_f64 v[2:3], v[2:3], v[10:11]
	;; [unrolled: 3-line block ×3, first 2 shown]
	v_lshl_add_u64 v[4:5], v[132:133], 4, s[6:7]
	global_store_dwordx4 v[4:5], v[0:3], off
.LBB126_103:
	s_endpgm
	.section	.rodata,"a",@progbits
	.p2align	6, 0x0
	.amdhsa_kernel _ZL26rocblas_hemvn_kernel_lowerILb0ELi64ELi4ELi33ELi32ELi16ElPK19rocblas_complex_numIdES3_PS1_EviT6_lT7_lT5_lS6_lS7_lS5_lT8_i
		.amdhsa_group_segment_fixed_size 19200
		.amdhsa_private_segment_fixed_size 0
		.amdhsa_kernarg_size 376
		.amdhsa_user_sgpr_count 2
		.amdhsa_user_sgpr_dispatch_ptr 0
		.amdhsa_user_sgpr_queue_ptr 0
		.amdhsa_user_sgpr_kernarg_segment_ptr 1
		.amdhsa_user_sgpr_dispatch_id 0
		.amdhsa_user_sgpr_kernarg_preload_length 0
		.amdhsa_user_sgpr_kernarg_preload_offset 0
		.amdhsa_user_sgpr_private_segment_size 0
		.amdhsa_uses_dynamic_stack 0
		.amdhsa_enable_private_segment 0
		.amdhsa_system_sgpr_workgroup_id_x 1
		.amdhsa_system_sgpr_workgroup_id_y 0
		.amdhsa_system_sgpr_workgroup_id_z 1
		.amdhsa_system_sgpr_workgroup_info 0
		.amdhsa_system_vgpr_workitem_id 1
		.amdhsa_next_free_vgpr 188
		.amdhsa_next_free_sgpr 44
		.amdhsa_accum_offset 188
		.amdhsa_reserve_vcc 1
		.amdhsa_float_round_mode_32 0
		.amdhsa_float_round_mode_16_64 0
		.amdhsa_float_denorm_mode_32 3
		.amdhsa_float_denorm_mode_16_64 3
		.amdhsa_dx10_clamp 1
		.amdhsa_ieee_mode 1
		.amdhsa_fp16_overflow 0
		.amdhsa_tg_split 0
		.amdhsa_exception_fp_ieee_invalid_op 0
		.amdhsa_exception_fp_denorm_src 0
		.amdhsa_exception_fp_ieee_div_zero 0
		.amdhsa_exception_fp_ieee_overflow 0
		.amdhsa_exception_fp_ieee_underflow 0
		.amdhsa_exception_fp_ieee_inexact 0
		.amdhsa_exception_int_div_zero 0
	.end_amdhsa_kernel
	.section	.text._ZL26rocblas_hemvn_kernel_lowerILb0ELi64ELi4ELi33ELi32ELi16ElPK19rocblas_complex_numIdES3_PS1_EviT6_lT7_lT5_lS6_lS7_lS5_lT8_i,"axG",@progbits,_ZL26rocblas_hemvn_kernel_lowerILb0ELi64ELi4ELi33ELi32ELi16ElPK19rocblas_complex_numIdES3_PS1_EviT6_lT7_lT5_lS6_lS7_lS5_lT8_i,comdat
.Lfunc_end126:
	.size	_ZL26rocblas_hemvn_kernel_lowerILb0ELi64ELi4ELi33ELi32ELi16ElPK19rocblas_complex_numIdES3_PS1_EviT6_lT7_lT5_lS6_lS7_lS5_lT8_i, .Lfunc_end126-_ZL26rocblas_hemvn_kernel_lowerILb0ELi64ELi4ELi33ELi32ELi16ElPK19rocblas_complex_numIdES3_PS1_EviT6_lT7_lT5_lS6_lS7_lS5_lT8_i
                                        ; -- End function
	.section	.AMDGPU.csdata,"",@progbits
; Kernel info:
; codeLenInByte = 8988
; NumSgprs: 50
; NumVgprs: 188
; NumAgprs: 0
; TotalNumVgprs: 188
; ScratchSize: 0
; MemoryBound: 0
; FloatMode: 240
; IeeeMode: 1
; LDSByteSize: 19200 bytes/workgroup (compile time only)
; SGPRBlocks: 6
; VGPRBlocks: 23
; NumSGPRsForWavesPerEU: 50
; NumVGPRsForWavesPerEU: 188
; AccumOffset: 188
; Occupancy: 2
; WaveLimiterHint : 0
; COMPUTE_PGM_RSRC2:SCRATCH_EN: 0
; COMPUTE_PGM_RSRC2:USER_SGPR: 2
; COMPUTE_PGM_RSRC2:TRAP_HANDLER: 0
; COMPUTE_PGM_RSRC2:TGID_X_EN: 1
; COMPUTE_PGM_RSRC2:TGID_Y_EN: 0
; COMPUTE_PGM_RSRC2:TGID_Z_EN: 1
; COMPUTE_PGM_RSRC2:TIDIG_COMP_CNT: 1
; COMPUTE_PGM_RSRC3_GFX90A:ACCUM_OFFSET: 46
; COMPUTE_PGM_RSRC3_GFX90A:TG_SPLIT: 0
	.section	.text._ZL26rocblas_hemvn_kernel_lowerILb0ELi64ELi4ELi33ELi32ELi16EiPK19rocblas_complex_numIdES3_PS1_EviT6_lT7_lT5_lS6_lS7_lS5_lT8_i,"axG",@progbits,_ZL26rocblas_hemvn_kernel_lowerILb0ELi64ELi4ELi33ELi32ELi16EiPK19rocblas_complex_numIdES3_PS1_EviT6_lT7_lT5_lS6_lS7_lS5_lT8_i,comdat
	.globl	_ZL26rocblas_hemvn_kernel_lowerILb0ELi64ELi4ELi33ELi32ELi16EiPK19rocblas_complex_numIdES3_PS1_EviT6_lT7_lT5_lS6_lS7_lS5_lT8_i ; -- Begin function _ZL26rocblas_hemvn_kernel_lowerILb0ELi64ELi4ELi33ELi32ELi16EiPK19rocblas_complex_numIdES3_PS1_EviT6_lT7_lT5_lS6_lS7_lS5_lT8_i
	.p2align	8
	.type	_ZL26rocblas_hemvn_kernel_lowerILb0ELi64ELi4ELi33ELi32ELi16EiPK19rocblas_complex_numIdES3_PS1_EviT6_lT7_lT5_lS6_lS7_lS5_lT8_i,@function
_ZL26rocblas_hemvn_kernel_lowerILb0ELi64ELi4ELi33ELi32ELi16EiPK19rocblas_complex_numIdES3_PS1_EviT6_lT7_lT5_lS6_lS7_lS5_lT8_i: ; @_ZL26rocblas_hemvn_kernel_lowerILb0ELi64ELi4ELi33ELi32ELi16EiPK19rocblas_complex_numIdES3_PS1_EviT6_lT7_lT5_lS6_lS7_lS5_lT8_i
; %bb.0:
	s_load_dwordx2 s[4:5], s[0:1], 0x84
	s_add_u32 s12, s0, 0x78
	s_addc_u32 s13, s1, 0
	s_waitcnt lgkmcnt(0)
	s_lshr_b32 s6, s4, 16
	s_and_b32 s4, s4, 0xffff
	s_and_b32 s5, s5, 0xffff
	s_mul_i32 s4, s6, s4
	s_mul_i32 s4, s4, s5
	s_cmpk_lg_i32 s4, 0x100
	s_cbranch_scc1 .LBB127_103
; %bb.1:
	s_load_dwordx8 s[4:11], s[0:1], 0x8
	s_waitcnt lgkmcnt(0)
	s_mul_i32 s7, s3, s7
	s_mul_hi_u32 s14, s3, s6
	s_mul_i32 s6, s3, s6
	s_add_i32 s7, s14, s7
	s_lshl_b64 s[6:7], s[6:7], 4
	s_add_u32 s14, s4, s6
	s_addc_u32 s15, s5, s7
	s_load_dwordx4 s[4:7], s[14:15], 0x0
	s_load_dwordx8 s[16:23], s[0:1], 0x50
	s_waitcnt lgkmcnt(0)
	v_cmp_neq_f64_e64 s[4:5], s[4:5], 0
	v_cmp_neq_f64_e64 s[6:7], s[6:7], 0
	s_or_b64 s[4:5], s[4:5], s[6:7]
	s_mov_b64 s[6:7], -1
	s_and_b64 vcc, exec, s[4:5]
	s_cbranch_vccnz .LBB127_3
; %bb.2:
	s_mul_i32 s6, s3, s21
	s_mul_hi_u32 s7, s3, s20
	s_add_i32 s7, s7, s6
	s_mul_i32 s6, s3, s20
	s_lshl_b64 s[6:7], s[6:7], 4
	s_add_u32 s6, s18, s6
	s_addc_u32 s7, s19, s7
	s_load_dwordx4 s[24:27], s[6:7], 0x0
	s_waitcnt lgkmcnt(0)
	v_cmp_neq_f64_e64 s[6:7], s[24:25], 1.0
	v_cmp_neq_f64_e64 s[14:15], s[26:27], 0
	s_or_b64 s[6:7], s[6:7], s[14:15]
.LBB127_3:
	s_andn2_b64 vcc, exec, s[6:7]
	s_cbranch_vccnz .LBB127_103
; %bb.4:
	s_andn2_b64 vcc, exec, s[4:5]
	s_cbranch_vccnz .LBB127_103
; %bb.5:
	s_load_dword s39, s[12:13], 0x0
	s_load_dword s38, s[0:1], 0x0
	s_load_dwordx4 s[4:7], s[0:1], 0x30
	s_load_dwordx2 s[14:15], s[0:1], 0x40
	s_load_dword s33, s[0:1], 0x48
	s_mul_i32 s12, s3, s17
	s_mul_hi_u32 s13, s3, s16
	s_add_i32 s13, s13, s12
	s_mul_i32 s12, s3, s16
	s_lshl_b64 s[12:13], s[12:13], 4
	s_waitcnt lgkmcnt(0)
	s_add_u32 s12, s6, s12
	s_addc_u32 s13, s7, s13
	s_lshl_b64 s[6:7], s[14:15], 4
	s_add_u32 s6, s12, s6
	s_addc_u32 s7, s13, s7
	s_ashr_i32 s40, s38, 31
	s_lshr_b32 s13, s40, 26
	v_and_b32_e32 v42, 0x3ff, v0
	s_lshl_b32 s24, s2, 6
	s_add_i32 s13, s38, s13
	s_andn2_b32 s13, s13, 63
	v_add_u32_e32 v132, s24, v42
	v_bfe_u32 v133, v0, 10, 10
	s_add_i32 s12, s39, -1
	s_sub_i32 s13, s38, s13
	v_mul_lo_u32 v0, v132, s33
	s_cmp_eq_u32 s2, s12
	v_ashrrev_i32_e32 v1, 31, v0
	s_cselect_b32 s20, s13, 0
	v_lshl_add_u64 v[36:37], v[0:1], 4, s[6:7]
	v_cmp_ne_u32_e64 s[16:17], 0, v133
	v_cmp_eq_u32_e64 s[18:19], 0, v133
	s_and_saveexec_b64 s[6:7], s[18:19]
	s_cbranch_execz .LBB127_10
; %bb.6:
	s_cmp_lg_u32 s20, 0
	s_cselect_b64 s[12:13], -1, 0
	v_cmp_le_i32_e32 vcc, s20, v42
	v_mov_b32_e32 v0, 0x4700
	s_and_b64 s[12:13], s[12:13], vcc
	v_lshl_add_u32 v0, v42, 4, v0
	s_and_saveexec_b64 s[14:15], s[12:13]
	s_xor_b64 s[12:13], exec, s[14:15]
	s_cbranch_execz .LBB127_8
; %bb.7:
	v_mov_b32_e32 v2, 0
	v_mov_b32_e32 v3, v2
	;; [unrolled: 1-line block ×4, first 2 shown]
	ds_write_b128 v0, v[2:5]
                                        ; implicit-def: $vgpr0
.LBB127_8:
	s_andn2_saveexec_b64 s[12:13], s[12:13]
	s_cbranch_execz .LBB127_10
; %bb.9:
	global_load_dwordx4 v[2:5], v[36:37], off
	s_waitcnt vmcnt(0)
	ds_write2_b64 v0, v[2:3], v[4:5] offset1:1
.LBB127_10:
	s_or_b64 exec, exec, s[6:7]
	s_mul_i32 s5, s3, s5
	s_mul_hi_u32 s6, s3, s4
	s_add_i32 s5, s6, s5
	s_mul_i32 s4, s3, s4
	s_lshl_b64 s[4:5], s[4:5], 4
	s_add_u32 s6, s8, s4
	s_addc_u32 s7, s9, s5
	s_lshl_b64 s[4:5], s[10:11], 4
	s_load_dword s26, s[0:1], 0x28
	s_add_u32 s4, s6, s4
	s_addc_u32 s5, s7, s5
	s_ashr_i32 s25, s24, 31
	v_lshl_add_u32 v43, v133, 6, v42
	s_lshl_b64 s[0:1], s[24:25], 4
	v_and_b32_e32 v4, 31, v42
	v_lshrrev_b32_e32 v5, 5, v43
	s_add_u32 s4, s4, s0
	s_addc_u32 s5, s5, s1
	s_waitcnt lgkmcnt(0)
	v_mad_u64_u32 v[38:39], s[0:1], v5, s26, v[4:5]
	s_mul_i32 s0, s24, s26
	s_ashr_i32 s1, s0, 31
	s_lshl_b64 s[28:29], s[0:1], 4
	s_add_u32 s0, s28, s4
	s_addc_u32 s1, s29, s5
	s_cmp_lg_u32 s20, 0
	v_ashrrev_i32_e32 v39, 31, v38
	s_cselect_b64 s[30:31], -1, 0
	s_cmp_eq_u32 s20, 0
	v_lshl_add_u64 v[6:7], v[38:39], 4, s[0:1]
	s_cselect_b64 s[34:35], -1, 0
	s_and_b64 vcc, exec, s[30:31]
	s_cbranch_vccnz .LBB127_12
; %bb.11:
	s_lshl_b32 s0, s26, 3
	s_ashr_i32 s1, s0, 31
	s_ashr_i32 s27, s26, 31
	global_load_dwordx4 v[0:3], v[6:7], off
	v_lshl_add_u64 v[12:13], s[0:1], 4, v[6:7]
	global_load_dwordx4 v[8:11], v[12:13], off
	s_lshl_b64 s[0:1], s[26:27], 7
	v_lshl_add_u64 v[16:17], v[12:13], 0, s[0:1]
	global_load_dwordx4 v[12:15], v[16:17], off
	v_lshl_add_u64 v[16:17], v[16:17], 0, s[0:1]
	global_load_dwordx4 v[16:19], v[16:17], off
	v_mul_u32_u24_e32 v20, 33, v5
	v_add_lshl_u32 v20, v20, v4, 4
	v_add_u32_e32 v21, 0x1080, v20
	v_add_u32_e32 v22, 0x2100, v20
	;; [unrolled: 1-line block ×3, first 2 shown]
	s_waitcnt vmcnt(3)
	ds_write2_b64 v20, v[0:1], v[2:3] offset1:1
	s_waitcnt vmcnt(2)
	ds_write2_b64 v21, v[8:9], v[10:11] offset1:1
	;; [unrolled: 2-line block ×4, first 2 shown]
	s_cbranch_execz .LBB127_13
	s_branch .LBB127_30
.LBB127_12:
.LBB127_13:
	v_lshlrev_b32_e32 v0, 4, v4
	v_sub_co_u32_e32 v2, vcc, v6, v0
	s_ashr_i32 s21, s20, 31
	s_nop 0
	v_subbrev_co_u32_e32 v3, vcc, 0, v7, vcc
	v_lshl_add_u64 v[2:3], s[20:21], 4, v[2:3]
	v_lshl_add_u64 v[2:3], v[2:3], 0, -16
	v_cmp_gt_i32_e32 vcc, s20, v4
	v_mul_u32_u24_e32 v1, 33, v5
	v_cmp_le_i32_e64 s[0:1], s20, v5
	v_cndmask_b32_e32 v3, v3, v7, vcc
	v_cndmask_b32_e32 v2, v2, v6, vcc
	v_add_lshl_u32 v1, v1, v4, 4
	s_and_saveexec_b64 s[4:5], s[0:1]
	s_xor_b64 s[0:1], exec, s[4:5]
	s_cbranch_execz .LBB127_15
; %bb.14:
	v_mov_b32_e32 v8, 0
	v_mov_b32_e32 v9, v8
	;; [unrolled: 1-line block ×4, first 2 shown]
	ds_write_b128 v1, v[8:11]
.LBB127_15:
	s_andn2_saveexec_b64 s[0:1], s[0:1]
	s_cbranch_execz .LBB127_17
; %bb.16:
	global_load_dwordx4 v[8:11], v[2:3], off
	s_waitcnt vmcnt(0)
	ds_write2_b64 v1, v[8:9], v[10:11] offset1:1
.LBB127_17:
	s_or_b64 exec, exec, s[0:1]
	v_add_u32_e32 v8, 8, v5
	v_cmp_le_i32_e64 s[0:1], s20, v8
	s_and_saveexec_b64 s[4:5], s[0:1]
	s_xor_b64 s[0:1], exec, s[4:5]
	s_cbranch_execz .LBB127_19
; %bb.18:
	v_mul_u32_u24_e32 v8, 33, v8
	v_add_lshl_u32 v12, v8, v4, 4
	v_mov_b32_e32 v8, 0
	v_mov_b32_e32 v9, v8
	;; [unrolled: 1-line block ×4, first 2 shown]
	ds_write_b128 v12, v[8:11]
.LBB127_19:
	s_andn2_saveexec_b64 s[0:1], s[0:1]
	s_cbranch_execz .LBB127_21
; %bb.20:
	s_lshl_b32 s4, s26, 3
	s_ashr_i32 s5, s4, 31
	v_lshl_add_u64 v[8:9], s[4:5], 4, v[2:3]
	global_load_dwordx4 v[8:11], v[8:9], off
	v_add_u32_e32 v12, 0x1080, v1
	s_waitcnt vmcnt(0)
	ds_write2_b64 v12, v[8:9], v[10:11] offset1:1
.LBB127_21:
	s_or_b64 exec, exec, s[0:1]
	v_add_u32_e32 v8, 16, v5
	v_cmp_le_i32_e64 s[0:1], s20, v8
	s_and_saveexec_b64 s[4:5], s[0:1]
	s_xor_b64 s[0:1], exec, s[4:5]
	s_cbranch_execz .LBB127_23
; %bb.22:
	v_mul_u32_u24_e32 v8, 33, v8
	v_add_lshl_u32 v12, v8, v4, 4
	v_mov_b32_e32 v8, 0
	v_mov_b32_e32 v9, v8
	;; [unrolled: 1-line block ×4, first 2 shown]
	ds_write_b128 v12, v[8:11]
.LBB127_23:
	s_andn2_saveexec_b64 s[0:1], s[0:1]
	s_cbranch_execz .LBB127_25
; %bb.24:
	s_lshl_b32 s4, s26, 4
	s_ashr_i32 s5, s4, 31
	v_lshl_add_u64 v[8:9], s[4:5], 4, v[2:3]
	global_load_dwordx4 v[8:11], v[8:9], off
	v_add_u32_e32 v12, 0x2100, v1
	s_waitcnt vmcnt(0)
	ds_write2_b64 v12, v[8:9], v[10:11] offset1:1
.LBB127_25:
	s_or_b64 exec, exec, s[0:1]
	v_add_u32_e32 v8, 24, v5
	v_cmp_le_i32_e64 s[0:1], s20, v8
	s_and_saveexec_b64 s[4:5], s[0:1]
	s_xor_b64 s[0:1], exec, s[4:5]
	s_cbranch_execz .LBB127_27
; %bb.26:
	v_mov_b32_e32 v8, 0
	v_mov_b32_e32 v9, v8
	;; [unrolled: 1-line block ×4, first 2 shown]
	ds_write_b128 v1, v[8:11] offset:12672
                                        ; implicit-def: $vgpr1
.LBB127_27:
	s_andn2_saveexec_b64 s[0:1], s[0:1]
	s_cbranch_execz .LBB127_29
; %bb.28:
	s_mul_i32 s4, s26, 24
	s_ashr_i32 s5, s4, 31
	v_lshl_add_u64 v[8:9], s[4:5], 4, v[2:3]
	global_load_dwordx4 v[8:11], v[8:9], off
	v_add_u32_e32 v1, 0x3180, v1
	s_waitcnt vmcnt(0)
	ds_write2_b64 v1, v[8:9], v[10:11] offset1:1
.LBB127_29:
	s_or_b64 exec, exec, s[0:1]
	v_mov_b32_e32 v1, 0
	v_lshl_add_u64 v[0:1], v[2:3], 0, v[0:1]
	s_lshl_b64 s[0:1], s[20:21], 4
	v_mov_b32_e32 v2, s1
	v_subrev_co_u32_e64 v0, s[0:1], s0, v0
	s_nop 1
	v_subb_co_u32_e64 v1, s[0:1], v1, v2, s[0:1]
	v_lshl_add_u64 v[0:1], v[0:1], 0, 16
	v_cndmask_b32_e32 v7, v1, v7, vcc
	v_cndmask_b32_e32 v6, v0, v6, vcc
.LBB127_30:
	v_lshlrev_b32_e32 v0, 2, v5
	v_mul_u32_u24_e32 v44, 33, v4
	v_cmp_lt_u32_e64 s[6:7], v0, v4
	v_add_lshl_u32 v16, v0, v44, 4
	s_waitcnt lgkmcnt(0)
	s_barrier
	s_and_saveexec_b64 s[0:1], s[6:7]
	s_cbranch_execz .LBB127_32
; %bb.31:
	v_mul_u32_u24_e32 v1, 0x84, v5
	v_add_lshl_u32 v1, v1, v4, 4
	ds_read_b128 v[8:11], v1
	s_waitcnt lgkmcnt(0)
	ds_write_b128 v16, v[8:11]
.LBB127_32:
	s_or_b64 exec, exec, s[0:1]
	v_or_b32_e32 v1, 1, v0
	v_cmp_lt_u32_e64 s[8:9], v1, v4
	s_and_saveexec_b64 s[0:1], s[8:9]
	s_cbranch_execz .LBB127_34
; %bb.33:
	v_mul_u32_u24_e32 v1, 33, v1
	v_add_lshl_u32 v1, v1, v4, 4
	ds_read_b128 v[8:11], v1
	s_waitcnt lgkmcnt(0)
	ds_write_b128 v16, v[8:11] offset:16
.LBB127_34:
	s_or_b64 exec, exec, s[0:1]
	v_or_b32_e32 v1, 2, v0
	v_cmp_lt_u32_e64 s[10:11], v1, v4
	s_and_saveexec_b64 s[0:1], s[10:11]
	s_cbranch_execz .LBB127_36
; %bb.35:
	v_mul_u32_u24_e32 v1, 33, v1
	v_add_lshl_u32 v1, v1, v4, 4
	ds_read_b128 v[8:11], v1
	s_waitcnt lgkmcnt(0)
	ds_write_b128 v16, v[8:11] offset:32
.LBB127_36:
	s_or_b64 exec, exec, s[0:1]
	v_or_b32_e32 v1, 3, v0
	v_cmp_lt_u32_e64 s[12:13], v1, v4
	v_mad_u32_u24 v1, v1, 33, v4
	v_lshlrev_b32_e32 v12, 4, v1
	s_and_saveexec_b64 s[0:1], s[12:13]
	s_cbranch_execz .LBB127_38
; %bb.37:
	ds_read_b128 v[8:11], v12
	s_waitcnt lgkmcnt(0)
	ds_write_b128 v16, v[8:11] offset:48
.LBB127_38:
	s_or_b64 exec, exec, s[0:1]
	v_mul_u32_u24_e32 v1, 0x84, v5
	v_lshlrev_b32_e32 v15, 4, v0
	s_waitcnt lgkmcnt(0)
	s_barrier
	v_add_lshl_u32 v14, v1, v4, 4
	ds_read_b128 v[0:3], v15 offset:18176
	ds_read_b128 v[8:11], v14
	ds_read_b128 v[18:21], v15 offset:18192
	ds_read_b128 v[22:25], v15 offset:18208
	v_add_u32_e32 v13, 0xfffffbe0, v12
	ds_read_b128 v[26:29], v13
	ds_read_b128 v[30:33], v13 offset:528
	s_waitcnt lgkmcnt(4)
	v_mul_f64 v[34:35], v[2:3], v[10:11]
	v_fma_f64 v[34:35], v[0:1], v[8:9], -v[34:35]
	v_mul_f64 v[0:1], v[0:1], v[10:11]
	v_fmac_f64_e32 v[0:1], v[2:3], v[8:9]
	s_waitcnt lgkmcnt(1)
	v_mul_f64 v[10:11], v[18:19], v[28:29]
	v_add_f64 v[0:1], v[0:1], 0
	v_mul_f64 v[8:9], v[20:21], v[28:29]
	v_fmac_f64_e32 v[10:11], v[20:21], v[26:27]
	v_add_f64 v[2:3], v[34:35], 0
	v_fma_f64 v[8:9], v[18:19], v[26:27], -v[8:9]
	v_add_f64 v[20:21], v[0:1], v[10:11]
	s_waitcnt lgkmcnt(0)
	v_mul_f64 v[0:1], v[24:25], v[32:33]
	v_add_f64 v[18:19], v[2:3], v[8:9]
	v_fma_f64 v[26:27], v[22:23], v[30:31], -v[0:1]
	ds_read_b128 v[0:3], v15 offset:18224
	ds_read_b128 v[8:11], v12
	v_mul_f64 v[22:23], v[22:23], v[32:33]
	v_fmac_f64_e32 v[22:23], v[24:25], v[30:31]
	v_add_f64 v[20:21], v[20:21], v[22:23]
	v_add_f64 v[18:19], v[18:19], v[26:27]
	s_waitcnt lgkmcnt(0)
	v_mul_f64 v[22:23], v[2:3], v[10:11]
	v_mul_f64 v[10:11], v[0:1], v[10:11]
	v_fma_f64 v[22:23], v[0:1], v[8:9], -v[22:23]
	v_fmac_f64_e32 v[10:11], v[2:3], v[8:9]
	v_add_f64 v[0:1], v[18:19], v[22:23]
	v_add_f64 v[2:3], v[20:21], v[10:11]
	v_add_lshl_u32 v45, v5, v44, 4
	s_barrier
	ds_write_b128 v45, v[0:3]
	v_mov_b64_e32 v[0:1], 0
	v_cmp_gt_u32_e64 s[4:5], 32, v43
	v_mov_b64_e32 v[2:3], v[0:1]
	s_waitcnt lgkmcnt(0)
	s_barrier
	s_and_saveexec_b64 s[0:1], s[4:5]
	s_cbranch_execz .LBB127_40
; %bb.39:
	v_lshlrev_b32_e32 v17, 4, v44
	ds_read_b128 v[0:3], v17
	ds_read_b128 v[8:11], v17 offset:16
	ds_read_b128 v[18:21], v17 offset:32
	;; [unrolled: 1-line block ×3, first 2 shown]
	s_waitcnt lgkmcnt(2)
	v_add_f64 v[0:1], v[8:9], v[0:1]
	v_add_f64 v[8:9], v[10:11], v[2:3]
	s_waitcnt lgkmcnt(1)
	v_add_f64 v[10:11], v[0:1], v[18:19]
	ds_read_b128 v[0:3], v17 offset:64
	v_add_f64 v[8:9], v[8:9], v[20:21]
	s_waitcnt lgkmcnt(1)
	v_add_f64 v[18:19], v[10:11], v[22:23]
	v_add_f64 v[22:23], v[8:9], v[24:25]
	ds_read_b128 v[8:11], v17 offset:80
	s_waitcnt lgkmcnt(1)
	v_add_f64 v[24:25], v[18:19], v[0:1]
	ds_read_b128 v[18:21], v17 offset:96
	v_add_f64 v[22:23], v[22:23], v[2:3]
	ds_read_b128 v[0:3], v17 offset:112
	s_waitcnt lgkmcnt(2)
	v_add_f64 v[8:9], v[24:25], v[8:9]
	v_add_f64 v[10:11], v[22:23], v[10:11]
	s_waitcnt lgkmcnt(1)
	v_add_f64 v[8:9], v[8:9], v[18:19]
	v_add_f64 v[10:11], v[10:11], v[20:21]
	;; [unrolled: 3-line block ×3, first 2 shown]
.LBB127_40:
	s_or_b64 exec, exec, s[0:1]
	s_lshl_b32 s36, s26, 5
	s_ashr_i32 s37, s36, 31
	v_lshl_add_u64 v[8:9], s[36:37], 4, v[6:7]
	s_mov_b64 s[0:1], 0x200
	v_cndmask_b32_e64 v6, 0, 1, s[34:35]
	v_cmp_ne_u32_e64 s[14:15], 1, v6
	s_andn2_b64 vcc, exec, s[34:35]
	v_lshl_add_u64 v[6:7], v[8:9], 0, s[0:1]
	s_barrier
	s_cbranch_vccnz .LBB127_42
; %bb.41:
	s_lshl_b32 s0, s26, 3
	s_ashr_i32 s1, s0, 31
	s_ashr_i32 s27, s26, 31
	v_lshl_add_u64 v[26:27], s[0:1], 4, v[8:9]
	s_lshl_b64 s[0:1], s[26:27], 7
	global_load_dwordx4 v[18:21], v[6:7], off
	v_lshl_add_u64 v[28:29], v[26:27], 0, s[0:1]
	global_load_dwordx4 v[8:11], v[26:27], off offset:512
	global_load_dwordx4 v[22:25], v[28:29], off offset:512
	v_lshl_add_u64 v[26:27], v[28:29], 0, s[0:1]
	global_load_dwordx4 v[26:29], v[26:27], off offset:512
	v_mul_u32_u24_e32 v17, 33, v5
	v_add_lshl_u32 v17, v17, v4, 4
	v_add_u32_e32 v30, 0x1080, v17
	v_add_u32_e32 v31, 0x2100, v17
	;; [unrolled: 1-line block ×3, first 2 shown]
	s_waitcnt vmcnt(3)
	ds_write2_b64 v17, v[18:19], v[20:21] offset1:1
	s_waitcnt vmcnt(2)
	ds_write2_b64 v30, v[8:9], v[10:11] offset1:1
	;; [unrolled: 2-line block ×4, first 2 shown]
	s_cbranch_execz .LBB127_43
	s_branch .LBB127_60
.LBB127_42:
.LBB127_43:
	v_lshlrev_b32_e32 v8, 4, v4
	v_sub_co_u32_e32 v10, vcc, v6, v8
	s_ashr_i32 s21, s20, 31
	s_nop 0
	v_subbrev_co_u32_e32 v11, vcc, 0, v7, vcc
	s_movk_i32 s0, 0xfdf0
	v_or_b32_e32 v9, 32, v4
	v_lshl_add_u64 v[10:11], s[20:21], 4, v[10:11]
	s_mov_b32 s1, -1
	v_lshl_add_u64 v[10:11], v[10:11], 0, s[0:1]
	v_cmp_gt_i32_e32 vcc, s20, v9
	s_sub_i32 s25, s20, 32
	v_mul_u32_u24_e32 v9, 33, v5
	v_cndmask_b32_e32 v11, v11, v7, vcc
	v_cndmask_b32_e32 v10, v10, v6, vcc
	v_cmp_le_i32_e64 s[0:1], s25, v5
	v_add_lshl_u32 v9, v9, v4, 4
	s_and_saveexec_b64 s[34:35], s[0:1]
	s_xor_b64 s[0:1], exec, s[34:35]
	s_cbranch_execz .LBB127_45
; %bb.44:
	v_mov_b32_e32 v18, 0
	v_mov_b32_e32 v19, v18
	;; [unrolled: 1-line block ×4, first 2 shown]
	ds_write_b128 v9, v[18:21]
.LBB127_45:
	s_andn2_saveexec_b64 s[0:1], s[0:1]
	s_cbranch_execz .LBB127_47
; %bb.46:
	global_load_dwordx4 v[18:21], v[10:11], off
	s_waitcnt vmcnt(0)
	ds_write2_b64 v9, v[18:19], v[20:21] offset1:1
.LBB127_47:
	s_or_b64 exec, exec, s[0:1]
	v_add_u32_e32 v17, 8, v5
	v_cmp_le_i32_e64 s[0:1], s25, v17
	s_and_saveexec_b64 s[34:35], s[0:1]
	s_xor_b64 s[0:1], exec, s[34:35]
	s_cbranch_execz .LBB127_49
; %bb.48:
	v_mul_u32_u24_e32 v17, 33, v17
	v_mov_b32_e32 v18, 0
	v_add_lshl_u32 v17, v17, v4, 4
	v_mov_b32_e32 v19, v18
	v_mov_b32_e32 v20, v18
	;; [unrolled: 1-line block ×3, first 2 shown]
	ds_write_b128 v17, v[18:21]
.LBB127_49:
	s_andn2_saveexec_b64 s[0:1], s[0:1]
	s_cbranch_execz .LBB127_51
; %bb.50:
	s_lshl_b32 s34, s26, 3
	s_ashr_i32 s35, s34, 31
	v_lshl_add_u64 v[18:19], s[34:35], 4, v[10:11]
	global_load_dwordx4 v[18:21], v[18:19], off
	v_add_u32_e32 v17, 0x1080, v9
	s_waitcnt vmcnt(0)
	ds_write2_b64 v17, v[18:19], v[20:21] offset1:1
.LBB127_51:
	s_or_b64 exec, exec, s[0:1]
	v_add_u32_e32 v17, 16, v5
	v_cmp_le_i32_e64 s[0:1], s25, v17
	s_and_saveexec_b64 s[34:35], s[0:1]
	s_xor_b64 s[0:1], exec, s[34:35]
	s_cbranch_execz .LBB127_53
; %bb.52:
	v_mul_u32_u24_e32 v17, 33, v17
	v_mov_b32_e32 v18, 0
	v_add_lshl_u32 v17, v17, v4, 4
	v_mov_b32_e32 v19, v18
	v_mov_b32_e32 v20, v18
	;; [unrolled: 1-line block ×3, first 2 shown]
	ds_write_b128 v17, v[18:21]
.LBB127_53:
	s_andn2_saveexec_b64 s[0:1], s[0:1]
	s_cbranch_execz .LBB127_55
; %bb.54:
	s_lshl_b32 s34, s26, 4
	s_ashr_i32 s35, s34, 31
	v_lshl_add_u64 v[18:19], s[34:35], 4, v[10:11]
	global_load_dwordx4 v[18:21], v[18:19], off
	v_add_u32_e32 v17, 0x2100, v9
	s_waitcnt vmcnt(0)
	ds_write2_b64 v17, v[18:19], v[20:21] offset1:1
.LBB127_55:
	s_or_b64 exec, exec, s[0:1]
	v_add_u32_e32 v17, 24, v5
	v_cmp_le_i32_e64 s[0:1], s25, v17
	s_and_saveexec_b64 s[34:35], s[0:1]
	s_xor_b64 s[0:1], exec, s[34:35]
	s_cbranch_execz .LBB127_57
; %bb.56:
	v_mov_b32_e32 v18, 0
	v_mov_b32_e32 v19, v18
	v_mov_b32_e32 v20, v18
	v_mov_b32_e32 v21, v18
	ds_write_b128 v9, v[18:21] offset:12672
                                        ; implicit-def: $vgpr9
.LBB127_57:
	s_andn2_saveexec_b64 s[0:1], s[0:1]
	s_cbranch_execz .LBB127_59
; %bb.58:
	s_mul_i32 s34, s26, 24
	s_ashr_i32 s35, s34, 31
	v_lshl_add_u64 v[18:19], s[34:35], 4, v[10:11]
	global_load_dwordx4 v[18:21], v[18:19], off
	v_add_u32_e32 v9, 0x3180, v9
	s_waitcnt vmcnt(0)
	ds_write2_b64 v9, v[18:19], v[20:21] offset1:1
.LBB127_59:
	s_or_b64 exec, exec, s[0:1]
	v_mov_b32_e32 v9, 0
	v_lshl_add_u64 v[8:9], v[10:11], 0, v[8:9]
	s_lshl_b64 s[0:1], s[20:21], 4
	v_mov_b32_e32 v10, s1
	v_subrev_co_u32_e64 v8, s[0:1], s0, v8
	s_nop 1
	v_subb_co_u32_e64 v9, s[0:1], v9, v10, s[0:1]
	s_mov_b64 s[0:1], 0x210
	s_nop 0
	v_lshl_add_u64 v[8:9], v[8:9], 0, s[0:1]
	v_cndmask_b32_e32 v7, v9, v7, vcc
	v_cndmask_b32_e32 v6, v8, v6, vcc
.LBB127_60:
	v_add_u32_e32 v10, 0x4700, v15
	v_add_u32_e32 v8, 0x210, v13
	s_waitcnt lgkmcnt(0)
	s_barrier
	s_and_saveexec_b64 s[0:1], s[6:7]
	s_cbranch_execnz .LBB127_69
; %bb.61:
	s_or_b64 exec, exec, s[0:1]
	s_and_saveexec_b64 s[0:1], s[8:9]
	s_cbranch_execnz .LBB127_70
.LBB127_62:
	s_or_b64 exec, exec, s[0:1]
	s_and_saveexec_b64 s[0:1], s[10:11]
	s_cbranch_execnz .LBB127_71
.LBB127_63:
	s_or_b64 exec, exec, s[0:1]
	s_and_saveexec_b64 s[0:1], s[12:13]
	s_cbranch_execz .LBB127_65
.LBB127_64:
	ds_read_b128 v[18:21], v12
	s_waitcnt lgkmcnt(0)
	ds_write_b128 v16, v[18:21] offset:48
.LBB127_65:
	s_or_b64 exec, exec, s[0:1]
	s_waitcnt lgkmcnt(0)
	s_barrier
	ds_read_b128 v[18:21], v10 offset:512
	ds_read_b128 v[22:25], v14
	ds_read_b128 v[26:29], v10 offset:528
	ds_read_b128 v[30:33], v10 offset:544
	;; [unrolled: 1-line block ×3, first 2 shown]
	ds_read_b128 v[50:53], v13
	v_cmp_eq_u32_e64 s[6:7], 1, v5
	s_waitcnt lgkmcnt(4)
	v_mul_f64 v[8:9], v[20:21], v[24:25]
	v_fma_f64 v[8:9], v[18:19], v[22:23], -v[8:9]
	v_mul_f64 v[14:15], v[18:19], v[24:25]
	s_waitcnt lgkmcnt(0)
	v_mul_f64 v[18:19], v[28:29], v[52:53]
	v_fmac_f64_e32 v[14:15], v[20:21], v[22:23]
	v_fma_f64 v[22:23], v[26:27], v[50:51], -v[18:19]
	v_mul_f64 v[24:25], v[26:27], v[52:53]
	ds_read_b128 v[18:21], v13 offset:528
	v_add_f64 v[8:9], v[8:9], 0
	v_add_f64 v[14:15], v[14:15], 0
	v_fmac_f64_e32 v[24:25], v[28:29], v[50:51]
	v_add_f64 v[8:9], v[8:9], v[22:23]
	v_add_f64 v[22:23], v[14:15], v[24:25]
	ds_read_b128 v[12:15], v12
	s_waitcnt lgkmcnt(1)
	v_mul_f64 v[24:25], v[32:33], v[20:21]
	v_mul_f64 v[20:21], v[30:31], v[20:21]
	v_fmac_f64_e32 v[20:21], v[32:33], v[18:19]
	v_fma_f64 v[24:25], v[30:31], v[18:19], -v[24:25]
	v_add_f64 v[18:19], v[22:23], v[20:21]
	s_waitcnt lgkmcnt(0)
	v_mul_f64 v[20:21], v[48:49], v[14:15]
	v_mul_f64 v[14:15], v[46:47], v[14:15]
	v_add_f64 v[8:9], v[8:9], v[24:25]
	v_fma_f64 v[20:21], v[46:47], v[12:13], -v[20:21]
	v_fmac_f64_e32 v[14:15], v[48:49], v[12:13]
	v_add_f64 v[12:13], v[8:9], v[20:21]
	v_add_f64 v[14:15], v[18:19], v[14:15]
	s_barrier
	ds_write_b128 v45, v[12:15]
	s_waitcnt lgkmcnt(0)
	s_barrier
	s_and_saveexec_b64 s[0:1], s[6:7]
	s_cbranch_execz .LBB127_67
; %bb.66:
	v_lshlrev_b32_e32 v11, 4, v44
	ds_read_b128 v[0:3], v11
	ds_read_b128 v[12:15], v11 offset:16
	ds_read_b128 v[18:21], v11 offset:32
	;; [unrolled: 1-line block ×3, first 2 shown]
	s_waitcnt lgkmcnt(2)
	v_add_f64 v[0:1], v[12:13], v[0:1]
	v_add_f64 v[8:9], v[14:15], v[2:3]
	s_waitcnt lgkmcnt(1)
	v_add_f64 v[12:13], v[0:1], v[18:19]
	ds_read_b128 v[0:3], v11 offset:64
	v_add_f64 v[8:9], v[8:9], v[20:21]
	s_waitcnt lgkmcnt(1)
	v_add_f64 v[18:19], v[12:13], v[22:23]
	ds_read_b128 v[12:15], v11 offset:80
	;; [unrolled: 4-line block ×3, first 2 shown]
	v_add_f64 v[8:9], v[8:9], v[2:3]
	ds_read_b128 v[0:3], v11 offset:112
	s_waitcnt lgkmcnt(2)
	v_add_f64 v[12:13], v[22:23], v[12:13]
	v_add_f64 v[8:9], v[8:9], v[14:15]
	s_waitcnt lgkmcnt(1)
	v_add_f64 v[12:13], v[12:13], v[18:19]
	v_add_f64 v[8:9], v[8:9], v[20:21]
	s_waitcnt lgkmcnt(0)
	v_add_f64 v[0:1], v[12:13], v[0:1]
	v_add_f64 v[2:3], v[8:9], v[2:3]
.LBB127_67:
	s_or_b64 exec, exec, s[0:1]
	s_lshl_b64 s[0:1], s[36:37], 4
	v_mov_b32_e32 v8, s1
	v_subrev_co_u32_e64 v40, s[0:1], s0, v6
	s_and_b64 vcc, exec, s[14:15]
	s_nop 0
	v_subb_co_u32_e64 v41, s[0:1], v7, v8, s[0:1]
	s_barrier
	s_cbranch_vccnz .LBB127_72
; %bb.68:
	s_lshl_b32 s0, s26, 3
	s_ashr_i32 s1, s0, 31
	s_ashr_i32 s27, s26, 31
	v_lshl_add_u64 v[6:7], s[0:1], 4, v[40:41]
	s_lshl_b64 s[0:1], s[26:27], 7
	global_load_dwordx4 v[18:21], v[40:41], off
	global_load_dwordx4 v[22:25], v[6:7], off
	v_lshl_add_u64 v[6:7], v[6:7], 0, s[0:1]
	v_lshl_add_u64 v[8:9], v[6:7], 0, s[0:1]
	global_load_dwordx4 v[26:29], v[6:7], off
	global_load_dwordx4 v[30:33], v[8:9], off
	v_mad_u32_u24 v11, v5, 33, v4
	v_add_u32_e32 v12, 8, v5
	v_add_u32_e32 v13, 16, v5
	;; [unrolled: 1-line block ×3, first 2 shown]
	v_lshlrev_b32_e32 v8, 4, v11
	v_add_u32_e32 v7, 0x108, v11
	v_add_u32_e32 v6, 0x210, v11
	v_add_u32_e32 v15, 0x318, v11
	v_add_u32_e32 v9, 0x1080, v8
	v_add_u32_e32 v17, 0x2100, v8
	v_add_u32_e32 v34, 0x3180, v8
	s_waitcnt vmcnt(3)
	ds_write2_b64 v8, v[18:19], v[20:21] offset1:1
	s_waitcnt vmcnt(2)
	ds_write2_b64 v9, v[22:23], v[24:25] offset1:1
	;; [unrolled: 2-line block ×4, first 2 shown]
	s_cbranch_execz .LBB127_73
	s_branch .LBB127_90
.LBB127_69:
	ds_read_b128 v[18:21], v14
	s_waitcnt lgkmcnt(0)
	ds_write_b128 v16, v[18:21]
	s_or_b64 exec, exec, s[0:1]
	s_and_saveexec_b64 s[0:1], s[8:9]
	s_cbranch_execz .LBB127_62
.LBB127_70:
	ds_read_b128 v[18:21], v13
	s_waitcnt lgkmcnt(0)
	ds_write_b128 v16, v[18:21] offset:16
	s_or_b64 exec, exec, s[0:1]
	s_and_saveexec_b64 s[0:1], s[10:11]
	s_cbranch_execz .LBB127_63
.LBB127_71:
	ds_read_b128 v[18:21], v8
	s_waitcnt lgkmcnt(0)
	ds_write_b128 v16, v[18:21] offset:32
	s_or_b64 exec, exec, s[0:1]
	s_and_saveexec_b64 s[0:1], s[12:13]
	s_cbranch_execnz .LBB127_64
	s_branch .LBB127_65
.LBB127_72:
                                        ; implicit-def: $vgpr11
                                        ; implicit-def: $vgpr12
                                        ; implicit-def: $vgpr7
                                        ; implicit-def: $vgpr13
                                        ; implicit-def: $vgpr6
                                        ; implicit-def: $vgpr14
                                        ; implicit-def: $vgpr15
.LBB127_73:
	v_lshlrev_b32_e32 v6, 4, v4
	v_sub_co_u32_e32 v8, vcc, v40, v6
	s_ashr_i32 s21, s20, 31
	s_nop 0
	v_subbrev_co_u32_e32 v9, vcc, 0, v41, vcc
	s_movk_i32 s0, 0xfdf0
	v_or_b32_e32 v7, 32, v4
	v_lshl_add_u64 v[8:9], s[20:21], 4, v[8:9]
	s_mov_b32 s1, -1
	v_lshl_add_u64 v[8:9], v[8:9], 0, s[0:1]
	v_cmp_gt_i32_e32 vcc, s20, v7
	v_mad_u32_u24 v11, v5, 33, v4
	v_cmp_le_i32_e64 s[0:1], s20, v5
	v_cndmask_b32_e32 v9, v9, v41, vcc
	v_cndmask_b32_e32 v8, v8, v40, vcc
	v_lshlrev_b32_e32 v7, 4, v11
	s_and_saveexec_b64 s[8:9], s[0:1]
	s_xor_b64 s[0:1], exec, s[8:9]
	s_cbranch_execz .LBB127_75
; %bb.74:
	v_mov_b32_e32 v12, 0
	v_mov_b32_e32 v13, v12
	;; [unrolled: 1-line block ×4, first 2 shown]
	ds_write_b128 v7, v[12:15]
.LBB127_75:
	s_andn2_saveexec_b64 s[0:1], s[0:1]
	s_cbranch_execz .LBB127_77
; %bb.76:
	global_load_dwordx4 v[12:15], v[8:9], off
	s_waitcnt vmcnt(0)
	ds_write2_b64 v7, v[12:13], v[14:15] offset1:1
.LBB127_77:
	s_or_b64 exec, exec, s[0:1]
	v_add_u32_e32 v12, 8, v5
	v_cmp_le_i32_e64 s[0:1], s20, v12
	s_and_saveexec_b64 s[8:9], s[0:1]
	s_xor_b64 s[0:1], exec, s[8:9]
	s_cbranch_execz .LBB127_79
; %bb.78:
	v_mul_u32_u24_e32 v13, 33, v12
	v_mov_b32_e32 v18, 0
	v_add_lshl_u32 v13, v13, v4, 4
	v_mov_b32_e32 v19, v18
	v_mov_b32_e32 v20, v18
	;; [unrolled: 1-line block ×3, first 2 shown]
	ds_write_b128 v13, v[18:21]
.LBB127_79:
	s_andn2_saveexec_b64 s[0:1], s[0:1]
	s_cbranch_execz .LBB127_81
; %bb.80:
	s_lshl_b32 s8, s26, 3
	s_ashr_i32 s9, s8, 31
	v_lshl_add_u64 v[14:15], s[8:9], 4, v[8:9]
	global_load_dwordx4 v[18:21], v[14:15], off
	v_add_u32_e32 v13, 0x1080, v7
	s_waitcnt vmcnt(0)
	ds_write2_b64 v13, v[18:19], v[20:21] offset1:1
.LBB127_81:
	s_or_b64 exec, exec, s[0:1]
	v_add_u32_e32 v13, 16, v5
	v_cmp_le_i32_e64 s[0:1], s20, v13
	s_and_saveexec_b64 s[8:9], s[0:1]
	s_xor_b64 s[0:1], exec, s[8:9]
	s_cbranch_execz .LBB127_83
; %bb.82:
	v_mul_u32_u24_e32 v14, 33, v13
	v_mov_b32_e32 v18, 0
	v_add_lshl_u32 v14, v14, v4, 4
	v_mov_b32_e32 v19, v18
	v_mov_b32_e32 v20, v18
	v_mov_b32_e32 v21, v18
	ds_write_b128 v14, v[18:21]
.LBB127_83:
	s_andn2_saveexec_b64 s[0:1], s[0:1]
	s_cbranch_execz .LBB127_85
; %bb.84:
	s_lshl_b32 s8, s26, 4
	s_ashr_i32 s9, s8, 31
	v_lshl_add_u64 v[14:15], s[8:9], 4, v[8:9]
	global_load_dwordx4 v[18:21], v[14:15], off
	v_add_u32_e32 v14, 0x2100, v7
	s_waitcnt vmcnt(0)
	ds_write2_b64 v14, v[18:19], v[20:21] offset1:1
.LBB127_85:
	s_or_b64 exec, exec, s[0:1]
	v_add_u32_e32 v14, 24, v5
	v_cmp_le_i32_e64 s[0:1], s20, v14
                                        ; implicit-def: $vgpr15
	s_and_saveexec_b64 s[8:9], s[0:1]
	s_xor_b64 s[0:1], exec, s[8:9]
	s_cbranch_execz .LBB127_87
; %bb.86:
	v_mad_u32_u24 v15, v14, 33, v4
	v_mov_b32_e32 v18, 0
	v_lshlrev_b32_e32 v4, 4, v15
	v_mov_b32_e32 v19, v18
	v_mov_b32_e32 v20, v18
	;; [unrolled: 1-line block ×3, first 2 shown]
	ds_write_b128 v4, v[18:21]
                                        ; implicit-def: $vgpr7
.LBB127_87:
	s_andn2_saveexec_b64 s[0:1], s[0:1]
	s_cbranch_execz .LBB127_89
; %bb.88:
	s_mul_i32 s8, s26, 24
	s_ashr_i32 s9, s8, 31
	v_lshl_add_u64 v[18:19], s[8:9], 4, v[8:9]
	global_load_dwordx4 v[18:21], v[18:19], off
	v_add_u32_e32 v15, 0x318, v11
	v_add_u32_e32 v4, 0x3180, v7
	s_waitcnt vmcnt(0)
	ds_write2_b64 v4, v[18:19], v[20:21] offset1:1
.LBB127_89:
	s_or_b64 exec, exec, s[0:1]
	v_mov_b32_e32 v7, 0
	v_lshl_add_u64 v[6:7], v[8:9], 0, v[6:7]
	s_lshl_b64 s[0:1], s[20:21], 4
	v_mov_b32_e32 v4, s1
	v_subrev_co_u32_e64 v6, s[0:1], s0, v6
	s_nop 1
	v_subb_co_u32_e64 v7, s[0:1], v7, v4, s[0:1]
	s_mov_b64 s[0:1], 0x210
	s_nop 0
	v_lshl_add_u64 v[6:7], v[6:7], 0, s[0:1]
	v_cndmask_b32_e32 v41, v7, v41, vcc
	v_cndmask_b32_e32 v40, v6, v40, vcc
	v_add_u32_e32 v7, 0x108, v11
	v_add_u32_e32 v6, 0x210, v11
.LBB127_90:
	v_lshlrev_b32_e32 v5, 4, v5
	s_waitcnt lgkmcnt(0)
	s_barrier
	v_lshlrev_b32_e32 v4, 4, v11
	ds_read_b128 v[46:49], v5 offset:18176
	ds_read_b128 v[50:53], v4
	v_lshlrev_b32_e32 v5, 4, v12
	v_lshlrev_b32_e32 v4, 4, v7
	ds_read_b128 v[54:57], v5 offset:18176
	ds_read_b128 v[58:61], v4
	v_lshlrev_b32_e32 v7, 4, v13
	;; [unrolled: 4-line block ×3, first 2 shown]
	v_lshlrev_b32_e32 v6, 4, v15
	ds_read_b128 v[70:73], v7 offset:18176
	ds_read_b128 v[74:77], v6
	s_waitcnt lgkmcnt(6)
	v_mul_f64 v[4:5], v[48:49], v[52:53]
	v_fma_f64 v[4:5], v[46:47], v[50:51], -v[4:5]
	s_waitcnt lgkmcnt(4)
	v_mul_f64 v[8:9], v[56:57], v[60:61]
	v_add_f64 v[4:5], v[4:5], 0
	v_fma_f64 v[8:9], v[54:55], v[58:59], -v[8:9]
	s_waitcnt lgkmcnt(2)
	v_mul_f64 v[6:7], v[64:65], v[68:69]
	v_add_f64 v[4:5], v[4:5], v[8:9]
	v_fma_f64 v[6:7], v[62:63], v[66:67], -v[6:7]
	v_add_f64 v[4:5], v[4:5], v[6:7]
	s_waitcnt lgkmcnt(0)
	v_mul_f64 v[6:7], v[72:73], v[76:77]
	v_fma_f64 v[6:7], v[70:71], v[74:75], -v[6:7]
	v_add_f64 v[78:79], v[4:5], v[6:7]
	ds_read_b128 v[28:31], v16
	ds_read_b128 v[20:23], v16 offset:16
	ds_read_b128 v[12:15], v16 offset:32
	ds_read_b128 v[4:7], v16 offset:48
	ds_read_b128 v[32:35], v10 offset:512
	ds_read_b128 v[24:27], v10 offset:528
	ds_read_b128 v[16:19], v10 offset:544
	ds_read_b128 v[8:11], v10 offset:560
	v_mul_f64 v[46:47], v[46:47], v[52:53]
	v_fmac_f64_e32 v[46:47], v[48:49], v[50:51]
	v_mul_f64 v[48:49], v[54:55], v[60:61]
	v_add_f64 v[46:47], v[46:47], 0
	v_fmac_f64_e32 v[48:49], v[56:57], v[58:59]
	v_add_f64 v[46:47], v[46:47], v[48:49]
	v_mul_f64 v[48:49], v[62:63], v[68:69]
	v_fmac_f64_e32 v[48:49], v[64:65], v[66:67]
	v_add_f64 v[46:47], v[46:47], v[48:49]
	v_mul_f64 v[48:49], v[70:71], v[76:77]
	v_fmac_f64_e32 v[48:49], v[72:73], v[74:75]
	v_add_f64 v[80:81], v[46:47], v[48:49]
	s_waitcnt lgkmcnt(0)
	s_barrier
	ds_write_b128 v45, v[78:81]
	s_waitcnt lgkmcnt(0)
	s_barrier
	s_and_saveexec_b64 s[0:1], s[6:7]
	s_cbranch_execz .LBB127_92
; %bb.91:
	v_lshlrev_b32_e32 v62, 4, v44
	ds_read_b128 v[46:49], v62
	ds_read_b128 v[50:53], v62 offset:16
	ds_read_b128 v[54:57], v62 offset:32
	;; [unrolled: 1-line block ×3, first 2 shown]
	s_waitcnt lgkmcnt(3)
	v_add_f64 v[0:1], v[0:1], v[46:47]
	v_add_f64 v[2:3], v[2:3], v[48:49]
	s_waitcnt lgkmcnt(2)
	v_add_f64 v[0:1], v[0:1], v[50:51]
	v_add_f64 v[46:47], v[2:3], v[52:53]
	s_waitcnt lgkmcnt(1)
	v_add_f64 v[48:49], v[0:1], v[54:55]
	ds_read_b128 v[0:3], v62 offset:64
	v_add_f64 v[46:47], v[46:47], v[56:57]
	s_waitcnt lgkmcnt(1)
	v_add_f64 v[50:51], v[48:49], v[58:59]
	v_add_f64 v[54:55], v[46:47], v[60:61]
	ds_read_b128 v[46:49], v62 offset:80
	s_waitcnt lgkmcnt(1)
	v_add_f64 v[56:57], v[50:51], v[0:1]
	ds_read_b128 v[50:53], v62 offset:96
	v_add_f64 v[54:55], v[54:55], v[2:3]
	ds_read_b128 v[0:3], v62 offset:112
	s_waitcnt lgkmcnt(2)
	v_add_f64 v[46:47], v[56:57], v[46:47]
	v_add_f64 v[48:49], v[54:55], v[48:49]
	s_waitcnt lgkmcnt(1)
	v_add_f64 v[46:47], v[46:47], v[50:51]
	v_add_f64 v[48:49], v[48:49], v[52:53]
	;; [unrolled: 3-line block ×3, first 2 shown]
.LBB127_92:
	s_or_b64 exec, exec, s[0:1]
	v_mul_f64 v[46:47], v[30:31], v[34:35]
	v_fma_f64 v[46:47], v[28:29], v[32:33], -v[46:47]
	v_mul_f64 v[28:29], v[28:29], v[34:35]
	v_fmac_f64_e32 v[28:29], v[30:31], v[32:33]
	v_mul_f64 v[32:33], v[22:23], v[26:27]
	v_fma_f64 v[32:33], v[20:21], v[24:25], -v[32:33]
	v_mul_f64 v[20:21], v[20:21], v[26:27]
	v_fmac_f64_e32 v[20:21], v[22:23], v[24:25]
	v_mul_f64 v[24:25], v[14:15], v[18:19]
	v_add_f64 v[30:31], v[46:47], 0
	v_add_f64 v[28:29], v[28:29], 0
	v_fma_f64 v[24:25], v[12:13], v[16:17], -v[24:25]
	v_mul_f64 v[12:13], v[12:13], v[18:19]
	v_add_f64 v[22:23], v[30:31], v[32:33]
	v_add_f64 v[20:21], v[28:29], v[20:21]
	v_fmac_f64_e32 v[12:13], v[14:15], v[16:17]
	v_mul_f64 v[16:17], v[6:7], v[10:11]
	v_mul_f64 v[10:11], v[4:5], v[10:11]
	v_add_f64 v[14:15], v[22:23], v[24:25]
	v_add_f64 v[12:13], v[20:21], v[12:13]
	v_fma_f64 v[16:17], v[4:5], v[8:9], -v[16:17]
	v_fmac_f64_e32 v[10:11], v[6:7], v[8:9]
	v_add_f64 v[4:5], v[14:15], v[16:17]
	v_add_f64 v[6:7], v[12:13], v[10:11]
	s_barrier
	ds_write_b128 v45, v[4:7]
	s_waitcnt lgkmcnt(0)
	s_barrier
	s_and_saveexec_b64 s[0:1], s[4:5]
	s_cbranch_execz .LBB127_94
; %bb.93:
	v_lshlrev_b32_e32 v20, 4, v44
	ds_read_b128 v[4:7], v20
	ds_read_b128 v[8:11], v20 offset:16
	ds_read_b128 v[12:15], v20 offset:32
	;; [unrolled: 1-line block ×3, first 2 shown]
	s_waitcnt lgkmcnt(3)
	v_add_f64 v[0:1], v[0:1], v[4:5]
	v_add_f64 v[2:3], v[2:3], v[6:7]
	s_waitcnt lgkmcnt(2)
	v_add_f64 v[0:1], v[0:1], v[8:9]
	v_add_f64 v[4:5], v[2:3], v[10:11]
	s_waitcnt lgkmcnt(1)
	v_add_f64 v[6:7], v[0:1], v[12:13]
	ds_read_b128 v[0:3], v20 offset:64
	v_add_f64 v[4:5], v[4:5], v[14:15]
	s_waitcnt lgkmcnt(1)
	v_add_f64 v[8:9], v[6:7], v[16:17]
	v_add_f64 v[12:13], v[4:5], v[18:19]
	ds_read_b128 v[4:7], v20 offset:80
	s_waitcnt lgkmcnt(1)
	v_add_f64 v[14:15], v[8:9], v[0:1]
	ds_read_b128 v[8:11], v20 offset:96
	v_add_f64 v[12:13], v[12:13], v[2:3]
	ds_read_b128 v[0:3], v20 offset:112
	s_waitcnt lgkmcnt(2)
	v_add_f64 v[4:5], v[14:15], v[4:5]
	v_add_f64 v[6:7], v[12:13], v[6:7]
	s_waitcnt lgkmcnt(1)
	v_add_f64 v[4:5], v[4:5], v[8:9]
	v_add_f64 v[6:7], v[6:7], v[10:11]
	;; [unrolled: 3-line block ×3, first 2 shown]
.LBB127_94:
	s_or_b64 exec, exec, s[0:1]
	s_mul_hi_u32 s0, s38, s3
	s_mul_i32 s40, s40, s3
	s_add_i32 s0, s0, s40
	s_mul_i32 s3, s38, s3
	s_mul_i32 s0, s0, s39
	s_mul_hi_u32 s1, s3, s39
	s_add_i32 s1, s1, s0
	s_mul_i32 s0, s3, s39
	s_lshl_b64 s[0:1], s[0:1], 4
	s_add_u32 s3, s22, s0
	s_mul_i32 s0, s2, s38
	s_addc_u32 s4, s23, s1
	s_ashr_i32 s1, s0, 31
	s_lshl_b64 s[0:1], s[0:1], 4
	s_add_u32 s6, s3, s0
	v_cmp_le_i32_e32 vcc, s20, v42
	s_addc_u32 s7, s4, s1
	s_and_b64 vcc, s[30:31], vcc
	s_cmp_lt_i32 s2, 1
	v_lshlrev_b32_e32 v140, 4, v42
	s_barrier
	s_cbranch_scc1 .LBB127_101
; %bb.95:
	s_mul_i32 s0, s24, s33
	s_ashr_i32 s1, s0, 31
	s_lshl_b64 s[0:1], s[0:1], 4
	v_mov_b32_e32 v4, s1
	v_subrev_co_u32_e64 v134, s[0:1], s0, v36
	s_ashr_i32 s21, s20, 31
	s_nop 0
	v_subb_co_u32_e64 v135, s[0:1], v37, v4, s[0:1]
	v_mov_b32_e32 v4, s29
	v_subrev_co_u32_e64 v6, s[0:1], s28, v40
	v_and_b32_e32 v10, 15, v42
	s_nop 0
	v_subb_co_u32_e64 v7, s[0:1], v41, v4, s[0:1]
	v_lshlrev_b64 v[4:5], 4, v[38:39]
	v_sub_co_u32_e64 v4, s[0:1], v6, v4
	v_mul_lo_u32 v6, v133, s26
	s_nop 0
	v_subb_co_u32_e64 v5, s[0:1], v7, v5, s[0:1]
	v_lshl_add_u32 v6, v6, 2, v42
	v_ashrrev_i32_e32 v7, 31, v6
	s_movk_i32 s0, 0xfe00
	v_lshl_add_u64 v[4:5], v[6:7], 4, v[4:5]
	s_mov_b32 s1, -1
	v_lshl_add_u64 v[6:7], v[4:5], 0, s[0:1]
	v_sub_co_u32_e64 v4, s[0:1], v4, v140
	s_ashr_i32 s27, s26, 31
	s_nop 0
	v_subbrev_co_u32_e64 v5, s[0:1], 0, v5, s[0:1]
	s_movk_i32 s0, 0xfdf0
	v_lshl_add_u64 v[4:5], s[20:21], 4, v[4:5]
	s_mov_b32 s1, -1
	v_lshl_add_u64 v[4:5], v[4:5], 0, s[0:1]
	v_cndmask_b32_e32 v8, v6, v4, vcc
	v_and_b32_e32 v4, 48, v42
	v_cndmask_b32_e32 v9, v7, v5, vcc
	v_lshlrev_b32_e32 v5, 4, v4
	s_movk_i32 s0, 0x430
	v_mad_u32_u24 v143, v10, s0, v5
	v_or_b32_e32 v5, 0xf0, v140
	v_mad_u32_u24 v144, v10, s0, v5
	v_lshlrev_b32_e32 v5, 2, v43
	v_and_b32_e32 v5, 0x7ffc0, v5
	v_mad_u32_u24 v145, v10, s0, v5
	v_mov_b32_e32 v5, 0x4300
	v_lshl_add_u32 v146, v133, 6, v5
	s_movk_i32 s1, 0x10c0
	v_and_b32_e32 v5, 0x1fff0, v43
	v_mov_b32_e32 v137, 0
	s_lshl_b32 s3, s33, 6
	v_add_u32_e32 v141, 0x4300, v140
	v_add_u32_e32 v142, 0x4700, v140
	v_cmp_gt_u32_e64 s[4:5], 64, v43
	v_mad_u32_u24 v147, v133, s1, v140
	v_mad_u32_u24 v148, v10, s0, v5
	s_lshl_b64 s[0:1], s[26:27], 4
	s_mul_hi_i32 s9, s26, 0xd0
	s_mul_i32 s8, s26, 0xd0
	v_or_b32_e32 v136, v4, v10
	s_mov_b32 s10, 0
	s_branch .LBB127_97
.LBB127_96:                             ;   in Loop: Header=BB127_97 Depth=1
	s_or_b64 exec, exec, s[12:13]
	v_mul_f64 v[150:151], v[6:7], v[22:23]
	v_fma_f64 v[150:151], v[4:5], v[20:21], -v[150:151]
	v_mul_f64 v[4:5], v[4:5], v[22:23]
	v_mul_f64 v[22:23], v[10:11], v[42:43]
	v_add_f64 v[0:1], v[0:1], v[150:151]
	v_fma_f64 v[22:23], v[8:9], v[40:41], -v[22:23]
	v_add_f64 v[0:1], v[0:1], v[22:23]
	v_mul_f64 v[22:23], v[14:15], v[46:47]
	v_fma_f64 v[22:23], v[12:13], v[44:45], -v[22:23]
	v_add_f64 v[0:1], v[0:1], v[22:23]
	v_mul_f64 v[22:23], v[18:19], v[50:51]
	v_fmac_f64_e32 v[4:5], v[6:7], v[20:21]
	v_fma_f64 v[22:23], v[16:17], v[48:49], -v[22:23]
	v_add_f64 v[2:3], v[2:3], v[4:5]
	v_mul_f64 v[4:5], v[26:27], v[70:71]
	v_add_f64 v[0:1], v[0:1], v[22:23]
	v_fma_f64 v[4:5], v[24:25], v[68:69], -v[4:5]
	v_add_f64 v[0:1], v[0:1], v[4:5]
	v_mul_f64 v[4:5], v[30:31], v[82:83]
	v_fma_f64 v[4:5], v[28:29], v[80:81], -v[4:5]
	v_add_f64 v[0:1], v[0:1], v[4:5]
	v_mul_f64 v[4:5], v[38:39], v[78:79]
	;; [unrolled: 3-line block ×3, first 2 shown]
	v_fma_f64 v[4:5], v[32:33], v[72:73], -v[4:5]
	v_mul_f64 v[8:9], v[8:9], v[42:43]
	v_add_f64 v[0:1], v[0:1], v[4:5]
	v_mul_f64 v[4:5], v[66:67], v[102:103]
	v_mul_f64 v[12:13], v[12:13], v[46:47]
	v_fmac_f64_e32 v[8:9], v[10:11], v[40:41]
	v_fma_f64 v[4:5], v[64:65], v[100:101], -v[4:5]
	v_mul_f64 v[16:17], v[16:17], v[50:51]
	v_add_f64 v[2:3], v[2:3], v[8:9]
	v_fmac_f64_e32 v[12:13], v[14:15], v[44:45]
	v_add_f64 v[0:1], v[0:1], v[4:5]
	v_mul_f64 v[4:5], v[62:63], v[118:119]
	v_add_f64 v[2:3], v[2:3], v[12:13]
	v_fmac_f64_e32 v[16:17], v[18:19], v[48:49]
	v_mul_f64 v[6:7], v[24:25], v[70:71]
	v_fma_f64 v[4:5], v[60:61], v[116:117], -v[4:5]
	v_add_f64 v[2:3], v[2:3], v[16:17]
	v_mul_f64 v[8:9], v[28:29], v[82:83]
	v_fmac_f64_e32 v[6:7], v[26:27], v[68:69]
	v_add_f64 v[0:1], v[0:1], v[4:5]
	v_mul_f64 v[4:5], v[58:59], v[114:115]
	v_mul_f64 v[10:11], v[36:37], v[78:79]
	v_add_f64 v[2:3], v[2:3], v[6:7]
	v_fmac_f64_e32 v[8:9], v[30:31], v[80:81]
	v_fma_f64 v[4:5], v[56:57], v[112:113], -v[4:5]
	v_mul_f64 v[12:13], v[32:33], v[74:75]
	v_add_f64 v[2:3], v[2:3], v[8:9]
	v_fmac_f64_e32 v[10:11], v[38:39], v[76:77]
	v_add_f64 v[0:1], v[0:1], v[4:5]
	v_mul_f64 v[4:5], v[54:55], v[110:111]
	v_add_f64 v[2:3], v[2:3], v[10:11]
	v_fmac_f64_e32 v[12:13], v[34:35], v[72:73]
	v_mul_f64 v[6:7], v[64:65], v[102:103]
	v_fma_f64 v[4:5], v[52:53], v[108:109], -v[4:5]
	v_add_f64 v[2:3], v[2:3], v[12:13]
	v_mul_f64 v[8:9], v[60:61], v[118:119]
	v_add_f64 v[0:1], v[0:1], v[4:5]
	v_fmac_f64_e32 v[6:7], v[66:67], v[100:101]
	v_mul_f64 v[4:5], v[86:87], v[106:107]
	v_mul_f64 v[10:11], v[56:57], v[114:115]
	v_add_f64 v[2:3], v[2:3], v[6:7]
	v_fmac_f64_e32 v[8:9], v[62:63], v[116:117]
	v_fma_f64 v[4:5], v[84:85], v[104:105], -v[4:5]
	v_mul_f64 v[12:13], v[52:53], v[110:111]
	v_add_f64 v[2:3], v[2:3], v[8:9]
	v_fmac_f64_e32 v[10:11], v[58:59], v[112:113]
	v_add_f64 v[0:1], v[0:1], v[4:5]
	v_mul_f64 v[4:5], v[90:91], v[122:123]
	v_add_f64 v[2:3], v[2:3], v[10:11]
	v_fmac_f64_e32 v[12:13], v[54:55], v[108:109]
	v_mul_f64 v[6:7], v[84:85], v[106:107]
	v_fma_f64 v[4:5], v[88:89], v[120:121], -v[4:5]
	v_add_f64 v[2:3], v[2:3], v[12:13]
	v_mul_f64 v[8:9], v[88:89], v[122:123]
	v_add_f64 v[0:1], v[0:1], v[4:5]
	v_mul_f64 v[4:5], v[94:95], v[126:127]
	v_fmac_f64_e32 v[6:7], v[86:87], v[104:105]
	v_fma_f64 v[4:5], v[92:93], v[124:125], -v[4:5]
	v_mul_f64 v[10:11], v[92:93], v[126:127]
	v_fmac_f64_e32 v[8:9], v[90:91], v[120:121]
	v_add_f64 v[2:3], v[2:3], v[6:7]
	v_add_f64 v[0:1], v[0:1], v[4:5]
	v_mul_f64 v[4:5], v[98:99], v[130:131]
	v_mul_f64 v[12:13], v[96:97], v[130:131]
	v_fmac_f64_e32 v[10:11], v[94:95], v[124:125]
	v_add_f64 v[2:3], v[2:3], v[8:9]
	v_fma_f64 v[4:5], v[96:97], v[128:129], -v[4:5]
	v_fmac_f64_e32 v[12:13], v[98:99], v[128:129]
	v_add_f64 v[2:3], v[2:3], v[10:11]
	s_add_i32 s2, s2, -1
	s_add_i32 s10, s10, s3
	v_add_f64 v[0:1], v[0:1], v[4:5]
	v_add_f64 v[2:3], v[2:3], v[12:13]
	v_add_u32_e32 v136, 64, v136
	s_cmp_eq_u32 s2, 0
	v_lshl_add_u64 v[8:9], v[138:139], 0, s[8:9]
	s_barrier
	s_cbranch_scc1 .LBB127_101
.LBB127_97:                             ; =>This Inner Loop Header: Depth=1
	s_and_saveexec_b64 s[12:13], s[18:19]
	s_cbranch_execz .LBB127_99
; %bb.98:                               ;   in Loop: Header=BB127_97 Depth=1
	s_ashr_i32 s11, s10, 31
	v_lshl_add_u64 v[4:5], s[10:11], 4, v[134:135]
	global_load_dwordx4 v[4:7], v[4:5], off
	s_waitcnt vmcnt(0)
	ds_write2_b64 v141, v[4:5], v[6:7] offset1:1
.LBB127_99:                             ;   in Loop: Header=BB127_97 Depth=1
	s_or_b64 exec, exec, s[12:13]
	s_waitcnt lgkmcnt(0)
	s_barrier
	global_load_dwordx4 v[4:7], v[8:9], off
	v_lshl_add_u64 v[12:13], v[8:9], 0, s[0:1]
	global_load_dwordx4 v[8:11], v[12:13], off
	v_lshl_add_u64 v[16:17], v[12:13], 0, s[0:1]
	global_load_dwordx4 v[12:15], v[16:17], off
	v_lshl_add_u64 v[28:29], v[16:17], 0, s[0:1]
	global_load_dwordx4 v[16:19], v[28:29], off
	ds_read_b128 v[24:27], v142
	ds_read_b128 v[20:23], v146
	v_lshl_add_u64 v[36:37], v[28:29], 0, s[8:9]
	s_waitcnt vmcnt(3) lgkmcnt(1)
	v_mul_f64 v[28:29], v[6:7], v[26:27]
	v_mul_f64 v[30:31], v[4:5], v[26:27]
	v_fma_f64 v[28:29], v[4:5], v[24:25], -v[28:29]
	v_fmac_f64_e32 v[30:31], v[6:7], v[24:25]
	s_waitcnt vmcnt(2)
	v_mul_f64 v[34:35], v[10:11], v[26:27]
	v_mul_f64 v[32:33], v[8:9], v[26:27]
	ds_write_b128 v147, v[28:31]
	v_fma_f64 v[30:31], v[8:9], v[24:25], -v[34:35]
	v_fmac_f64_e32 v[32:33], v[10:11], v[24:25]
	s_waitcnt vmcnt(1)
	v_mul_f64 v[28:29], v[14:15], v[26:27]
	v_mul_f64 v[34:35], v[12:13], v[26:27]
	ds_read_b128 v[40:43], v146 offset:16
	ds_write_b128 v147, v[30:33] offset:1072
	v_fma_f64 v[32:33], v[12:13], v[24:25], -v[28:29]
	v_fmac_f64_e32 v[34:35], v[14:15], v[24:25]
	s_waitcnt vmcnt(0)
	v_mul_f64 v[30:31], v[18:19], v[26:27]
	v_mul_f64 v[28:29], v[16:17], v[26:27]
	ds_read_b128 v[44:47], v146 offset:32
	ds_write_b128 v147, v[32:35] offset:2144
	v_fma_f64 v[26:27], v[16:17], v[24:25], -v[30:31]
	v_fmac_f64_e32 v[28:29], v[18:19], v[24:25]
	v_lshl_add_u64 v[32:33], v[36:37], 0, s[0:1]
	ds_read_b128 v[48:51], v146 offset:48
	ds_write_b128 v147, v[26:29] offset:3216
	s_waitcnt lgkmcnt(0)
	s_barrier
	ds_read_b128 v[128:131], v145
	ds_read_b128 v[124:127], v145 offset:16
	ds_read_b128 v[120:123], v145 offset:32
	;; [unrolled: 1-line block ×3, first 2 shown]
	s_waitcnt lgkmcnt(0)
	s_barrier
	global_load_dwordx4 v[24:27], v[36:37], off
	global_load_dwordx4 v[28:31], v[32:33], off
	v_lshl_add_u64 v[32:33], v[32:33], 0, s[0:1]
	v_lshl_add_u64 v[56:57], v[32:33], 0, s[0:1]
	global_load_dwordx4 v[36:39], v[32:33], off
	ds_read_b128 v[52:55], v142
	ds_read_b128 v[68:71], v146 offset:256
	global_load_dwordx4 v[32:35], v[56:57], off
	v_lshl_add_u64 v[88:89], v[56:57], 0, s[8:9]
	v_add_f64 v[128:129], v[128:129], 0
	v_add_f64 v[130:131], v[130:131], 0
	;; [unrolled: 1-line block ×8, first 2 shown]
	s_waitcnt vmcnt(3) lgkmcnt(1)
	v_mul_f64 v[58:59], v[26:27], v[54:55]
	v_mul_f64 v[56:57], v[24:25], v[54:55]
	s_waitcnt vmcnt(2)
	v_mul_f64 v[62:63], v[30:31], v[54:55]
	v_mul_f64 v[60:61], v[28:29], v[54:55]
	s_waitcnt vmcnt(1)
	v_mul_f64 v[66:67], v[38:39], v[54:55]
	v_mul_f64 v[64:65], v[36:37], v[54:55]
	v_fmac_f64_e32 v[56:57], v[26:27], v[52:53]
	s_waitcnt vmcnt(0)
	v_mul_f64 v[72:73], v[34:35], v[54:55]
	v_mul_f64 v[86:87], v[32:33], v[54:55]
	v_fma_f64 v[54:55], v[24:25], v[52:53], -v[58:59]
	v_fma_f64 v[58:59], v[28:29], v[52:53], -v[62:63]
	v_fmac_f64_e32 v[60:61], v[30:31], v[52:53]
	ds_write_b128 v147, v[54:57]
	v_fma_f64 v[62:63], v[36:37], v[52:53], -v[66:67]
	v_fmac_f64_e32 v[64:65], v[38:39], v[52:53]
	ds_read_b128 v[80:83], v146 offset:272
	ds_write_b128 v147, v[58:61] offset:1072
	v_fma_f64 v[84:85], v[32:33], v[52:53], -v[72:73]
	v_fmac_f64_e32 v[86:87], v[34:35], v[52:53]
	ds_read_b128 v[76:79], v146 offset:288
	ds_write_b128 v147, v[62:65] offset:2144
	v_lshl_add_u64 v[52:53], v[88:89], 0, s[0:1]
	ds_read_b128 v[72:75], v146 offset:304
	ds_write_b128 v147, v[84:87] offset:3216
	s_waitcnt lgkmcnt(0)
	s_barrier
	ds_read_b128 v[150:153], v145
	ds_read_b128 v[154:157], v145 offset:16
	ds_read_b128 v[158:161], v145 offset:32
	;; [unrolled: 1-line block ×3, first 2 shown]
	s_waitcnt lgkmcnt(0)
	s_barrier
	global_load_dwordx4 v[60:63], v[52:53], off
	v_lshl_add_u64 v[52:53], v[52:53], 0, s[0:1]
	global_load_dwordx4 v[64:67], v[88:89], off
	v_lshl_add_u64 v[88:89], v[52:53], 0, s[0:1]
	global_load_dwordx4 v[56:59], v[52:53], off
	ds_read_b128 v[84:87], v142
	ds_read_b128 v[100:103], v146 offset:512
	global_load_dwordx4 v[52:55], v[88:89], off
	v_lshl_add_u64 v[98:99], v[88:89], 0, s[8:9]
	v_add_f64 v[104:105], v[150:151], 0
	v_add_f64 v[106:107], v[152:153], 0
	;; [unrolled: 1-line block ×8, first 2 shown]
	s_waitcnt vmcnt(3) lgkmcnt(1)
	v_mul_f64 v[94:95], v[62:63], v[86:87]
	v_mul_f64 v[92:93], v[60:61], v[86:87]
	s_waitcnt vmcnt(2)
	v_mul_f64 v[90:91], v[66:67], v[86:87]
	v_mul_f64 v[88:89], v[64:65], v[86:87]
	s_waitcnt vmcnt(1)
	v_mul_f64 v[108:109], v[58:59], v[86:87]
	v_mul_f64 v[96:97], v[56:57], v[86:87]
	v_fmac_f64_e32 v[88:89], v[66:67], v[84:85]
	s_waitcnt vmcnt(0)
	v_mul_f64 v[110:111], v[54:55], v[86:87]
	v_mul_f64 v[168:169], v[52:53], v[86:87]
	v_fma_f64 v[86:87], v[64:65], v[84:85], -v[90:91]
	v_fma_f64 v[90:91], v[60:61], v[84:85], -v[94:95]
	v_fmac_f64_e32 v[92:93], v[62:63], v[84:85]
	ds_write_b128 v147, v[86:89]
	v_fma_f64 v[94:95], v[56:57], v[84:85], -v[108:109]
	v_fmac_f64_e32 v[96:97], v[58:59], v[84:85]
	ds_read_b128 v[116:119], v146 offset:528
	ds_write_b128 v147, v[90:93] offset:1072
	v_lshl_add_u64 v[92:93], v[98:99], 0, s[0:1]
	v_fma_f64 v[166:167], v[52:53], v[84:85], -v[110:111]
	v_fmac_f64_e32 v[168:169], v[54:55], v[84:85]
	ds_read_b128 v[112:115], v146 offset:544
	ds_write_b128 v147, v[94:97] offset:2144
	v_lshl_add_u64 v[96:97], v[92:93], 0, s[0:1]
	ds_read_b128 v[108:111], v146 offset:560
	ds_write_b128 v147, v[166:169] offset:3216
	s_waitcnt lgkmcnt(0)
	s_barrier
	ds_read_b128 v[166:169], v145
	ds_read_b128 v[170:173], v145 offset:16
	ds_read_b128 v[174:177], v145 offset:32
	;; [unrolled: 1-line block ×3, first 2 shown]
	s_waitcnt lgkmcnt(0)
	s_barrier
	global_load_dwordx4 v[84:87], v[98:99], off
	v_lshl_add_u64 v[138:139], v[96:97], 0, s[0:1]
	global_load_dwordx4 v[88:91], v[92:93], off
	v_add_f64 v[124:125], v[166:167], 0
	global_load_dwordx4 v[92:95], v[96:97], off
	v_add_f64 v[126:127], v[168:169], 0
	global_load_dwordx4 v[96:99], v[138:139], off
	ds_read_b128 v[120:123], v142
	ds_read_b128 v[104:107], v146 offset:768
	v_add_f64 v[124:125], v[124:125], v[170:171]
	v_add_f64 v[126:127], v[126:127], v[172:173]
	;; [unrolled: 1-line block ×6, first 2 shown]
	s_waitcnt vmcnt(3) lgkmcnt(1)
	v_mul_f64 v[126:127], v[86:87], v[122:123]
	v_mul_f64 v[124:125], v[84:85], v[122:123]
	s_waitcnt vmcnt(2)
	v_mul_f64 v[130:131], v[90:91], v[122:123]
	v_mul_f64 v[128:129], v[88:89], v[122:123]
	s_waitcnt vmcnt(1)
	;; [unrolled: 3-line block ×3, first 2 shown]
	v_mul_f64 v[162:163], v[98:99], v[122:123]
	v_mul_f64 v[164:165], v[96:97], v[122:123]
	v_fma_f64 v[122:123], v[84:85], v[120:121], -v[126:127]
	v_fmac_f64_e32 v[124:125], v[86:87], v[120:121]
	v_fma_f64 v[126:127], v[88:89], v[120:121], -v[130:131]
	v_fmac_f64_e32 v[128:129], v[90:91], v[120:121]
	ds_write_b128 v147, v[122:125]
	v_fma_f64 v[158:159], v[92:93], v[120:121], -v[158:159]
	v_fmac_f64_e32 v[160:161], v[94:95], v[120:121]
	v_fma_f64 v[162:163], v[96:97], v[120:121], -v[162:163]
	v_fmac_f64_e32 v[164:165], v[98:99], v[120:121]
	ds_read_b128 v[120:123], v146 offset:784
	ds_write_b128 v147, v[126:129] offset:1072
	ds_read_b128 v[124:127], v146 offset:800
	ds_write_b128 v147, v[158:161] offset:2144
	;; [unrolled: 2-line block ×3, first 2 shown]
	s_waitcnt lgkmcnt(0)
	s_barrier
	ds_read_b128 v[158:161], v145
	ds_read_b128 v[162:165], v145 offset:16
	ds_read_b128 v[166:169], v145 offset:32
	;; [unrolled: 1-line block ×3, first 2 shown]
	s_waitcnt lgkmcnt(0)
	s_barrier
	ds_write_b128 v148, v[182:185]
	ds_write_b128 v148, v[150:153] offset:256
	ds_write_b128 v148, v[154:157] offset:512
	v_add_f64 v[150:151], v[158:159], 0
	v_add_f64 v[152:153], v[160:161], 0
	;; [unrolled: 1-line block ×8, first 2 shown]
	ds_write_b128 v148, v[150:153] offset:768
	s_waitcnt lgkmcnt(0)
	s_barrier
	s_and_saveexec_b64 s[12:13], s[4:5]
	s_cbranch_execz .LBB127_96
; %bb.100:                              ;   in Loop: Header=BB127_97 Depth=1
	ds_read_b128 v[150:153], v143
	ds_read_b128 v[154:157], v143 offset:16
	ds_read_b128 v[158:161], v143 offset:32
	;; [unrolled: 1-line block ×3, first 2 shown]
	s_waitcnt lgkmcnt(2)
	v_add_f64 v[150:151], v[154:155], v[150:151]
	v_add_f64 v[154:155], v[156:157], v[152:153]
	s_waitcnt lgkmcnt(1)
	v_add_f64 v[156:157], v[150:151], v[158:159]
	ds_read_b128 v[150:153], v143 offset:64
	v_add_f64 v[158:159], v[154:155], v[160:161]
	s_waitcnt lgkmcnt(1)
	v_add_f64 v[160:161], v[156:157], v[162:163]
	ds_read_b128 v[154:157], v143 offset:80
	;; [unrolled: 4-line block ×9, first 2 shown]
	v_add_f64 v[152:153], v[162:163], v[152:153]
	s_waitcnt lgkmcnt(1)
	v_add_f64 v[154:155], v[150:151], v[154:155]
	v_add_f64 v[162:163], v[152:153], v[156:157]
	ds_read_b128 v[150:153], v143 offset:208
	s_waitcnt lgkmcnt(1)
	v_add_f64 v[164:165], v[154:155], v[158:159]
	ds_read_b128 v[154:157], v143 offset:224
	v_add_f64 v[162:163], v[162:163], v[160:161]
	ds_read_b128 v[158:161], v144
	s_waitcnt lgkmcnt(2)
	v_add_f64 v[150:151], v[164:165], v[150:151]
	v_add_f64 v[152:153], v[162:163], v[152:153]
	s_waitcnt lgkmcnt(1)
	v_add_f64 v[150:151], v[150:151], v[154:155]
	v_add_f64 v[152:153], v[152:153], v[156:157]
	;; [unrolled: 3-line block ×3, first 2 shown]
	v_lshl_add_u64 v[154:155], v[136:137], 4, s[6:7]
	global_store_dwordx4 v[154:155], v[150:153], off
	s_branch .LBB127_96
.LBB127_101:
	s_movk_i32 s0, 0x430
	v_mad_u32_u24 v4, v133, s0, v140
	s_or_b64 s[0:1], s[16:17], vcc
	s_xor_b64 s[0:1], s[0:1], -1
	ds_write_b128 v4, v[0:3]
	s_waitcnt lgkmcnt(0)
	s_barrier
	s_and_saveexec_b64 s[2:3], s[0:1]
	s_cbranch_execz .LBB127_103
; %bb.102:
	ds_read_b128 v[0:3], v140 offset:1072
	ds_read_b128 v[4:7], v140
	ds_read_b128 v[8:11], v140 offset:2144
	ds_read_b128 v[12:15], v140 offset:3216
	v_ashrrev_i32_e32 v133, 31, v132
	s_waitcnt lgkmcnt(2)
	v_add_f64 v[0:1], v[0:1], v[4:5]
	v_add_f64 v[2:3], v[2:3], v[6:7]
	s_waitcnt lgkmcnt(1)
	v_add_f64 v[0:1], v[0:1], v[8:9]
	v_add_f64 v[2:3], v[2:3], v[10:11]
	s_waitcnt lgkmcnt(0)
	v_add_f64 v[0:1], v[0:1], v[12:13]
	v_add_f64 v[2:3], v[2:3], v[14:15]
	v_lshl_add_u64 v[4:5], v[132:133], 4, s[6:7]
	global_store_dwordx4 v[4:5], v[0:3], off
.LBB127_103:
	s_endpgm
	.section	.rodata,"a",@progbits
	.p2align	6, 0x0
	.amdhsa_kernel _ZL26rocblas_hemvn_kernel_lowerILb0ELi64ELi4ELi33ELi32ELi16EiPK19rocblas_complex_numIdES3_PS1_EviT6_lT7_lT5_lS6_lS7_lS5_lT8_i
		.amdhsa_group_segment_fixed_size 19200
		.amdhsa_private_segment_fixed_size 0
		.amdhsa_kernarg_size 376
		.amdhsa_user_sgpr_count 2
		.amdhsa_user_sgpr_dispatch_ptr 0
		.amdhsa_user_sgpr_queue_ptr 0
		.amdhsa_user_sgpr_kernarg_segment_ptr 1
		.amdhsa_user_sgpr_dispatch_id 0
		.amdhsa_user_sgpr_kernarg_preload_length 0
		.amdhsa_user_sgpr_kernarg_preload_offset 0
		.amdhsa_user_sgpr_private_segment_size 0
		.amdhsa_uses_dynamic_stack 0
		.amdhsa_enable_private_segment 0
		.amdhsa_system_sgpr_workgroup_id_x 1
		.amdhsa_system_sgpr_workgroup_id_y 0
		.amdhsa_system_sgpr_workgroup_id_z 1
		.amdhsa_system_sgpr_workgroup_info 0
		.amdhsa_system_vgpr_workitem_id 1
		.amdhsa_next_free_vgpr 186
		.amdhsa_next_free_sgpr 41
		.amdhsa_accum_offset 188
		.amdhsa_reserve_vcc 1
		.amdhsa_float_round_mode_32 0
		.amdhsa_float_round_mode_16_64 0
		.amdhsa_float_denorm_mode_32 3
		.amdhsa_float_denorm_mode_16_64 3
		.amdhsa_dx10_clamp 1
		.amdhsa_ieee_mode 1
		.amdhsa_fp16_overflow 0
		.amdhsa_tg_split 0
		.amdhsa_exception_fp_ieee_invalid_op 0
		.amdhsa_exception_fp_denorm_src 0
		.amdhsa_exception_fp_ieee_div_zero 0
		.amdhsa_exception_fp_ieee_overflow 0
		.amdhsa_exception_fp_ieee_underflow 0
		.amdhsa_exception_fp_ieee_inexact 0
		.amdhsa_exception_int_div_zero 0
	.end_amdhsa_kernel
	.section	.text._ZL26rocblas_hemvn_kernel_lowerILb0ELi64ELi4ELi33ELi32ELi16EiPK19rocblas_complex_numIdES3_PS1_EviT6_lT7_lT5_lS6_lS7_lS5_lT8_i,"axG",@progbits,_ZL26rocblas_hemvn_kernel_lowerILb0ELi64ELi4ELi33ELi32ELi16EiPK19rocblas_complex_numIdES3_PS1_EviT6_lT7_lT5_lS6_lS7_lS5_lT8_i,comdat
.Lfunc_end127:
	.size	_ZL26rocblas_hemvn_kernel_lowerILb0ELi64ELi4ELi33ELi32ELi16EiPK19rocblas_complex_numIdES3_PS1_EviT6_lT7_lT5_lS6_lS7_lS5_lT8_i, .Lfunc_end127-_ZL26rocblas_hemvn_kernel_lowerILb0ELi64ELi4ELi33ELi32ELi16EiPK19rocblas_complex_numIdES3_PS1_EviT6_lT7_lT5_lS6_lS7_lS5_lT8_i
                                        ; -- End function
	.section	.AMDGPU.csdata,"",@progbits
; Kernel info:
; codeLenInByte = 8920
; NumSgprs: 47
; NumVgprs: 186
; NumAgprs: 0
; TotalNumVgprs: 186
; ScratchSize: 0
; MemoryBound: 0
; FloatMode: 240
; IeeeMode: 1
; LDSByteSize: 19200 bytes/workgroup (compile time only)
; SGPRBlocks: 5
; VGPRBlocks: 23
; NumSGPRsForWavesPerEU: 47
; NumVGPRsForWavesPerEU: 186
; AccumOffset: 188
; Occupancy: 2
; WaveLimiterHint : 1
; COMPUTE_PGM_RSRC2:SCRATCH_EN: 0
; COMPUTE_PGM_RSRC2:USER_SGPR: 2
; COMPUTE_PGM_RSRC2:TRAP_HANDLER: 0
; COMPUTE_PGM_RSRC2:TGID_X_EN: 1
; COMPUTE_PGM_RSRC2:TGID_Y_EN: 0
; COMPUTE_PGM_RSRC2:TGID_Z_EN: 1
; COMPUTE_PGM_RSRC2:TIDIG_COMP_CNT: 1
; COMPUTE_PGM_RSRC3_GFX90A:ACCUM_OFFSET: 46
; COMPUTE_PGM_RSRC3_GFX90A:TG_SPLIT: 0
	.section	.text._ZL26rocblas_hemvn_kernel_lowerILb0ELi64ELi4ELi33ELi32ELi16El19rocblas_complex_numIdEPKS1_PS1_EviT6_lT7_lT5_lS6_lS7_lS5_lT8_i,"axG",@progbits,_ZL26rocblas_hemvn_kernel_lowerILb0ELi64ELi4ELi33ELi32ELi16El19rocblas_complex_numIdEPKS1_PS1_EviT6_lT7_lT5_lS6_lS7_lS5_lT8_i,comdat
	.globl	_ZL26rocblas_hemvn_kernel_lowerILb0ELi64ELi4ELi33ELi32ELi16El19rocblas_complex_numIdEPKS1_PS1_EviT6_lT7_lT5_lS6_lS7_lS5_lT8_i ; -- Begin function _ZL26rocblas_hemvn_kernel_lowerILb0ELi64ELi4ELi33ELi32ELi16El19rocblas_complex_numIdEPKS1_PS1_EviT6_lT7_lT5_lS6_lS7_lS5_lT8_i
	.p2align	8
	.type	_ZL26rocblas_hemvn_kernel_lowerILb0ELi64ELi4ELi33ELi32ELi16El19rocblas_complex_numIdEPKS1_PS1_EviT6_lT7_lT5_lS6_lS7_lS5_lT8_i,@function
_ZL26rocblas_hemvn_kernel_lowerILb0ELi64ELi4ELi33ELi32ELi16El19rocblas_complex_numIdEPKS1_PS1_EviT6_lT7_lT5_lS6_lS7_lS5_lT8_i: ; @_ZL26rocblas_hemvn_kernel_lowerILb0ELi64ELi4ELi33ELi32ELi16El19rocblas_complex_numIdEPKS1_PS1_EviT6_lT7_lT5_lS6_lS7_lS5_lT8_i
; %bb.0:
	s_load_dwordx2 s[6:7], s[0:1], 0x94
	s_add_u32 s4, s0, 0x88
	s_addc_u32 s5, s1, 0
	s_waitcnt lgkmcnt(0)
	s_lshr_b32 s8, s6, 16
	s_and_b32 s6, s6, 0xffff
	s_and_b32 s7, s7, 0xffff
	s_mul_i32 s6, s8, s6
	s_mul_i32 s6, s6, s7
	s_cmpk_lg_i32 s6, 0x100
	s_cbranch_scc1 .LBB128_103
; %bb.1:
	s_load_dwordx4 s[8:11], s[0:1], 0x8
	s_waitcnt lgkmcnt(0)
	v_cmp_neq_f64_e64 s[6:7], s[8:9], 0
	v_cmp_neq_f64_e64 s[8:9], s[10:11], 0
	s_or_b64 s[6:7], s[6:7], s[8:9]
	s_mov_b64 s[8:9], -1
	s_and_b64 vcc, exec, s[6:7]
	s_cbranch_vccnz .LBB128_3
; %bb.2:
	s_load_dwordx4 s[8:11], s[0:1], 0x60
	s_waitcnt lgkmcnt(0)
	v_cmp_neq_f64_e64 s[8:9], s[8:9], 1.0
	v_cmp_neq_f64_e64 s[10:11], s[10:11], 0
	s_or_b64 s[8:9], s[8:9], s[10:11]
.LBB128_3:
	s_andn2_b64 vcc, exec, s[8:9]
	s_cbranch_vccnz .LBB128_103
; %bb.4:
	s_andn2_b64 vcc, exec, s[6:7]
	s_cbranch_vccnz .LBB128_103
; %bb.5:
	s_load_dwordx16 s[36:51], s[0:1], 0x20
	s_load_dword s34, s[4:5], 0x0
	s_load_dword s33, s[0:1], 0x0
	v_and_b32_e32 v42, 0x3ff, v0
	v_bfe_u32 v142, v0, 10, 10
	s_waitcnt lgkmcnt(0)
	s_mul_i32 s5, s3, s51
	s_mul_hi_u32 s6, s3, s50
	s_mul_i32 s4, s3, s50
	s_add_i32 s5, s6, s5
	s_lshl_b64 s[4:5], s[4:5], 4
	s_add_u32 s6, s44, s4
	s_addc_u32 s7, s45, s5
	s_lshl_b64 s[4:5], s[46:47], 4
	s_add_u32 s4, s6, s4
	s_addc_u32 s5, s7, s5
	s_ashr_i32 s35, s33, 31
	s_lshr_b32 s7, s35, 26
	s_add_i32 s7, s33, s7
	s_lshl_b32 s24, s2, 6
	s_andn2_b32 s7, s7, 63
	s_add_i32 s6, s34, -1
	s_sub_i32 s7, s33, s7
	v_add_u32_e32 v132, s24, v42
	s_cmp_eq_u32 s2, s6
	v_ashrrev_i32_e32 v133, 31, v132
	s_cselect_b32 s22, s7, 0
	v_mul_lo_u32 v2, v133, s48
	v_mul_lo_u32 v3, v132, s49
	v_mad_u64_u32 v[0:1], s[6:7], v132, s48, 0
	v_add3_u32 v1, v1, v3, v2
	v_lshl_add_u64 v[36:37], v[0:1], 4, s[4:5]
	v_cmp_ne_u32_e64 s[4:5], 0, v142
	v_cmp_eq_u32_e64 s[18:19], 0, v142
	s_and_saveexec_b64 s[6:7], s[18:19]
	s_cbranch_execz .LBB128_10
; %bb.6:
	s_cmp_lg_u32 s22, 0
	s_cselect_b64 s[8:9], -1, 0
	v_cmp_le_i32_e32 vcc, s22, v42
	v_mov_b32_e32 v0, 0x4700
	s_and_b64 s[8:9], s[8:9], vcc
	v_lshl_add_u32 v0, v42, 4, v0
	s_and_saveexec_b64 s[10:11], s[8:9]
	s_xor_b64 s[8:9], exec, s[10:11]
	s_cbranch_execz .LBB128_8
; %bb.7:
	v_mov_b32_e32 v2, 0
	v_mov_b32_e32 v3, v2
	;; [unrolled: 1-line block ×4, first 2 shown]
	ds_write_b128 v0, v[2:5]
                                        ; implicit-def: $vgpr0
.LBB128_8:
	s_andn2_saveexec_b64 s[8:9], s[8:9]
	s_cbranch_execz .LBB128_10
; %bb.9:
	global_load_dwordx4 v[2:5], v[36:37], off
	s_waitcnt vmcnt(0)
	ds_write2_b64 v0, v[2:3], v[4:5] offset1:1
.LBB128_10:
	s_or_b64 exec, exec, s[6:7]
	s_mul_i32 s6, s3, s43
	s_mul_hi_u32 s7, s3, s42
	s_add_i32 s7, s7, s6
	s_mul_i32 s6, s3, s42
	s_lshl_b64 s[6:7], s[6:7], 4
	s_add_u32 s8, s36, s6
	s_addc_u32 s9, s37, s7
	s_lshl_b64 s[6:7], s[38:39], 4
	s_add_u32 s8, s8, s6
	s_addc_u32 s9, s9, s7
	s_ashr_i32 s25, s24, 31
	v_lshl_add_u32 v43, v142, 6, v42
	s_lshl_b64 s[6:7], s[24:25], 4
	v_and_b32_e32 v4, 31, v42
	v_lshrrev_b32_e32 v12, 5, v43
	s_add_u32 s8, s8, s6
	v_mov_b32_e32 v5, 0
	s_addc_u32 s9, s9, s7
	v_mad_u64_u32 v[38:39], s[6:7], v12, s40, v[4:5]
	v_mov_b32_e32 v0, v39
	v_mad_u64_u32 v[0:1], s[6:7], v12, s41, v[0:1]
	s_mul_i32 s6, s24, s41
	s_mul_hi_u32 s7, s24, s40
	s_add_i32 s6, s7, s6
	s_mul_i32 s7, s25, s40
	s_add_i32 s7, s6, s7
	s_mul_i32 s6, s24, s40
	s_lshl_b64 s[26:27], s[6:7], 4
	s_add_u32 s6, s26, s8
	s_addc_u32 s7, s27, s9
	s_cmp_lg_u32 s22, 0
	v_mov_b32_e32 v39, v0
	s_cselect_b64 s[28:29], -1, 0
	s_cmp_eq_u32 s22, 0
	v_lshl_add_u64 v[6:7], v[38:39], 4, s[6:7]
	s_cselect_b64 s[20:21], -1, 0
	s_and_b64 vcc, exec, s[28:29]
	s_cbranch_vccnz .LBB128_12
; %bb.11:
	s_lshl_b64 s[6:7], s[40:41], 7
	v_lshl_add_u64 v[8:9], v[6:7], 0, s[6:7]
	v_mov_b32_e32 v5, 0x180
	global_load_dwordx4 v[0:3], v[8:9], off
	global_load_dwordx4 v[14:17], v[6:7], off
	v_lshl_add_u64 v[8:9], v[8:9], 0, s[6:7]
	v_mad_u64_u32 v[18:19], s[6:7], s40, v5, v[6:7]
	s_mul_i32 s6, s41, 0x180
	global_load_dwordx4 v[8:11], v[8:9], off
	v_add_u32_e32 v19, s6, v19
	global_load_dwordx4 v[18:21], v[18:19], off
	v_mul_u32_u24_e32 v5, 33, v12
	v_add_lshl_u32 v5, v5, v4, 4
	v_add_u32_e32 v13, 0x1080, v5
	v_add_u32_e32 v22, 0x2100, v5
	;; [unrolled: 1-line block ×3, first 2 shown]
	s_waitcnt vmcnt(2)
	ds_write2_b64 v5, v[14:15], v[16:17] offset1:1
	ds_write2_b64 v13, v[0:1], v[2:3] offset1:1
	s_waitcnt vmcnt(1)
	ds_write2_b64 v22, v[8:9], v[10:11] offset1:1
	s_waitcnt vmcnt(0)
	ds_write2_b64 v23, v[18:19], v[20:21] offset1:1
	s_cbranch_execz .LBB128_13
	s_branch .LBB128_30
.LBB128_12:
.LBB128_13:
	v_lshlrev_b32_e32 v0, 4, v4
	v_sub_co_u32_e32 v2, vcc, v6, v0
	s_ashr_i32 s23, s22, 31
	s_nop 0
	v_subbrev_co_u32_e32 v3, vcc, 0, v7, vcc
	v_lshl_add_u64 v[2:3], s[22:23], 4, v[2:3]
	v_lshl_add_u64 v[2:3], v[2:3], 0, -16
	v_cmp_gt_i32_e32 vcc, s22, v4
	v_mul_u32_u24_e32 v1, 33, v12
	v_cmp_le_i32_e64 s[6:7], s22, v12
	v_cndmask_b32_e32 v3, v3, v7, vcc
	v_cndmask_b32_e32 v2, v2, v6, vcc
	v_add_lshl_u32 v1, v1, v4, 4
	s_and_saveexec_b64 s[8:9], s[6:7]
	s_xor_b64 s[6:7], exec, s[8:9]
	s_cbranch_execz .LBB128_15
; %bb.14:
	v_mov_b32_e32 v8, 0
	v_mov_b32_e32 v9, v8
	;; [unrolled: 1-line block ×4, first 2 shown]
	ds_write_b128 v1, v[8:11]
.LBB128_15:
	s_andn2_saveexec_b64 s[6:7], s[6:7]
	s_cbranch_execz .LBB128_17
; %bb.16:
	global_load_dwordx4 v[8:11], v[2:3], off
	s_waitcnt vmcnt(0)
	ds_write2_b64 v1, v[8:9], v[10:11] offset1:1
.LBB128_17:
	s_or_b64 exec, exec, s[6:7]
	v_add_u32_e32 v5, 8, v12
	v_cmp_le_i32_e64 s[6:7], s22, v5
	s_and_saveexec_b64 s[8:9], s[6:7]
	s_xor_b64 s[6:7], exec, s[8:9]
	s_cbranch_execz .LBB128_19
; %bb.18:
	v_mul_u32_u24_e32 v5, 33, v5
	v_mov_b32_e32 v8, 0
	v_add_lshl_u32 v5, v5, v4, 4
	v_mov_b32_e32 v9, v8
	v_mov_b32_e32 v10, v8
	;; [unrolled: 1-line block ×3, first 2 shown]
	ds_write_b128 v5, v[8:11]
.LBB128_19:
	s_andn2_saveexec_b64 s[6:7], s[6:7]
	s_cbranch_execz .LBB128_21
; %bb.20:
	s_lshl_b64 s[8:9], s[40:41], 7
	v_lshl_add_u64 v[8:9], v[2:3], 0, s[8:9]
	global_load_dwordx4 v[8:11], v[8:9], off
	v_add_u32_e32 v5, 0x1080, v1
	s_waitcnt vmcnt(0)
	ds_write2_b64 v5, v[8:9], v[10:11] offset1:1
.LBB128_21:
	s_or_b64 exec, exec, s[6:7]
	v_add_u32_e32 v5, 16, v12
	v_cmp_le_i32_e64 s[6:7], s22, v5
	s_and_saveexec_b64 s[8:9], s[6:7]
	s_xor_b64 s[6:7], exec, s[8:9]
	s_cbranch_execz .LBB128_23
; %bb.22:
	v_mov_b32_e32 v8, 0
	v_mov_b32_e32 v9, v8
	;; [unrolled: 1-line block ×4, first 2 shown]
	ds_write_b128 v1, v[8:11] offset:8448
.LBB128_23:
	s_andn2_saveexec_b64 s[6:7], s[6:7]
	s_cbranch_execz .LBB128_25
; %bb.24:
	s_lshl_b64 s[8:9], s[40:41], 8
	v_lshl_add_u64 v[8:9], v[2:3], 0, s[8:9]
	global_load_dwordx4 v[8:11], v[8:9], off
	v_add_u32_e32 v5, 0x2100, v1
	s_waitcnt vmcnt(0)
	ds_write2_b64 v5, v[8:9], v[10:11] offset1:1
.LBB128_25:
	s_or_b64 exec, exec, s[6:7]
	v_add_u32_e32 v5, 24, v12
	v_cmp_le_i32_e64 s[6:7], s22, v5
	s_and_saveexec_b64 s[8:9], s[6:7]
	s_xor_b64 s[6:7], exec, s[8:9]
	s_cbranch_execz .LBB128_27
; %bb.26:
	v_mov_b32_e32 v8, 0
	v_mov_b32_e32 v9, v8
	;; [unrolled: 1-line block ×4, first 2 shown]
	ds_write_b128 v1, v[8:11] offset:12672
                                        ; implicit-def: $vgpr1
.LBB128_27:
	s_andn2_saveexec_b64 s[6:7], s[6:7]
	s_cbranch_execz .LBB128_29
; %bb.28:
	v_mov_b32_e32 v5, 0x180
	v_mad_u64_u32 v[8:9], s[8:9], s40, v5, v[2:3]
	s_mul_i32 s8, s41, 0x180
	s_nop 0
	v_add_u32_e32 v9, s8, v9
	global_load_dwordx4 v[8:11], v[8:9], off
	v_add_u32_e32 v1, 0x3180, v1
	s_waitcnt vmcnt(0)
	ds_write2_b64 v1, v[8:9], v[10:11] offset1:1
.LBB128_29:
	s_or_b64 exec, exec, s[6:7]
	v_mov_b32_e32 v1, 0
	v_lshl_add_u64 v[0:1], v[2:3], 0, v[0:1]
	s_lshl_b64 s[6:7], s[22:23], 4
	v_mov_b32_e32 v2, s7
	v_subrev_co_u32_e64 v0, s[6:7], s6, v0
	s_nop 1
	v_subb_co_u32_e64 v1, s[6:7], v1, v2, s[6:7]
	v_lshl_add_u64 v[0:1], v[0:1], 0, 16
	v_cndmask_b32_e32 v7, v1, v7, vcc
	v_cndmask_b32_e32 v6, v0, v6, vcc
.LBB128_30:
	v_lshlrev_b32_e32 v0, 2, v12
	v_mul_u32_u24_e32 v44, 33, v4
	v_cmp_lt_u32_e64 s[8:9], v0, v4
	v_add_lshl_u32 v5, v0, v44, 4
	s_waitcnt lgkmcnt(0)
	s_barrier
	s_and_saveexec_b64 s[6:7], s[8:9]
	s_cbranch_execz .LBB128_32
; %bb.31:
	v_mul_u32_u24_e32 v1, 0x84, v12
	v_add_lshl_u32 v1, v1, v4, 4
	ds_read_b128 v[8:11], v1
	s_waitcnt lgkmcnt(0)
	ds_write_b128 v5, v[8:11]
.LBB128_32:
	s_or_b64 exec, exec, s[6:7]
	v_or_b32_e32 v1, 1, v0
	v_cmp_lt_u32_e64 s[10:11], v1, v4
	s_and_saveexec_b64 s[6:7], s[10:11]
	s_cbranch_execz .LBB128_34
; %bb.33:
	v_mul_u32_u24_e32 v1, 33, v1
	v_add_lshl_u32 v1, v1, v4, 4
	ds_read_b128 v[8:11], v1
	s_waitcnt lgkmcnt(0)
	ds_write_b128 v5, v[8:11] offset:16
.LBB128_34:
	s_or_b64 exec, exec, s[6:7]
	v_or_b32_e32 v1, 2, v0
	v_cmp_lt_u32_e64 s[12:13], v1, v4
	s_and_saveexec_b64 s[6:7], s[12:13]
	s_cbranch_execz .LBB128_36
; %bb.35:
	v_mul_u32_u24_e32 v1, 33, v1
	v_add_lshl_u32 v1, v1, v4, 4
	ds_read_b128 v[8:11], v1
	s_waitcnt lgkmcnt(0)
	ds_write_b128 v5, v[8:11] offset:32
.LBB128_36:
	s_or_b64 exec, exec, s[6:7]
	v_or_b32_e32 v1, 3, v0
	v_cmp_lt_u32_e64 s[14:15], v1, v4
	v_mad_u32_u24 v1, v1, 33, v4
	v_lshlrev_b32_e32 v13, 4, v1
	s_and_saveexec_b64 s[6:7], s[14:15]
	s_cbranch_execz .LBB128_38
; %bb.37:
	ds_read_b128 v[8:11], v13
	s_waitcnt lgkmcnt(0)
	ds_write_b128 v5, v[8:11] offset:48
.LBB128_38:
	s_or_b64 exec, exec, s[6:7]
	v_mul_u32_u24_e32 v1, 0x84, v12
	v_lshlrev_b32_e32 v16, 4, v0
	s_waitcnt lgkmcnt(0)
	s_barrier
	v_add_lshl_u32 v15, v1, v4, 4
	ds_read_b128 v[0:3], v16 offset:18176
	ds_read_b128 v[8:11], v15
	ds_read_b128 v[18:21], v16 offset:18192
	ds_read_b128 v[22:25], v16 offset:18208
	v_add_u32_e32 v14, 0xfffffbe0, v13
	ds_read_b128 v[26:29], v14
	ds_read_b128 v[30:33], v14 offset:528
	s_waitcnt lgkmcnt(4)
	v_mul_f64 v[34:35], v[2:3], v[10:11]
	v_fma_f64 v[34:35], v[0:1], v[8:9], -v[34:35]
	v_mul_f64 v[0:1], v[0:1], v[10:11]
	v_fmac_f64_e32 v[0:1], v[2:3], v[8:9]
	s_waitcnt lgkmcnt(1)
	v_mul_f64 v[10:11], v[18:19], v[28:29]
	v_add_f64 v[0:1], v[0:1], 0
	v_mul_f64 v[8:9], v[20:21], v[28:29]
	v_fmac_f64_e32 v[10:11], v[20:21], v[26:27]
	v_add_f64 v[2:3], v[34:35], 0
	v_fma_f64 v[8:9], v[18:19], v[26:27], -v[8:9]
	v_add_f64 v[20:21], v[0:1], v[10:11]
	s_waitcnt lgkmcnt(0)
	v_mul_f64 v[0:1], v[24:25], v[32:33]
	v_add_f64 v[18:19], v[2:3], v[8:9]
	v_fma_f64 v[26:27], v[22:23], v[30:31], -v[0:1]
	ds_read_b128 v[0:3], v16 offset:18224
	ds_read_b128 v[8:11], v13
	v_mul_f64 v[22:23], v[22:23], v[32:33]
	v_fmac_f64_e32 v[22:23], v[24:25], v[30:31]
	v_add_f64 v[20:21], v[20:21], v[22:23]
	v_add_f64 v[18:19], v[18:19], v[26:27]
	s_waitcnt lgkmcnt(0)
	v_mul_f64 v[22:23], v[2:3], v[10:11]
	v_mul_f64 v[10:11], v[0:1], v[10:11]
	v_fma_f64 v[22:23], v[0:1], v[8:9], -v[22:23]
	v_fmac_f64_e32 v[10:11], v[2:3], v[8:9]
	v_add_f64 v[0:1], v[18:19], v[22:23]
	v_add_f64 v[2:3], v[20:21], v[10:11]
	v_add_lshl_u32 v45, v12, v44, 4
	s_barrier
	ds_write_b128 v45, v[0:3]
	v_mov_b64_e32 v[0:1], 0
	v_cmp_gt_u32_e64 s[6:7], 32, v43
	v_mov_b64_e32 v[2:3], v[0:1]
	s_waitcnt lgkmcnt(0)
	s_barrier
	s_and_saveexec_b64 s[16:17], s[6:7]
	s_cbranch_execz .LBB128_40
; %bb.39:
	v_lshlrev_b32_e32 v17, 4, v44
	ds_read_b128 v[0:3], v17
	ds_read_b128 v[8:11], v17 offset:16
	ds_read_b128 v[18:21], v17 offset:32
	;; [unrolled: 1-line block ×3, first 2 shown]
	s_waitcnt lgkmcnt(2)
	v_add_f64 v[0:1], v[8:9], v[0:1]
	v_add_f64 v[8:9], v[10:11], v[2:3]
	s_waitcnt lgkmcnt(1)
	v_add_f64 v[10:11], v[0:1], v[18:19]
	ds_read_b128 v[0:3], v17 offset:64
	v_add_f64 v[8:9], v[8:9], v[20:21]
	s_waitcnt lgkmcnt(1)
	v_add_f64 v[18:19], v[10:11], v[22:23]
	v_add_f64 v[22:23], v[8:9], v[24:25]
	ds_read_b128 v[8:11], v17 offset:80
	s_waitcnt lgkmcnt(1)
	v_add_f64 v[24:25], v[18:19], v[0:1]
	ds_read_b128 v[18:21], v17 offset:96
	v_add_f64 v[22:23], v[22:23], v[2:3]
	ds_read_b128 v[0:3], v17 offset:112
	s_waitcnt lgkmcnt(2)
	v_add_f64 v[8:9], v[24:25], v[8:9]
	v_add_f64 v[10:11], v[22:23], v[10:11]
	s_waitcnt lgkmcnt(1)
	v_add_f64 v[8:9], v[8:9], v[18:19]
	v_add_f64 v[10:11], v[10:11], v[20:21]
	;; [unrolled: 3-line block ×3, first 2 shown]
.LBB128_40:
	s_or_b64 exec, exec, s[16:17]
	s_lshl_b64 s[16:17], s[40:41], 9
	v_lshl_add_u64 v[8:9], v[6:7], 0, s[16:17]
	s_mov_b64 s[30:31], 0x200
	v_cndmask_b32_e64 v6, 0, 1, s[20:21]
	v_cmp_ne_u32_e64 s[16:17], 1, v6
	s_andn2_b64 vcc, exec, s[20:21]
	v_lshl_add_u64 v[6:7], v[8:9], 0, s[30:31]
	s_barrier
	s_cbranch_vccnz .LBB128_42
; %bb.41:
	s_lshl_b64 s[20:21], s[40:41], 7
	v_lshl_add_u64 v[10:11], v[8:9], 0, s[20:21]
	v_lshl_add_u64 v[26:27], v[10:11], 0, s[20:21]
	global_load_dwordx4 v[18:21], v[10:11], off offset:512
	global_load_dwordx4 v[22:25], v[26:27], off offset:512
	v_mov_b32_e32 v10, 0x180
	v_mad_u64_u32 v[26:27], s[20:21], s40, v10, v[8:9]
	global_load_dwordx4 v[8:11], v[6:7], off
	s_mul_i32 s20, s41, 0x180
	v_add_u32_e32 v27, s20, v27
	global_load_dwordx4 v[26:29], v[26:27], off offset:512
	v_mul_u32_u24_e32 v17, 33, v12
	v_add_lshl_u32 v17, v17, v4, 4
	v_add_u32_e32 v30, 0x1080, v17
	v_add_u32_e32 v31, 0x2100, v17
	;; [unrolled: 1-line block ×3, first 2 shown]
	s_waitcnt vmcnt(1)
	ds_write2_b64 v17, v[8:9], v[10:11] offset1:1
	ds_write2_b64 v30, v[18:19], v[20:21] offset1:1
	;; [unrolled: 1-line block ×3, first 2 shown]
	s_waitcnt vmcnt(0)
	ds_write2_b64 v32, v[26:27], v[28:29] offset1:1
	s_cbranch_execz .LBB128_43
	s_branch .LBB128_60
.LBB128_42:
.LBB128_43:
	v_lshlrev_b32_e32 v8, 4, v4
	v_sub_co_u32_e32 v10, vcc, v6, v8
	s_ashr_i32 s23, s22, 31
	s_nop 0
	v_subbrev_co_u32_e32 v11, vcc, 0, v7, vcc
	s_movk_i32 s20, 0xfdf0
	v_or_b32_e32 v9, 32, v4
	v_lshl_add_u64 v[10:11], s[22:23], 4, v[10:11]
	s_mov_b32 s21, -1
	v_lshl_add_u64 v[10:11], v[10:11], 0, s[20:21]
	v_cmp_gt_i32_e32 vcc, s22, v9
	s_sub_i32 s30, s22, 32
	v_mul_u32_u24_e32 v9, 33, v12
	v_cndmask_b32_e32 v11, v11, v7, vcc
	v_cndmask_b32_e32 v10, v10, v6, vcc
	v_cmp_le_i32_e64 s[20:21], s30, v12
	v_add_lshl_u32 v9, v9, v4, 4
	s_and_saveexec_b64 s[36:37], s[20:21]
	s_xor_b64 s[20:21], exec, s[36:37]
	s_cbranch_execz .LBB128_45
; %bb.44:
	v_mov_b32_e32 v18, 0
	v_mov_b32_e32 v19, v18
	;; [unrolled: 1-line block ×4, first 2 shown]
	ds_write_b128 v9, v[18:21]
.LBB128_45:
	s_andn2_saveexec_b64 s[20:21], s[20:21]
	s_cbranch_execz .LBB128_47
; %bb.46:
	global_load_dwordx4 v[18:21], v[10:11], off
	s_waitcnt vmcnt(0)
	ds_write2_b64 v9, v[18:19], v[20:21] offset1:1
.LBB128_47:
	s_or_b64 exec, exec, s[20:21]
	v_add_u32_e32 v17, 8, v12
	v_cmp_le_i32_e64 s[20:21], s30, v17
	s_and_saveexec_b64 s[36:37], s[20:21]
	s_xor_b64 s[20:21], exec, s[36:37]
	s_cbranch_execz .LBB128_49
; %bb.48:
	v_mul_u32_u24_e32 v17, 33, v17
	v_mov_b32_e32 v18, 0
	v_add_lshl_u32 v17, v17, v4, 4
	v_mov_b32_e32 v19, v18
	v_mov_b32_e32 v20, v18
	;; [unrolled: 1-line block ×3, first 2 shown]
	ds_write_b128 v17, v[18:21]
.LBB128_49:
	s_andn2_saveexec_b64 s[20:21], s[20:21]
	s_cbranch_execz .LBB128_51
; %bb.50:
	s_lshl_b64 s[36:37], s[40:41], 7
	v_lshl_add_u64 v[18:19], v[10:11], 0, s[36:37]
	global_load_dwordx4 v[18:21], v[18:19], off
	v_add_u32_e32 v17, 0x1080, v9
	s_waitcnt vmcnt(0)
	ds_write2_b64 v17, v[18:19], v[20:21] offset1:1
.LBB128_51:
	s_or_b64 exec, exec, s[20:21]
	v_add_u32_e32 v17, 16, v12
	v_cmp_le_i32_e64 s[20:21], s30, v17
	s_and_saveexec_b64 s[36:37], s[20:21]
	s_xor_b64 s[20:21], exec, s[36:37]
	s_cbranch_execz .LBB128_53
; %bb.52:
	v_mov_b32_e32 v18, 0
	v_mov_b32_e32 v19, v18
	;; [unrolled: 1-line block ×4, first 2 shown]
	ds_write_b128 v9, v[18:21] offset:8448
.LBB128_53:
	s_andn2_saveexec_b64 s[20:21], s[20:21]
	s_cbranch_execz .LBB128_55
; %bb.54:
	s_lshl_b64 s[36:37], s[40:41], 8
	v_lshl_add_u64 v[18:19], v[10:11], 0, s[36:37]
	global_load_dwordx4 v[18:21], v[18:19], off
	v_add_u32_e32 v17, 0x2100, v9
	s_waitcnt vmcnt(0)
	ds_write2_b64 v17, v[18:19], v[20:21] offset1:1
.LBB128_55:
	s_or_b64 exec, exec, s[20:21]
	v_add_u32_e32 v17, 24, v12
	v_cmp_le_i32_e64 s[20:21], s30, v17
	s_and_saveexec_b64 s[30:31], s[20:21]
	s_xor_b64 s[20:21], exec, s[30:31]
	s_cbranch_execz .LBB128_57
; %bb.56:
	v_mov_b32_e32 v18, 0
	v_mov_b32_e32 v19, v18
	;; [unrolled: 1-line block ×4, first 2 shown]
	ds_write_b128 v9, v[18:21] offset:12672
                                        ; implicit-def: $vgpr9
.LBB128_57:
	s_andn2_saveexec_b64 s[20:21], s[20:21]
	s_cbranch_execz .LBB128_59
; %bb.58:
	v_mov_b32_e32 v17, 0x180
	v_mad_u64_u32 v[18:19], s[30:31], s40, v17, v[10:11]
	s_mul_i32 s30, s41, 0x180
	s_nop 0
	v_add_u32_e32 v19, s30, v19
	global_load_dwordx4 v[18:21], v[18:19], off
	v_add_u32_e32 v9, 0x3180, v9
	s_waitcnt vmcnt(0)
	ds_write2_b64 v9, v[18:19], v[20:21] offset1:1
.LBB128_59:
	s_or_b64 exec, exec, s[20:21]
	v_mov_b32_e32 v9, 0
	v_lshl_add_u64 v[8:9], v[10:11], 0, v[8:9]
	s_lshl_b64 s[20:21], s[22:23], 4
	v_mov_b32_e32 v10, s21
	v_subrev_co_u32_e64 v8, s[20:21], s20, v8
	s_nop 1
	v_subb_co_u32_e64 v9, s[20:21], v9, v10, s[20:21]
	s_mov_b64 s[20:21], 0x210
	s_nop 0
	v_lshl_add_u64 v[8:9], v[8:9], 0, s[20:21]
	v_cndmask_b32_e32 v7, v9, v7, vcc
	v_cndmask_b32_e32 v6, v8, v6, vcc
.LBB128_60:
	v_add_u32_e32 v10, 0x4700, v16
	v_add_u32_e32 v8, 0x210, v14
	s_lshl_b64 s[20:21], s[40:41], 5
	s_waitcnt lgkmcnt(0)
	s_barrier
	s_and_saveexec_b64 s[30:31], s[8:9]
	s_cbranch_execnz .LBB128_69
; %bb.61:
	s_or_b64 exec, exec, s[30:31]
	s_and_saveexec_b64 s[8:9], s[10:11]
	s_cbranch_execnz .LBB128_70
.LBB128_62:
	s_or_b64 exec, exec, s[8:9]
	s_and_saveexec_b64 s[8:9], s[12:13]
	s_cbranch_execnz .LBB128_71
.LBB128_63:
	s_or_b64 exec, exec, s[8:9]
	s_and_saveexec_b64 s[8:9], s[14:15]
	s_cbranch_execz .LBB128_65
.LBB128_64:
	ds_read_b128 v[16:19], v13
	s_waitcnt lgkmcnt(0)
	ds_write_b128 v5, v[16:19] offset:48
.LBB128_65:
	s_or_b64 exec, exec, s[8:9]
	s_waitcnt lgkmcnt(0)
	s_barrier
	ds_read_b128 v[16:19], v10 offset:512
	ds_read_b128 v[20:23], v15
	ds_read_b128 v[24:27], v10 offset:528
	ds_read_b128 v[28:31], v10 offset:544
	;; [unrolled: 1-line block ×3, first 2 shown]
	ds_read_b128 v[46:49], v14
	v_cmp_eq_u32_e64 s[8:9], 1, v12
	s_waitcnt lgkmcnt(4)
	v_mul_f64 v[8:9], v[18:19], v[22:23]
	v_fma_f64 v[8:9], v[16:17], v[20:21], -v[8:9]
	v_mul_f64 v[16:17], v[16:17], v[22:23]
	v_fmac_f64_e32 v[16:17], v[18:19], v[20:21]
	v_add_f64 v[18:19], v[16:17], 0
	s_waitcnt lgkmcnt(0)
	v_mul_f64 v[16:17], v[26:27], v[48:49]
	v_mul_f64 v[22:23], v[24:25], v[48:49]
	v_add_f64 v[8:9], v[8:9], 0
	v_fma_f64 v[20:21], v[24:25], v[46:47], -v[16:17]
	ds_read_b128 v[14:17], v14 offset:528
	v_fmac_f64_e32 v[22:23], v[26:27], v[46:47]
	v_add_f64 v[8:9], v[8:9], v[20:21]
	v_add_f64 v[22:23], v[18:19], v[22:23]
	ds_read_b128 v[18:21], v13
	s_waitcnt lgkmcnt(1)
	v_mul_f64 v[24:25], v[30:31], v[16:17]
	v_mul_f64 v[16:17], v[28:29], v[16:17]
	v_fma_f64 v[24:25], v[28:29], v[14:15], -v[24:25]
	v_fmac_f64_e32 v[16:17], v[30:31], v[14:15]
	s_waitcnt lgkmcnt(0)
	v_mul_f64 v[14:15], v[34:35], v[20:21]
	v_mul_f64 v[20:21], v[32:33], v[20:21]
	v_add_f64 v[8:9], v[8:9], v[24:25]
	v_add_f64 v[16:17], v[22:23], v[16:17]
	v_fma_f64 v[14:15], v[32:33], v[18:19], -v[14:15]
	v_fmac_f64_e32 v[20:21], v[34:35], v[18:19]
	v_add_f64 v[14:15], v[8:9], v[14:15]
	v_add_f64 v[16:17], v[16:17], v[20:21]
	s_barrier
	ds_write_b128 v45, v[14:17]
	s_waitcnt lgkmcnt(0)
	s_barrier
	s_and_saveexec_b64 s[10:11], s[8:9]
	s_cbranch_execz .LBB128_67
; %bb.66:
	v_lshlrev_b32_e32 v11, 4, v44
	ds_read_b128 v[0:3], v11
	ds_read_b128 v[14:17], v11 offset:16
	ds_read_b128 v[18:21], v11 offset:32
	;; [unrolled: 1-line block ×3, first 2 shown]
	s_waitcnt lgkmcnt(2)
	v_add_f64 v[0:1], v[14:15], v[0:1]
	v_add_f64 v[8:9], v[16:17], v[2:3]
	s_waitcnt lgkmcnt(1)
	v_add_f64 v[14:15], v[0:1], v[18:19]
	ds_read_b128 v[0:3], v11 offset:64
	v_add_f64 v[8:9], v[8:9], v[20:21]
	s_waitcnt lgkmcnt(1)
	v_add_f64 v[18:19], v[14:15], v[22:23]
	ds_read_b128 v[14:17], v11 offset:80
	;; [unrolled: 4-line block ×3, first 2 shown]
	v_add_f64 v[8:9], v[8:9], v[2:3]
	ds_read_b128 v[0:3], v11 offset:112
	s_waitcnt lgkmcnt(2)
	v_add_f64 v[14:15], v[22:23], v[14:15]
	v_add_f64 v[8:9], v[8:9], v[16:17]
	s_waitcnt lgkmcnt(1)
	v_add_f64 v[14:15], v[14:15], v[18:19]
	v_add_f64 v[8:9], v[8:9], v[20:21]
	;; [unrolled: 3-line block ×3, first 2 shown]
.LBB128_67:
	s_or_b64 exec, exec, s[10:11]
	s_lshl_b64 s[10:11], s[20:21], 4
	v_mov_b32_e32 v8, s11
	v_subrev_co_u32_e64 v40, s[10:11], s10, v6
	s_and_b64 vcc, exec, s[16:17]
	s_nop 0
	v_subb_co_u32_e64 v41, s[10:11], v7, v8, s[10:11]
	s_barrier
	s_cbranch_vccnz .LBB128_72
; %bb.68:
	s_lshl_b64 s[10:11], s[40:41], 7
	v_lshl_add_u64 v[6:7], v[40:41], 0, s[10:11]
	v_mov_b32_e32 v8, 0x180
	global_load_dwordx4 v[18:21], v[40:41], off
	global_load_dwordx4 v[22:25], v[6:7], off
	v_lshl_add_u64 v[6:7], v[6:7], 0, s[10:11]
	v_mad_u64_u32 v[8:9], s[10:11], s40, v8, v[40:41]
	s_mul_i32 s10, s41, 0x180
	s_nop 0
	v_add_u32_e32 v9, s10, v9
	global_load_dwordx4 v[26:29], v[6:7], off
	global_load_dwordx4 v[30:33], v[8:9], off
	v_mad_u32_u24 v11, v12, 33, v4
	v_add_u32_e32 v13, 8, v12
	v_add_u32_e32 v14, 16, v12
	;; [unrolled: 1-line block ×3, first 2 shown]
	v_lshlrev_b32_e32 v8, 4, v11
	v_add_u32_e32 v7, 0x108, v11
	v_add_u32_e32 v6, 0x210, v11
	;; [unrolled: 1-line block ×6, first 2 shown]
	s_waitcnt vmcnt(3)
	ds_write2_b64 v8, v[18:19], v[20:21] offset1:1
	s_waitcnt vmcnt(2)
	ds_write2_b64 v9, v[22:23], v[24:25] offset1:1
	;; [unrolled: 2-line block ×4, first 2 shown]
	s_cbranch_execz .LBB128_73
	s_branch .LBB128_90
.LBB128_69:
	ds_read_b128 v[16:19], v15
	s_waitcnt lgkmcnt(0)
	ds_write_b128 v5, v[16:19]
	s_or_b64 exec, exec, s[30:31]
	s_and_saveexec_b64 s[8:9], s[10:11]
	s_cbranch_execz .LBB128_62
.LBB128_70:
	ds_read_b128 v[16:19], v14
	s_waitcnt lgkmcnt(0)
	ds_write_b128 v5, v[16:19] offset:16
	s_or_b64 exec, exec, s[8:9]
	s_and_saveexec_b64 s[8:9], s[12:13]
	s_cbranch_execz .LBB128_63
.LBB128_71:
	ds_read_b128 v[16:19], v8
	s_waitcnt lgkmcnt(0)
	ds_write_b128 v5, v[16:19] offset:32
	s_or_b64 exec, exec, s[8:9]
	s_and_saveexec_b64 s[8:9], s[14:15]
	s_cbranch_execnz .LBB128_64
	s_branch .LBB128_65
.LBB128_72:
                                        ; implicit-def: $vgpr11
                                        ; implicit-def: $vgpr13
                                        ; implicit-def: $vgpr7
                                        ; implicit-def: $vgpr14
                                        ; implicit-def: $vgpr6
                                        ; implicit-def: $vgpr15
                                        ; implicit-def: $vgpr16
.LBB128_73:
	v_lshlrev_b32_e32 v6, 4, v4
	v_sub_co_u32_e32 v8, vcc, v40, v6
	s_ashr_i32 s23, s22, 31
	s_nop 0
	v_subbrev_co_u32_e32 v9, vcc, 0, v41, vcc
	s_movk_i32 s10, 0xfdf0
	v_or_b32_e32 v7, 32, v4
	v_lshl_add_u64 v[8:9], s[22:23], 4, v[8:9]
	s_mov_b32 s11, -1
	v_lshl_add_u64 v[8:9], v[8:9], 0, s[10:11]
	v_cmp_gt_i32_e32 vcc, s22, v7
	v_mad_u32_u24 v11, v12, 33, v4
	v_cmp_le_i32_e64 s[10:11], s22, v12
	v_cndmask_b32_e32 v9, v9, v41, vcc
	v_cndmask_b32_e32 v8, v8, v40, vcc
	v_lshlrev_b32_e32 v7, 4, v11
	s_and_saveexec_b64 s[12:13], s[10:11]
	s_xor_b64 s[10:11], exec, s[12:13]
	s_cbranch_execz .LBB128_75
; %bb.74:
	v_mov_b32_e32 v14, 0
	v_mov_b32_e32 v15, v14
	;; [unrolled: 1-line block ×4, first 2 shown]
	ds_write_b128 v7, v[14:17]
.LBB128_75:
	s_andn2_saveexec_b64 s[10:11], s[10:11]
	s_cbranch_execz .LBB128_77
; %bb.76:
	global_load_dwordx4 v[14:17], v[8:9], off
	s_waitcnt vmcnt(0)
	ds_write2_b64 v7, v[14:15], v[16:17] offset1:1
.LBB128_77:
	s_or_b64 exec, exec, s[10:11]
	v_add_u32_e32 v13, 8, v12
	v_cmp_le_i32_e64 s[10:11], s22, v13
	s_and_saveexec_b64 s[12:13], s[10:11]
	s_xor_b64 s[10:11], exec, s[12:13]
	s_cbranch_execz .LBB128_79
; %bb.78:
	v_mul_u32_u24_e32 v14, 33, v13
	v_add_lshl_u32 v18, v14, v4, 4
	v_mov_b32_e32 v14, 0
	v_mov_b32_e32 v15, v14
	;; [unrolled: 1-line block ×4, first 2 shown]
	ds_write_b128 v18, v[14:17]
.LBB128_79:
	s_andn2_saveexec_b64 s[10:11], s[10:11]
	s_cbranch_execz .LBB128_81
; %bb.80:
	s_lshl_b64 s[12:13], s[40:41], 7
	v_lshl_add_u64 v[14:15], v[8:9], 0, s[12:13]
	global_load_dwordx4 v[14:17], v[14:15], off
	v_add_u32_e32 v18, 0x1080, v7
	s_waitcnt vmcnt(0)
	ds_write2_b64 v18, v[14:15], v[16:17] offset1:1
.LBB128_81:
	s_or_b64 exec, exec, s[10:11]
	v_add_u32_e32 v14, 16, v12
	v_cmp_le_i32_e64 s[10:11], s22, v14
	s_and_saveexec_b64 s[12:13], s[10:11]
	s_xor_b64 s[10:11], exec, s[12:13]
	s_cbranch_execz .LBB128_83
; %bb.82:
	v_mul_u32_u24_e32 v15, 33, v14
	v_mov_b32_e32 v16, 0
	v_add_lshl_u32 v4, v15, v4, 4
	v_mov_b32_e32 v17, v16
	v_mov_b32_e32 v18, v16
	v_mov_b32_e32 v19, v16
	ds_write_b128 v4, v[16:19]
.LBB128_83:
	s_andn2_saveexec_b64 s[10:11], s[10:11]
	s_cbranch_execz .LBB128_85
; %bb.84:
	s_lshl_b64 s[12:13], s[40:41], 8
	v_lshl_add_u64 v[16:17], v[8:9], 0, s[12:13]
	global_load_dwordx4 v[16:19], v[16:17], off
	v_add_u32_e32 v4, 0x2100, v7
	s_waitcnt vmcnt(0)
	ds_write2_b64 v4, v[16:17], v[18:19] offset1:1
.LBB128_85:
	s_or_b64 exec, exec, s[10:11]
	v_add_u32_e32 v15, 24, v12
	v_cmp_le_i32_e64 s[10:11], s22, v15
                                        ; implicit-def: $vgpr16
	s_and_saveexec_b64 s[12:13], s[10:11]
	s_xor_b64 s[10:11], exec, s[12:13]
	s_cbranch_execz .LBB128_87
; %bb.86:
	v_mov_b32_e32 v18, 0
	v_add_u32_e32 v16, 0x318, v11
	v_mov_b32_e32 v19, v18
	v_mov_b32_e32 v20, v18
	;; [unrolled: 1-line block ×3, first 2 shown]
	ds_write_b128 v7, v[18:21] offset:12672
                                        ; implicit-def: $vgpr7
.LBB128_87:
	s_andn2_saveexec_b64 s[10:11], s[10:11]
	s_cbranch_execz .LBB128_89
; %bb.88:
	v_mov_b32_e32 v4, 0x180
	v_mad_u64_u32 v[16:17], s[12:13], s40, v4, v[8:9]
	s_mul_i32 s12, s41, 0x180
	s_nop 0
	v_add_u32_e32 v17, s12, v17
	global_load_dwordx4 v[18:21], v[16:17], off
	v_add_u32_e32 v16, 0x318, v11
	v_add_u32_e32 v4, 0x3180, v7
	s_waitcnt vmcnt(0)
	ds_write2_b64 v4, v[18:19], v[20:21] offset1:1
.LBB128_89:
	s_or_b64 exec, exec, s[10:11]
	v_mov_b32_e32 v7, 0
	v_lshl_add_u64 v[6:7], v[8:9], 0, v[6:7]
	s_lshl_b64 s[10:11], s[22:23], 4
	v_mov_b32_e32 v4, s11
	v_subrev_co_u32_e64 v6, s[10:11], s10, v6
	s_nop 1
	v_subb_co_u32_e64 v7, s[10:11], v7, v4, s[10:11]
	s_mov_b64 s[10:11], 0x210
	s_nop 0
	v_lshl_add_u64 v[6:7], v[6:7], 0, s[10:11]
	v_cndmask_b32_e32 v41, v7, v41, vcc
	v_cndmask_b32_e32 v40, v6, v40, vcc
	v_add_u32_e32 v7, 0x108, v11
	v_add_u32_e32 v6, 0x210, v11
.LBB128_90:
	v_lshlrev_b32_e32 v4, 4, v11
	v_lshlrev_b32_e32 v8, 4, v12
	s_waitcnt lgkmcnt(0)
	s_barrier
	ds_read_b128 v[46:49], v8 offset:18176
	ds_read_b128 v[50:53], v4
	v_lshlrev_b32_e32 v4, 4, v7
	v_lshlrev_b32_e32 v7, 4, v13
	ds_read_b128 v[54:57], v7 offset:18176
	ds_read_b128 v[58:61], v4
	v_lshlrev_b32_e32 v4, 4, v6
	v_lshlrev_b32_e32 v6, 4, v14
	ds_read_b128 v[62:65], v6 offset:18176
	ds_read_b128 v[66:69], v4
	v_lshlrev_b32_e32 v6, 4, v15
	s_waitcnt lgkmcnt(4)
	v_mul_f64 v[8:9], v[48:49], v[52:53]
	v_lshlrev_b32_e32 v4, 4, v16
	ds_read_b128 v[70:73], v6 offset:18176
	ds_read_b128 v[74:77], v4
	v_fma_f64 v[8:9], v[46:47], v[50:51], -v[8:9]
	s_waitcnt lgkmcnt(4)
	v_mul_f64 v[12:13], v[56:57], v[60:61]
	v_add_f64 v[8:9], v[8:9], 0
	v_fma_f64 v[12:13], v[54:55], v[58:59], -v[12:13]
	v_add_f64 v[6:7], v[8:9], v[12:13]
	s_waitcnt lgkmcnt(2)
	v_mul_f64 v[8:9], v[64:65], v[68:69]
	v_fma_f64 v[8:9], v[62:63], v[66:67], -v[8:9]
	v_add_f64 v[6:7], v[6:7], v[8:9]
	s_waitcnt lgkmcnt(0)
	v_mul_f64 v[8:9], v[72:73], v[76:77]
	v_fma_f64 v[8:9], v[70:71], v[74:75], -v[8:9]
	v_add_f64 v[78:79], v[6:7], v[8:9]
	ds_read_b128 v[28:31], v5
	ds_read_b128 v[20:23], v5 offset:16
	ds_read_b128 v[12:15], v5 offset:32
	;; [unrolled: 1-line block ×7, first 2 shown]
	v_mul_f64 v[46:47], v[46:47], v[52:53]
	v_fmac_f64_e32 v[46:47], v[48:49], v[50:51]
	v_mul_f64 v[48:49], v[54:55], v[60:61]
	v_add_f64 v[46:47], v[46:47], 0
	v_fmac_f64_e32 v[48:49], v[56:57], v[58:59]
	v_add_f64 v[46:47], v[46:47], v[48:49]
	v_mul_f64 v[48:49], v[62:63], v[68:69]
	v_fmac_f64_e32 v[48:49], v[64:65], v[66:67]
	v_add_f64 v[46:47], v[46:47], v[48:49]
	v_mul_f64 v[48:49], v[70:71], v[76:77]
	v_fmac_f64_e32 v[48:49], v[72:73], v[74:75]
	v_add_f64 v[80:81], v[46:47], v[48:49]
	s_waitcnt lgkmcnt(0)
	s_barrier
	ds_write_b128 v45, v[78:81]
	s_waitcnt lgkmcnt(0)
	s_barrier
	s_and_saveexec_b64 s[10:11], s[8:9]
	s_cbranch_execz .LBB128_92
; %bb.91:
	v_lshlrev_b32_e32 v62, 4, v44
	ds_read_b128 v[46:49], v62
	ds_read_b128 v[50:53], v62 offset:16
	ds_read_b128 v[54:57], v62 offset:32
	;; [unrolled: 1-line block ×3, first 2 shown]
	s_waitcnt lgkmcnt(3)
	v_add_f64 v[0:1], v[0:1], v[46:47]
	v_add_f64 v[2:3], v[2:3], v[48:49]
	s_waitcnt lgkmcnt(2)
	v_add_f64 v[0:1], v[0:1], v[50:51]
	v_add_f64 v[46:47], v[2:3], v[52:53]
	s_waitcnt lgkmcnt(1)
	v_add_f64 v[48:49], v[0:1], v[54:55]
	ds_read_b128 v[0:3], v62 offset:64
	v_add_f64 v[46:47], v[46:47], v[56:57]
	s_waitcnt lgkmcnt(1)
	v_add_f64 v[50:51], v[48:49], v[58:59]
	v_add_f64 v[54:55], v[46:47], v[60:61]
	ds_read_b128 v[46:49], v62 offset:80
	s_waitcnt lgkmcnt(1)
	v_add_f64 v[56:57], v[50:51], v[0:1]
	ds_read_b128 v[50:53], v62 offset:96
	v_add_f64 v[54:55], v[54:55], v[2:3]
	ds_read_b128 v[0:3], v62 offset:112
	s_waitcnt lgkmcnt(2)
	v_add_f64 v[46:47], v[56:57], v[46:47]
	v_add_f64 v[48:49], v[54:55], v[48:49]
	s_waitcnt lgkmcnt(1)
	v_add_f64 v[46:47], v[46:47], v[50:51]
	v_add_f64 v[48:49], v[48:49], v[52:53]
	;; [unrolled: 3-line block ×3, first 2 shown]
.LBB128_92:
	s_or_b64 exec, exec, s[10:11]
	v_mul_f64 v[46:47], v[30:31], v[34:35]
	v_fma_f64 v[46:47], v[28:29], v[32:33], -v[46:47]
	v_mul_f64 v[28:29], v[28:29], v[34:35]
	v_fmac_f64_e32 v[28:29], v[30:31], v[32:33]
	v_mul_f64 v[32:33], v[22:23], v[26:27]
	v_fma_f64 v[32:33], v[20:21], v[24:25], -v[32:33]
	v_mul_f64 v[20:21], v[20:21], v[26:27]
	v_fmac_f64_e32 v[20:21], v[22:23], v[24:25]
	v_mul_f64 v[24:25], v[14:15], v[18:19]
	v_add_f64 v[30:31], v[46:47], 0
	v_add_f64 v[28:29], v[28:29], 0
	v_fma_f64 v[24:25], v[12:13], v[16:17], -v[24:25]
	v_mul_f64 v[12:13], v[12:13], v[18:19]
	v_add_f64 v[22:23], v[30:31], v[32:33]
	v_add_f64 v[20:21], v[28:29], v[20:21]
	v_fmac_f64_e32 v[12:13], v[14:15], v[16:17]
	v_mul_f64 v[16:17], v[6:7], v[10:11]
	v_mul_f64 v[10:11], v[4:5], v[10:11]
	v_add_f64 v[14:15], v[22:23], v[24:25]
	v_add_f64 v[12:13], v[20:21], v[12:13]
	v_fma_f64 v[16:17], v[4:5], v[8:9], -v[16:17]
	v_fmac_f64_e32 v[10:11], v[6:7], v[8:9]
	v_add_f64 v[4:5], v[14:15], v[16:17]
	v_add_f64 v[6:7], v[12:13], v[10:11]
	s_barrier
	ds_write_b128 v45, v[4:7]
	s_waitcnt lgkmcnt(0)
	s_barrier
	s_and_saveexec_b64 s[8:9], s[6:7]
	s_cbranch_execz .LBB128_94
; %bb.93:
	v_lshlrev_b32_e32 v20, 4, v44
	ds_read_b128 v[4:7], v20
	ds_read_b128 v[8:11], v20 offset:16
	ds_read_b128 v[12:15], v20 offset:32
	;; [unrolled: 1-line block ×3, first 2 shown]
	s_waitcnt lgkmcnt(3)
	v_add_f64 v[0:1], v[0:1], v[4:5]
	v_add_f64 v[2:3], v[2:3], v[6:7]
	s_waitcnt lgkmcnt(2)
	v_add_f64 v[0:1], v[0:1], v[8:9]
	v_add_f64 v[4:5], v[2:3], v[10:11]
	s_waitcnt lgkmcnt(1)
	v_add_f64 v[6:7], v[0:1], v[12:13]
	ds_read_b128 v[0:3], v20 offset:64
	v_add_f64 v[4:5], v[4:5], v[14:15]
	s_waitcnt lgkmcnt(1)
	v_add_f64 v[8:9], v[6:7], v[16:17]
	v_add_f64 v[12:13], v[4:5], v[18:19]
	ds_read_b128 v[4:7], v20 offset:80
	s_waitcnt lgkmcnt(1)
	v_add_f64 v[14:15], v[8:9], v[0:1]
	ds_read_b128 v[8:11], v20 offset:96
	v_add_f64 v[12:13], v[12:13], v[2:3]
	ds_read_b128 v[0:3], v20 offset:112
	s_waitcnt lgkmcnt(2)
	v_add_f64 v[4:5], v[14:15], v[4:5]
	v_add_f64 v[6:7], v[12:13], v[6:7]
	s_waitcnt lgkmcnt(1)
	v_add_f64 v[4:5], v[4:5], v[8:9]
	v_add_f64 v[6:7], v[6:7], v[10:11]
	;; [unrolled: 3-line block ×3, first 2 shown]
.LBB128_94:
	s_or_b64 exec, exec, s[8:9]
	s_load_dwordx2 s[0:1], s[0:1], 0x78
	s_mul_hi_u32 s6, s33, s3
	s_mul_i32 s35, s35, s3
	s_add_i32 s6, s6, s35
	s_mul_i32 s3, s33, s3
	s_mul_i32 s6, s6, s34
	s_mul_hi_u32 s7, s3, s34
	s_add_i32 s7, s7, s6
	s_mul_i32 s6, s3, s34
	s_lshl_b64 s[6:7], s[6:7], 4
	s_waitcnt lgkmcnt(0)
	s_add_u32 s3, s0, s6
	s_mul_i32 s0, s2, s33
	s_addc_u32 s7, s1, s7
	s_ashr_i32 s1, s0, 31
	s_lshl_b64 s[0:1], s[0:1], 4
	s_add_u32 s6, s3, s0
	v_cmp_le_i32_e32 vcc, s22, v42
	s_addc_u32 s7, s7, s1
	s_and_b64 vcc, s[28:29], vcc
	s_cmp_lt_i32 s2, 1
	v_lshlrev_b32_e32 v134, 4, v42
	s_barrier
	s_cbranch_scc1 .LBB128_101
; %bb.95:
	s_mul_i32 s0, s24, s49
	s_mul_hi_u32 s1, s24, s48
	s_add_i32 s0, s1, s0
	s_mul_i32 s1, s25, s48
	s_add_i32 s1, s0, s1
	s_mul_i32 s0, s24, s48
	s_lshl_b64 s[0:1], s[0:1], 4
	v_mov_b32_e32 v4, s1
	v_subrev_co_u32_e64 v136, s[0:1], s0, v36
	v_lshlrev_b32_e32 v9, 2, v142
	s_nop 0
	v_subb_co_u32_e64 v137, s[0:1], v37, v4, s[0:1]
	v_mov_b32_e32 v4, s27
	v_subrev_co_u32_e64 v6, s[0:1], s26, v40
	s_ashr_i32 s23, s22, 31
	s_nop 0
	v_subb_co_u32_e64 v7, s[0:1], v41, v4, s[0:1]
	v_lshlrev_b64 v[4:5], 4, v[38:39]
	v_sub_co_u32_e64 v4, s[0:1], v6, v4
	v_mov_b32_e32 v139, 0
	s_nop 0
	v_subb_co_u32_e64 v5, s[0:1], v7, v5, s[0:1]
	v_mad_u64_u32 v[6:7], s[0:1], v9, s40, 0
	v_mov_b32_e32 v8, v7
	v_mad_u64_u32 v[8:9], s[0:1], v9, s41, v[8:9]
	v_mov_b32_e32 v7, v8
	v_lshl_add_u64 v[4:5], v[6:7], 4, v[4:5]
	s_movk_i32 s0, 0xfdf0
	v_lshl_add_u64 v[6:7], s[22:23], 4, v[4:5]
	s_mov_b32 s1, -1
	v_lshl_add_u64 v[6:7], v[6:7], 0, s[0:1]
	v_mov_b32_e32 v135, v139
	s_movk_i32 s0, 0xfe00
	v_lshl_add_u64 v[4:5], v[4:5], 0, v[134:135]
	s_mov_b32 s1, -1
	v_lshl_add_u64 v[4:5], v[4:5], 0, s[0:1]
	v_cndmask_b32_e32 v8, v4, v6, vcc
	v_and_b32_e32 v4, 48, v42
	v_and_b32_e32 v10, 15, v42
	v_cndmask_b32_e32 v9, v5, v7, vcc
	v_lshlrev_b32_e32 v5, 4, v4
	s_movk_i32 s3, 0x430
	v_mad_u32_u24 v144, v10, s3, v5
	v_or_b32_e32 v5, 0xf0, v134
	v_mad_u32_u24 v145, v10, s3, v5
	v_lshlrev_b32_e32 v5, 2, v43
	v_and_b32_e32 v5, 0x7ffc0, v5
	v_mad_u32_u24 v146, v10, s3, v5
	v_mov_b32_e32 v5, 0x4300
	v_lshl_add_u32 v147, v142, 6, v5
	v_and_b32_e32 v5, 0x1fff0, v43
	s_movk_i32 s8, 0x10c0
	v_mad_u32_u24 v149, v10, s3, v5
	s_mul_i32 s3, s41, 0xd0
	s_mul_hi_u32 s10, s40, 0xd0
	v_add_u32_e32 v135, 0x4300, v134
	v_add_u32_e32 v143, 0x4700, v134
	v_cmp_gt_u32_e64 s[0:1], 64, v43
	v_mad_u32_u24 v148, v142, s8, v134
	s_lshl_b64 s[8:9], s[40:41], 4
	s_add_i32 s11, s10, s3
	s_mul_i32 s10, s40, 0xd0
	v_or_b32_e32 v150, v4, v10
	s_mov_b32 s3, 0
	s_branch .LBB128_97
.LBB128_96:                             ;   in Loop: Header=BB128_97 Depth=1
	s_or_b64 exec, exec, s[12:13]
	v_mul_f64 v[152:153], v[6:7], v[22:23]
	v_fma_f64 v[152:153], v[4:5], v[20:21], -v[152:153]
	v_mul_f64 v[4:5], v[4:5], v[22:23]
	v_mul_f64 v[22:23], v[10:11], v[42:43]
	v_add_f64 v[0:1], v[0:1], v[152:153]
	v_fma_f64 v[22:23], v[8:9], v[40:41], -v[22:23]
	v_add_f64 v[0:1], v[0:1], v[22:23]
	v_mul_f64 v[22:23], v[14:15], v[46:47]
	v_fma_f64 v[22:23], v[12:13], v[44:45], -v[22:23]
	v_add_f64 v[0:1], v[0:1], v[22:23]
	v_mul_f64 v[22:23], v[18:19], v[50:51]
	v_fmac_f64_e32 v[4:5], v[6:7], v[20:21]
	v_fma_f64 v[22:23], v[16:17], v[48:49], -v[22:23]
	v_add_f64 v[2:3], v[2:3], v[4:5]
	v_mul_f64 v[4:5], v[26:27], v[70:71]
	v_add_f64 v[0:1], v[0:1], v[22:23]
	v_fma_f64 v[4:5], v[24:25], v[68:69], -v[4:5]
	v_add_f64 v[0:1], v[0:1], v[4:5]
	v_mul_f64 v[4:5], v[30:31], v[82:83]
	v_fma_f64 v[4:5], v[28:29], v[80:81], -v[4:5]
	v_add_f64 v[0:1], v[0:1], v[4:5]
	v_mul_f64 v[4:5], v[38:39], v[78:79]
	;; [unrolled: 3-line block ×3, first 2 shown]
	v_fma_f64 v[4:5], v[32:33], v[72:73], -v[4:5]
	v_mul_f64 v[8:9], v[8:9], v[42:43]
	v_add_f64 v[0:1], v[0:1], v[4:5]
	v_mul_f64 v[4:5], v[66:67], v[102:103]
	v_mul_f64 v[12:13], v[12:13], v[46:47]
	v_fmac_f64_e32 v[8:9], v[10:11], v[40:41]
	v_fma_f64 v[4:5], v[64:65], v[100:101], -v[4:5]
	v_mul_f64 v[16:17], v[16:17], v[50:51]
	v_add_f64 v[2:3], v[2:3], v[8:9]
	v_fmac_f64_e32 v[12:13], v[14:15], v[44:45]
	v_add_f64 v[0:1], v[0:1], v[4:5]
	v_mul_f64 v[4:5], v[62:63], v[118:119]
	v_add_f64 v[2:3], v[2:3], v[12:13]
	v_fmac_f64_e32 v[16:17], v[18:19], v[48:49]
	v_mul_f64 v[6:7], v[24:25], v[70:71]
	v_fma_f64 v[4:5], v[60:61], v[116:117], -v[4:5]
	v_add_f64 v[2:3], v[2:3], v[16:17]
	v_mul_f64 v[8:9], v[28:29], v[82:83]
	v_fmac_f64_e32 v[6:7], v[26:27], v[68:69]
	v_add_f64 v[0:1], v[0:1], v[4:5]
	v_mul_f64 v[4:5], v[58:59], v[114:115]
	v_mul_f64 v[10:11], v[36:37], v[78:79]
	v_add_f64 v[2:3], v[2:3], v[6:7]
	v_fmac_f64_e32 v[8:9], v[30:31], v[80:81]
	v_fma_f64 v[4:5], v[56:57], v[112:113], -v[4:5]
	v_mul_f64 v[12:13], v[32:33], v[74:75]
	v_add_f64 v[2:3], v[2:3], v[8:9]
	v_fmac_f64_e32 v[10:11], v[38:39], v[76:77]
	v_add_f64 v[0:1], v[0:1], v[4:5]
	v_mul_f64 v[4:5], v[54:55], v[110:111]
	v_add_f64 v[2:3], v[2:3], v[10:11]
	v_fmac_f64_e32 v[12:13], v[34:35], v[72:73]
	v_mul_f64 v[6:7], v[64:65], v[102:103]
	v_fma_f64 v[4:5], v[52:53], v[108:109], -v[4:5]
	v_add_f64 v[2:3], v[2:3], v[12:13]
	v_mul_f64 v[8:9], v[60:61], v[118:119]
	v_add_f64 v[0:1], v[0:1], v[4:5]
	v_fmac_f64_e32 v[6:7], v[66:67], v[100:101]
	v_mul_f64 v[4:5], v[86:87], v[106:107]
	v_mul_f64 v[10:11], v[56:57], v[114:115]
	v_add_f64 v[2:3], v[2:3], v[6:7]
	v_fmac_f64_e32 v[8:9], v[62:63], v[116:117]
	v_fma_f64 v[4:5], v[84:85], v[104:105], -v[4:5]
	v_mul_f64 v[12:13], v[52:53], v[110:111]
	v_add_f64 v[2:3], v[2:3], v[8:9]
	v_fmac_f64_e32 v[10:11], v[58:59], v[112:113]
	v_add_f64 v[0:1], v[0:1], v[4:5]
	v_mul_f64 v[4:5], v[90:91], v[122:123]
	v_add_f64 v[2:3], v[2:3], v[10:11]
	v_fmac_f64_e32 v[12:13], v[54:55], v[108:109]
	v_mul_f64 v[6:7], v[84:85], v[106:107]
	v_fma_f64 v[4:5], v[88:89], v[120:121], -v[4:5]
	v_add_f64 v[2:3], v[2:3], v[12:13]
	v_mul_f64 v[8:9], v[88:89], v[122:123]
	v_add_f64 v[0:1], v[0:1], v[4:5]
	v_mul_f64 v[4:5], v[94:95], v[126:127]
	v_fmac_f64_e32 v[6:7], v[86:87], v[104:105]
	v_fma_f64 v[4:5], v[92:93], v[124:125], -v[4:5]
	v_mul_f64 v[10:11], v[92:93], v[126:127]
	v_fmac_f64_e32 v[8:9], v[90:91], v[120:121]
	v_add_f64 v[2:3], v[2:3], v[6:7]
	v_add_f64 v[0:1], v[0:1], v[4:5]
	v_mul_f64 v[4:5], v[98:99], v[130:131]
	v_mul_f64 v[12:13], v[96:97], v[130:131]
	v_fmac_f64_e32 v[10:11], v[94:95], v[124:125]
	v_add_f64 v[2:3], v[2:3], v[8:9]
	v_fma_f64 v[4:5], v[96:97], v[128:129], -v[4:5]
	v_fmac_f64_e32 v[12:13], v[98:99], v[128:129]
	v_add_f64 v[2:3], v[2:3], v[10:11]
	s_add_i32 s3, s3, 64
	s_add_i32 s2, s2, -1
	v_add_f64 v[0:1], v[0:1], v[4:5]
	v_add_f64 v[2:3], v[2:3], v[12:13]
	s_cmp_eq_u32 s2, 0
	v_lshl_add_u64 v[8:9], v[140:141], 0, s[10:11]
	s_barrier
	s_cbranch_scc1 .LBB128_101
.LBB128_97:                             ; =>This Inner Loop Header: Depth=1
	s_and_saveexec_b64 s[12:13], s[18:19]
	s_cbranch_execz .LBB128_99
; %bb.98:                               ;   in Loop: Header=BB128_97 Depth=1
	s_mul_i32 s14, s3, s49
	s_mul_hi_u32 s15, s3, s48
	s_add_i32 s15, s15, s14
	s_mul_i32 s14, s3, s48
	v_lshl_add_u64 v[4:5], s[14:15], 4, v[136:137]
	global_load_dwordx4 v[4:7], v[4:5], off
	s_waitcnt vmcnt(0)
	ds_write2_b64 v135, v[4:5], v[6:7] offset1:1
.LBB128_99:                             ;   in Loop: Header=BB128_97 Depth=1
	s_or_b64 exec, exec, s[12:13]
	s_waitcnt lgkmcnt(0)
	s_barrier
	global_load_dwordx4 v[4:7], v[8:9], off
	v_lshl_add_u64 v[12:13], v[8:9], 0, s[8:9]
	global_load_dwordx4 v[8:11], v[12:13], off
	v_lshl_add_u64 v[16:17], v[12:13], 0, s[8:9]
	;; [unrolled: 2-line block ×3, first 2 shown]
	global_load_dwordx4 v[16:19], v[28:29], off
	ds_read_b128 v[24:27], v143
	ds_read_b128 v[20:23], v147
	v_lshl_add_u64 v[36:37], v[28:29], 0, s[10:11]
	s_waitcnt vmcnt(3) lgkmcnt(1)
	v_mul_f64 v[28:29], v[6:7], v[26:27]
	v_mul_f64 v[30:31], v[4:5], v[26:27]
	v_fma_f64 v[28:29], v[4:5], v[24:25], -v[28:29]
	v_fmac_f64_e32 v[30:31], v[6:7], v[24:25]
	s_waitcnt vmcnt(2)
	v_mul_f64 v[34:35], v[10:11], v[26:27]
	v_mul_f64 v[32:33], v[8:9], v[26:27]
	ds_write_b128 v148, v[28:31]
	v_fma_f64 v[30:31], v[8:9], v[24:25], -v[34:35]
	v_fmac_f64_e32 v[32:33], v[10:11], v[24:25]
	s_waitcnt vmcnt(1)
	v_mul_f64 v[28:29], v[14:15], v[26:27]
	v_mul_f64 v[34:35], v[12:13], v[26:27]
	ds_read_b128 v[40:43], v147 offset:16
	ds_write_b128 v148, v[30:33] offset:1072
	v_fma_f64 v[32:33], v[12:13], v[24:25], -v[28:29]
	v_fmac_f64_e32 v[34:35], v[14:15], v[24:25]
	s_waitcnt vmcnt(0)
	v_mul_f64 v[30:31], v[18:19], v[26:27]
	v_mul_f64 v[28:29], v[16:17], v[26:27]
	ds_read_b128 v[44:47], v147 offset:32
	ds_write_b128 v148, v[32:35] offset:2144
	v_fma_f64 v[26:27], v[16:17], v[24:25], -v[30:31]
	v_fmac_f64_e32 v[28:29], v[18:19], v[24:25]
	v_lshl_add_u64 v[32:33], v[36:37], 0, s[8:9]
	ds_read_b128 v[48:51], v147 offset:48
	ds_write_b128 v148, v[26:29] offset:3216
	s_waitcnt lgkmcnt(0)
	s_barrier
	ds_read_b128 v[128:131], v146
	ds_read_b128 v[124:127], v146 offset:16
	ds_read_b128 v[120:123], v146 offset:32
	;; [unrolled: 1-line block ×3, first 2 shown]
	s_waitcnt lgkmcnt(0)
	s_barrier
	global_load_dwordx4 v[24:27], v[36:37], off
	global_load_dwordx4 v[28:31], v[32:33], off
	v_lshl_add_u64 v[32:33], v[32:33], 0, s[8:9]
	v_lshl_add_u64 v[56:57], v[32:33], 0, s[8:9]
	global_load_dwordx4 v[36:39], v[32:33], off
	ds_read_b128 v[52:55], v143
	ds_read_b128 v[68:71], v147 offset:256
	global_load_dwordx4 v[32:35], v[56:57], off
	v_lshl_add_u64 v[88:89], v[56:57], 0, s[10:11]
	v_add_f64 v[128:129], v[128:129], 0
	v_add_f64 v[130:131], v[130:131], 0
	;; [unrolled: 1-line block ×8, first 2 shown]
	s_waitcnt vmcnt(3) lgkmcnt(1)
	v_mul_f64 v[58:59], v[26:27], v[54:55]
	v_mul_f64 v[56:57], v[24:25], v[54:55]
	s_waitcnt vmcnt(2)
	v_mul_f64 v[62:63], v[30:31], v[54:55]
	v_mul_f64 v[60:61], v[28:29], v[54:55]
	s_waitcnt vmcnt(1)
	v_mul_f64 v[66:67], v[38:39], v[54:55]
	v_mul_f64 v[64:65], v[36:37], v[54:55]
	v_fmac_f64_e32 v[56:57], v[26:27], v[52:53]
	s_waitcnt vmcnt(0)
	v_mul_f64 v[72:73], v[34:35], v[54:55]
	v_mul_f64 v[86:87], v[32:33], v[54:55]
	v_fma_f64 v[54:55], v[24:25], v[52:53], -v[58:59]
	v_fma_f64 v[58:59], v[28:29], v[52:53], -v[62:63]
	v_fmac_f64_e32 v[60:61], v[30:31], v[52:53]
	ds_write_b128 v148, v[54:57]
	v_fma_f64 v[62:63], v[36:37], v[52:53], -v[66:67]
	v_fmac_f64_e32 v[64:65], v[38:39], v[52:53]
	ds_read_b128 v[80:83], v147 offset:272
	ds_write_b128 v148, v[58:61] offset:1072
	v_fma_f64 v[84:85], v[32:33], v[52:53], -v[72:73]
	v_fmac_f64_e32 v[86:87], v[34:35], v[52:53]
	ds_read_b128 v[76:79], v147 offset:288
	ds_write_b128 v148, v[62:65] offset:2144
	v_lshl_add_u64 v[52:53], v[88:89], 0, s[8:9]
	ds_read_b128 v[72:75], v147 offset:304
	ds_write_b128 v148, v[84:87] offset:3216
	s_waitcnt lgkmcnt(0)
	s_barrier
	ds_read_b128 v[152:155], v146
	ds_read_b128 v[156:159], v146 offset:16
	ds_read_b128 v[160:163], v146 offset:32
	ds_read_b128 v[164:167], v146 offset:48
	s_waitcnt lgkmcnt(0)
	s_barrier
	global_load_dwordx4 v[60:63], v[52:53], off
	v_lshl_add_u64 v[52:53], v[52:53], 0, s[8:9]
	global_load_dwordx4 v[64:67], v[88:89], off
	v_lshl_add_u64 v[88:89], v[52:53], 0, s[8:9]
	global_load_dwordx4 v[56:59], v[52:53], off
	ds_read_b128 v[84:87], v143
	ds_read_b128 v[100:103], v147 offset:512
	global_load_dwordx4 v[52:55], v[88:89], off
	v_lshl_add_u64 v[98:99], v[88:89], 0, s[10:11]
	v_add_f64 v[104:105], v[152:153], 0
	v_add_f64 v[106:107], v[154:155], 0
	;; [unrolled: 1-line block ×8, first 2 shown]
	s_waitcnt vmcnt(3) lgkmcnt(1)
	v_mul_f64 v[94:95], v[62:63], v[86:87]
	v_mul_f64 v[92:93], v[60:61], v[86:87]
	s_waitcnt vmcnt(2)
	v_mul_f64 v[90:91], v[66:67], v[86:87]
	v_mul_f64 v[88:89], v[64:65], v[86:87]
	s_waitcnt vmcnt(1)
	v_mul_f64 v[108:109], v[58:59], v[86:87]
	v_mul_f64 v[96:97], v[56:57], v[86:87]
	v_fmac_f64_e32 v[88:89], v[66:67], v[84:85]
	s_waitcnt vmcnt(0)
	v_mul_f64 v[110:111], v[54:55], v[86:87]
	v_mul_f64 v[170:171], v[52:53], v[86:87]
	v_fma_f64 v[86:87], v[64:65], v[84:85], -v[90:91]
	v_fma_f64 v[90:91], v[60:61], v[84:85], -v[94:95]
	v_fmac_f64_e32 v[92:93], v[62:63], v[84:85]
	ds_write_b128 v148, v[86:89]
	v_fma_f64 v[94:95], v[56:57], v[84:85], -v[108:109]
	v_fmac_f64_e32 v[96:97], v[58:59], v[84:85]
	ds_read_b128 v[116:119], v147 offset:528
	ds_write_b128 v148, v[90:93] offset:1072
	v_lshl_add_u64 v[92:93], v[98:99], 0, s[8:9]
	v_fma_f64 v[168:169], v[52:53], v[84:85], -v[110:111]
	v_fmac_f64_e32 v[170:171], v[54:55], v[84:85]
	ds_read_b128 v[112:115], v147 offset:544
	ds_write_b128 v148, v[94:97] offset:2144
	v_lshl_add_u64 v[96:97], v[92:93], 0, s[8:9]
	ds_read_b128 v[108:111], v147 offset:560
	ds_write_b128 v148, v[168:171] offset:3216
	s_waitcnt lgkmcnt(0)
	s_barrier
	ds_read_b128 v[168:171], v146
	ds_read_b128 v[172:175], v146 offset:16
	ds_read_b128 v[176:179], v146 offset:32
	;; [unrolled: 1-line block ×3, first 2 shown]
	s_waitcnt lgkmcnt(0)
	s_barrier
	global_load_dwordx4 v[84:87], v[98:99], off
	v_lshl_add_u64 v[140:141], v[96:97], 0, s[8:9]
	global_load_dwordx4 v[88:91], v[92:93], off
	v_add_f64 v[124:125], v[168:169], 0
	global_load_dwordx4 v[92:95], v[96:97], off
	v_add_f64 v[126:127], v[170:171], 0
	global_load_dwordx4 v[96:99], v[140:141], off
	ds_read_b128 v[120:123], v143
	ds_read_b128 v[104:107], v147 offset:768
	v_add_f64 v[124:125], v[124:125], v[172:173]
	v_add_f64 v[126:127], v[126:127], v[174:175]
	;; [unrolled: 1-line block ×6, first 2 shown]
	s_waitcnt vmcnt(3) lgkmcnt(1)
	v_mul_f64 v[126:127], v[86:87], v[122:123]
	v_mul_f64 v[124:125], v[84:85], v[122:123]
	s_waitcnt vmcnt(2)
	v_mul_f64 v[130:131], v[90:91], v[122:123]
	v_mul_f64 v[128:129], v[88:89], v[122:123]
	s_waitcnt vmcnt(1)
	;; [unrolled: 3-line block ×3, first 2 shown]
	v_mul_f64 v[164:165], v[98:99], v[122:123]
	v_mul_f64 v[166:167], v[96:97], v[122:123]
	v_fma_f64 v[122:123], v[84:85], v[120:121], -v[126:127]
	v_fmac_f64_e32 v[124:125], v[86:87], v[120:121]
	v_fma_f64 v[126:127], v[88:89], v[120:121], -v[130:131]
	v_fmac_f64_e32 v[128:129], v[90:91], v[120:121]
	ds_write_b128 v148, v[122:125]
	v_fma_f64 v[160:161], v[92:93], v[120:121], -v[160:161]
	v_fmac_f64_e32 v[162:163], v[94:95], v[120:121]
	v_fma_f64 v[164:165], v[96:97], v[120:121], -v[164:165]
	v_fmac_f64_e32 v[166:167], v[98:99], v[120:121]
	ds_read_b128 v[120:123], v147 offset:784
	ds_write_b128 v148, v[126:129] offset:1072
	ds_read_b128 v[124:127], v147 offset:800
	ds_write_b128 v148, v[160:163] offset:2144
	;; [unrolled: 2-line block ×3, first 2 shown]
	s_waitcnt lgkmcnt(0)
	s_barrier
	ds_read_b128 v[160:163], v146
	ds_read_b128 v[164:167], v146 offset:16
	ds_read_b128 v[168:171], v146 offset:32
	;; [unrolled: 1-line block ×3, first 2 shown]
	s_waitcnt lgkmcnt(0)
	s_barrier
	ds_write_b128 v149, v[184:187]
	ds_write_b128 v149, v[152:155] offset:256
	ds_write_b128 v149, v[156:159] offset:512
	v_add_f64 v[152:153], v[160:161], 0
	v_add_f64 v[154:155], v[162:163], 0
	;; [unrolled: 1-line block ×8, first 2 shown]
	ds_write_b128 v149, v[152:155] offset:768
	s_waitcnt lgkmcnt(0)
	s_barrier
	s_and_saveexec_b64 s[12:13], s[0:1]
	s_cbranch_execz .LBB128_96
; %bb.100:                              ;   in Loop: Header=BB128_97 Depth=1
	ds_read_b128 v[152:155], v144
	ds_read_b128 v[156:159], v144 offset:16
	ds_read_b128 v[160:163], v144 offset:32
	;; [unrolled: 1-line block ×3, first 2 shown]
	v_add_u32_e32 v138, s3, v150
	s_waitcnt lgkmcnt(2)
	v_add_f64 v[152:153], v[156:157], v[152:153]
	v_add_f64 v[156:157], v[158:159], v[154:155]
	s_waitcnt lgkmcnt(1)
	v_add_f64 v[158:159], v[152:153], v[160:161]
	ds_read_b128 v[152:155], v144 offset:64
	v_add_f64 v[160:161], v[156:157], v[162:163]
	s_waitcnt lgkmcnt(1)
	v_add_f64 v[162:163], v[158:159], v[164:165]
	ds_read_b128 v[156:159], v144 offset:80
	;; [unrolled: 4-line block ×9, first 2 shown]
	v_add_f64 v[154:155], v[164:165], v[154:155]
	s_waitcnt lgkmcnt(1)
	v_add_f64 v[156:157], v[152:153], v[156:157]
	v_add_f64 v[164:165], v[154:155], v[158:159]
	ds_read_b128 v[152:155], v144 offset:208
	s_waitcnt lgkmcnt(1)
	v_add_f64 v[166:167], v[156:157], v[160:161]
	ds_read_b128 v[156:159], v144 offset:224
	v_add_f64 v[164:165], v[164:165], v[162:163]
	ds_read_b128 v[160:163], v145
	s_waitcnt lgkmcnt(2)
	v_add_f64 v[152:153], v[166:167], v[152:153]
	v_add_f64 v[154:155], v[164:165], v[154:155]
	s_waitcnt lgkmcnt(1)
	v_add_f64 v[152:153], v[152:153], v[156:157]
	v_add_f64 v[154:155], v[154:155], v[158:159]
	;; [unrolled: 3-line block ×3, first 2 shown]
	v_lshl_add_u64 v[156:157], v[138:139], 4, s[6:7]
	global_store_dwordx4 v[156:157], v[152:155], off
	s_branch .LBB128_96
.LBB128_101:
	s_movk_i32 s0, 0x430
	v_mad_u32_u24 v4, v142, s0, v134
	s_or_b64 s[0:1], s[4:5], vcc
	s_xor_b64 s[0:1], s[0:1], -1
	ds_write_b128 v4, v[0:3]
	s_waitcnt lgkmcnt(0)
	s_barrier
	s_and_saveexec_b64 s[2:3], s[0:1]
	s_cbranch_execz .LBB128_103
; %bb.102:
	ds_read_b128 v[0:3], v134 offset:1072
	ds_read_b128 v[4:7], v134
	ds_read_b128 v[8:11], v134 offset:2144
	ds_read_b128 v[12:15], v134 offset:3216
	s_waitcnt lgkmcnt(2)
	v_add_f64 v[0:1], v[0:1], v[4:5]
	v_add_f64 v[2:3], v[2:3], v[6:7]
	s_waitcnt lgkmcnt(1)
	v_add_f64 v[0:1], v[0:1], v[8:9]
	v_add_f64 v[2:3], v[2:3], v[10:11]
	;; [unrolled: 3-line block ×3, first 2 shown]
	v_lshl_add_u64 v[4:5], v[132:133], 4, s[6:7]
	global_store_dwordx4 v[4:5], v[0:3], off
.LBB128_103:
	s_endpgm
	.section	.rodata,"a",@progbits
	.p2align	6, 0x0
	.amdhsa_kernel _ZL26rocblas_hemvn_kernel_lowerILb0ELi64ELi4ELi33ELi32ELi16El19rocblas_complex_numIdEPKS1_PS1_EviT6_lT7_lT5_lS6_lS7_lS5_lT8_i
		.amdhsa_group_segment_fixed_size 19200
		.amdhsa_private_segment_fixed_size 0
		.amdhsa_kernarg_size 392
		.amdhsa_user_sgpr_count 2
		.amdhsa_user_sgpr_dispatch_ptr 0
		.amdhsa_user_sgpr_queue_ptr 0
		.amdhsa_user_sgpr_kernarg_segment_ptr 1
		.amdhsa_user_sgpr_dispatch_id 0
		.amdhsa_user_sgpr_kernarg_preload_length 0
		.amdhsa_user_sgpr_kernarg_preload_offset 0
		.amdhsa_user_sgpr_private_segment_size 0
		.amdhsa_uses_dynamic_stack 0
		.amdhsa_enable_private_segment 0
		.amdhsa_system_sgpr_workgroup_id_x 1
		.amdhsa_system_sgpr_workgroup_id_y 0
		.amdhsa_system_sgpr_workgroup_id_z 1
		.amdhsa_system_sgpr_workgroup_info 0
		.amdhsa_system_vgpr_workitem_id 1
		.amdhsa_next_free_vgpr 188
		.amdhsa_next_free_sgpr 52
		.amdhsa_accum_offset 188
		.amdhsa_reserve_vcc 1
		.amdhsa_float_round_mode_32 0
		.amdhsa_float_round_mode_16_64 0
		.amdhsa_float_denorm_mode_32 3
		.amdhsa_float_denorm_mode_16_64 3
		.amdhsa_dx10_clamp 1
		.amdhsa_ieee_mode 1
		.amdhsa_fp16_overflow 0
		.amdhsa_tg_split 0
		.amdhsa_exception_fp_ieee_invalid_op 0
		.amdhsa_exception_fp_denorm_src 0
		.amdhsa_exception_fp_ieee_div_zero 0
		.amdhsa_exception_fp_ieee_overflow 0
		.amdhsa_exception_fp_ieee_underflow 0
		.amdhsa_exception_fp_ieee_inexact 0
		.amdhsa_exception_int_div_zero 0
	.end_amdhsa_kernel
	.section	.text._ZL26rocblas_hemvn_kernel_lowerILb0ELi64ELi4ELi33ELi32ELi16El19rocblas_complex_numIdEPKS1_PS1_EviT6_lT7_lT5_lS6_lS7_lS5_lT8_i,"axG",@progbits,_ZL26rocblas_hemvn_kernel_lowerILb0ELi64ELi4ELi33ELi32ELi16El19rocblas_complex_numIdEPKS1_PS1_EviT6_lT7_lT5_lS6_lS7_lS5_lT8_i,comdat
.Lfunc_end128:
	.size	_ZL26rocblas_hemvn_kernel_lowerILb0ELi64ELi4ELi33ELi32ELi16El19rocblas_complex_numIdEPKS1_PS1_EviT6_lT7_lT5_lS6_lS7_lS5_lT8_i, .Lfunc_end128-_ZL26rocblas_hemvn_kernel_lowerILb0ELi64ELi4ELi33ELi32ELi16El19rocblas_complex_numIdEPKS1_PS1_EviT6_lT7_lT5_lS6_lS7_lS5_lT8_i
                                        ; -- End function
	.section	.AMDGPU.csdata,"",@progbits
; Kernel info:
; codeLenInByte = 8924
; NumSgprs: 58
; NumVgprs: 188
; NumAgprs: 0
; TotalNumVgprs: 188
; ScratchSize: 0
; MemoryBound: 0
; FloatMode: 240
; IeeeMode: 1
; LDSByteSize: 19200 bytes/workgroup (compile time only)
; SGPRBlocks: 7
; VGPRBlocks: 23
; NumSGPRsForWavesPerEU: 58
; NumVGPRsForWavesPerEU: 188
; AccumOffset: 188
; Occupancy: 2
; WaveLimiterHint : 0
; COMPUTE_PGM_RSRC2:SCRATCH_EN: 0
; COMPUTE_PGM_RSRC2:USER_SGPR: 2
; COMPUTE_PGM_RSRC2:TRAP_HANDLER: 0
; COMPUTE_PGM_RSRC2:TGID_X_EN: 1
; COMPUTE_PGM_RSRC2:TGID_Y_EN: 0
; COMPUTE_PGM_RSRC2:TGID_Z_EN: 1
; COMPUTE_PGM_RSRC2:TIDIG_COMP_CNT: 1
; COMPUTE_PGM_RSRC3_GFX90A:ACCUM_OFFSET: 46
; COMPUTE_PGM_RSRC3_GFX90A:TG_SPLIT: 0
	.section	.text._ZL26rocblas_hemvn_kernel_lowerILb0ELi64ELi4ELi33ELi32ELi16Ei19rocblas_complex_numIdEPKS1_PS1_EviT6_lT7_lT5_lS6_lS7_lS5_lT8_i,"axG",@progbits,_ZL26rocblas_hemvn_kernel_lowerILb0ELi64ELi4ELi33ELi32ELi16Ei19rocblas_complex_numIdEPKS1_PS1_EviT6_lT7_lT5_lS6_lS7_lS5_lT8_i,comdat
	.globl	_ZL26rocblas_hemvn_kernel_lowerILb0ELi64ELi4ELi33ELi32ELi16Ei19rocblas_complex_numIdEPKS1_PS1_EviT6_lT7_lT5_lS6_lS7_lS5_lT8_i ; -- Begin function _ZL26rocblas_hemvn_kernel_lowerILb0ELi64ELi4ELi33ELi32ELi16Ei19rocblas_complex_numIdEPKS1_PS1_EviT6_lT7_lT5_lS6_lS7_lS5_lT8_i
	.p2align	8
	.type	_ZL26rocblas_hemvn_kernel_lowerILb0ELi64ELi4ELi33ELi32ELi16Ei19rocblas_complex_numIdEPKS1_PS1_EviT6_lT7_lT5_lS6_lS7_lS5_lT8_i,@function
_ZL26rocblas_hemvn_kernel_lowerILb0ELi64ELi4ELi33ELi32ELi16Ei19rocblas_complex_numIdEPKS1_PS1_EviT6_lT7_lT5_lS6_lS7_lS5_lT8_i: ; @_ZL26rocblas_hemvn_kernel_lowerILb0ELi64ELi4ELi33ELi32ELi16Ei19rocblas_complex_numIdEPKS1_PS1_EviT6_lT7_lT5_lS6_lS7_lS5_lT8_i
; %bb.0:
	s_load_dwordx2 s[4:5], s[0:1], 0x94
	s_add_u32 s12, s0, 0x88
	s_addc_u32 s13, s1, 0
	s_waitcnt lgkmcnt(0)
	s_lshr_b32 s6, s4, 16
	s_and_b32 s4, s4, 0xffff
	s_and_b32 s5, s5, 0xffff
	s_mul_i32 s4, s6, s4
	s_mul_i32 s4, s4, s5
	s_cmpk_lg_i32 s4, 0x100
	s_cbranch_scc1 .LBB129_103
; %bb.1:
	s_load_dwordx4 s[16:19], s[0:1], 0x8
	s_load_dwordx4 s[4:7], s[0:1], 0x58
	s_load_dwordx2 s[10:11], s[0:1], 0x68
	s_waitcnt lgkmcnt(0)
	v_cmp_neq_f64_e64 s[8:9], s[16:17], 0
	v_cmp_neq_f64_e64 s[14:15], s[18:19], 0
	s_or_b64 s[8:9], s[8:9], s[14:15]
	s_mov_b64 s[14:15], -1
	s_and_b64 vcc, exec, s[8:9]
	s_cbranch_vccnz .LBB129_3
; %bb.2:
	v_cmp_neq_f64_e64 s[6:7], s[6:7], 1.0
	v_cmp_neq_f64_e64 s[10:11], s[10:11], 0
	s_or_b64 s[14:15], s[6:7], s[10:11]
.LBB129_3:
	s_andn2_b64 vcc, exec, s[14:15]
	s_cbranch_vccnz .LBB129_103
; %bb.4:
	s_andn2_b64 vcc, exec, s[8:9]
	s_cbranch_vccnz .LBB129_103
; %bb.5:
	s_load_dword s37, s[12:13], 0x0
	s_load_dword s36, s[0:1], 0x0
	s_load_dwordx4 s[8:11], s[0:1], 0x38
	s_load_dwordx2 s[6:7], s[0:1], 0x48
	s_load_dword s33, s[0:1], 0x50
	s_mul_i32 s5, s3, s5
	s_mul_hi_u32 s12, s3, s4
	s_add_i32 s5, s12, s5
	s_mul_i32 s4, s3, s4
	s_lshl_b64 s[4:5], s[4:5], 4
	s_waitcnt lgkmcnt(0)
	s_add_u32 s10, s10, s4
	s_addc_u32 s11, s11, s5
	s_lshl_b64 s[4:5], s[6:7], 4
	s_add_u32 s4, s10, s4
	s_addc_u32 s5, s11, s5
	s_ashr_i32 s38, s36, 31
	s_lshr_b32 s7, s38, 26
	v_and_b32_e32 v42, 0x3ff, v0
	s_lshl_b32 s26, s2, 6
	s_add_i32 s7, s36, s7
	s_andn2_b32 s7, s7, 63
	v_add_u32_e32 v132, s26, v42
	v_bfe_u32 v133, v0, 10, 10
	s_add_i32 s6, s37, -1
	s_sub_i32 s7, s36, s7
	v_mul_lo_u32 v0, v132, s33
	s_cmp_eq_u32 s2, s6
	v_ashrrev_i32_e32 v1, 31, v0
	s_cselect_b32 s22, s7, 0
	v_lshl_add_u64 v[36:37], v[0:1], 4, s[4:5]
	v_cmp_ne_u32_e64 s[4:5], 0, v133
	v_cmp_eq_u32_e64 s[18:19], 0, v133
	s_and_saveexec_b64 s[6:7], s[18:19]
	s_cbranch_execz .LBB129_10
; %bb.6:
	s_cmp_lg_u32 s22, 0
	s_cselect_b64 s[10:11], -1, 0
	v_cmp_le_i32_e32 vcc, s22, v42
	v_mov_b32_e32 v0, 0x4700
	s_and_b64 s[10:11], s[10:11], vcc
	v_lshl_add_u32 v0, v42, 4, v0
	s_and_saveexec_b64 s[12:13], s[10:11]
	s_xor_b64 s[10:11], exec, s[12:13]
	s_cbranch_execz .LBB129_8
; %bb.7:
	v_mov_b32_e32 v2, 0
	v_mov_b32_e32 v3, v2
	;; [unrolled: 1-line block ×4, first 2 shown]
	ds_write_b128 v0, v[2:5]
                                        ; implicit-def: $vgpr0
.LBB129_8:
	s_andn2_saveexec_b64 s[10:11], s[10:11]
	s_cbranch_execz .LBB129_10
; %bb.9:
	global_load_dwordx4 v[2:5], v[36:37], off
	s_waitcnt vmcnt(0)
	ds_write2_b64 v0, v[2:3], v[4:5] offset1:1
.LBB129_10:
	s_or_b64 exec, exec, s[6:7]
	s_load_dwordx4 s[12:15], s[0:1], 0x20
	s_load_dword s24, s[0:1], 0x30
	s_mul_i32 s6, s3, s9
	s_mul_hi_u32 s7, s3, s8
	s_add_i32 s7, s7, s6
	s_mul_i32 s6, s3, s8
	s_lshl_b64 s[6:7], s[6:7], 4
	s_waitcnt lgkmcnt(0)
	s_add_u32 s8, s12, s6
	s_addc_u32 s9, s13, s7
	s_lshl_b64 s[6:7], s[14:15], 4
	s_add_u32 s8, s8, s6
	s_addc_u32 s9, s9, s7
	s_ashr_i32 s27, s26, 31
	v_lshl_add_u32 v43, v133, 6, v42
	s_lshl_b64 s[6:7], s[26:27], 4
	v_and_b32_e32 v4, 31, v42
	v_lshrrev_b32_e32 v5, 5, v43
	s_add_u32 s8, s8, s6
	s_addc_u32 s9, s9, s7
	v_mad_u64_u32 v[38:39], s[6:7], v5, s24, v[4:5]
	s_mul_i32 s6, s26, s24
	s_ashr_i32 s7, s6, 31
	s_lshl_b64 s[28:29], s[6:7], 4
	s_add_u32 s6, s28, s8
	s_addc_u32 s7, s29, s9
	s_cmp_lg_u32 s22, 0
	v_ashrrev_i32_e32 v39, 31, v38
	s_cselect_b64 s[30:31], -1, 0
	s_cmp_eq_u32 s22, 0
	v_lshl_add_u64 v[6:7], v[38:39], 4, s[6:7]
	s_cselect_b64 s[20:21], -1, 0
	s_and_b64 vcc, exec, s[30:31]
	s_cbranch_vccnz .LBB129_12
; %bb.11:
	s_lshl_b32 s6, s24, 3
	s_ashr_i32 s7, s6, 31
	s_ashr_i32 s25, s24, 31
	global_load_dwordx4 v[0:3], v[6:7], off
	v_lshl_add_u64 v[12:13], s[6:7], 4, v[6:7]
	global_load_dwordx4 v[8:11], v[12:13], off
	s_lshl_b64 s[6:7], s[24:25], 7
	v_lshl_add_u64 v[16:17], v[12:13], 0, s[6:7]
	global_load_dwordx4 v[12:15], v[16:17], off
	v_lshl_add_u64 v[16:17], v[16:17], 0, s[6:7]
	global_load_dwordx4 v[16:19], v[16:17], off
	v_mul_u32_u24_e32 v20, 33, v5
	v_add_lshl_u32 v20, v20, v4, 4
	v_add_u32_e32 v21, 0x1080, v20
	v_add_u32_e32 v22, 0x2100, v20
	;; [unrolled: 1-line block ×3, first 2 shown]
	s_waitcnt vmcnt(3)
	ds_write2_b64 v20, v[0:1], v[2:3] offset1:1
	s_waitcnt vmcnt(2)
	ds_write2_b64 v21, v[8:9], v[10:11] offset1:1
	;; [unrolled: 2-line block ×4, first 2 shown]
	s_cbranch_execz .LBB129_13
	s_branch .LBB129_30
.LBB129_12:
.LBB129_13:
	v_lshlrev_b32_e32 v0, 4, v4
	v_sub_co_u32_e32 v2, vcc, v6, v0
	s_ashr_i32 s23, s22, 31
	s_nop 0
	v_subbrev_co_u32_e32 v3, vcc, 0, v7, vcc
	v_lshl_add_u64 v[2:3], s[22:23], 4, v[2:3]
	v_lshl_add_u64 v[2:3], v[2:3], 0, -16
	v_cmp_gt_i32_e32 vcc, s22, v4
	v_mul_u32_u24_e32 v1, 33, v5
	v_cmp_le_i32_e64 s[6:7], s22, v5
	v_cndmask_b32_e32 v3, v3, v7, vcc
	v_cndmask_b32_e32 v2, v2, v6, vcc
	v_add_lshl_u32 v1, v1, v4, 4
	s_and_saveexec_b64 s[8:9], s[6:7]
	s_xor_b64 s[6:7], exec, s[8:9]
	s_cbranch_execz .LBB129_15
; %bb.14:
	v_mov_b32_e32 v8, 0
	v_mov_b32_e32 v9, v8
	;; [unrolled: 1-line block ×4, first 2 shown]
	ds_write_b128 v1, v[8:11]
.LBB129_15:
	s_andn2_saveexec_b64 s[6:7], s[6:7]
	s_cbranch_execz .LBB129_17
; %bb.16:
	global_load_dwordx4 v[8:11], v[2:3], off
	s_waitcnt vmcnt(0)
	ds_write2_b64 v1, v[8:9], v[10:11] offset1:1
.LBB129_17:
	s_or_b64 exec, exec, s[6:7]
	v_add_u32_e32 v8, 8, v5
	v_cmp_le_i32_e64 s[6:7], s22, v8
	s_and_saveexec_b64 s[8:9], s[6:7]
	s_xor_b64 s[6:7], exec, s[8:9]
	s_cbranch_execz .LBB129_19
; %bb.18:
	v_mul_u32_u24_e32 v8, 33, v8
	v_add_lshl_u32 v12, v8, v4, 4
	v_mov_b32_e32 v8, 0
	v_mov_b32_e32 v9, v8
	;; [unrolled: 1-line block ×4, first 2 shown]
	ds_write_b128 v12, v[8:11]
.LBB129_19:
	s_andn2_saveexec_b64 s[6:7], s[6:7]
	s_cbranch_execz .LBB129_21
; %bb.20:
	s_lshl_b32 s8, s24, 3
	s_ashr_i32 s9, s8, 31
	v_lshl_add_u64 v[8:9], s[8:9], 4, v[2:3]
	global_load_dwordx4 v[8:11], v[8:9], off
	v_add_u32_e32 v12, 0x1080, v1
	s_waitcnt vmcnt(0)
	ds_write2_b64 v12, v[8:9], v[10:11] offset1:1
.LBB129_21:
	s_or_b64 exec, exec, s[6:7]
	v_add_u32_e32 v8, 16, v5
	v_cmp_le_i32_e64 s[6:7], s22, v8
	s_and_saveexec_b64 s[8:9], s[6:7]
	s_xor_b64 s[6:7], exec, s[8:9]
	s_cbranch_execz .LBB129_23
; %bb.22:
	v_mul_u32_u24_e32 v8, 33, v8
	v_add_lshl_u32 v12, v8, v4, 4
	v_mov_b32_e32 v8, 0
	v_mov_b32_e32 v9, v8
	;; [unrolled: 1-line block ×4, first 2 shown]
	ds_write_b128 v12, v[8:11]
.LBB129_23:
	s_andn2_saveexec_b64 s[6:7], s[6:7]
	s_cbranch_execz .LBB129_25
; %bb.24:
	s_lshl_b32 s8, s24, 4
	s_ashr_i32 s9, s8, 31
	v_lshl_add_u64 v[8:9], s[8:9], 4, v[2:3]
	global_load_dwordx4 v[8:11], v[8:9], off
	v_add_u32_e32 v12, 0x2100, v1
	s_waitcnt vmcnt(0)
	ds_write2_b64 v12, v[8:9], v[10:11] offset1:1
.LBB129_25:
	s_or_b64 exec, exec, s[6:7]
	v_add_u32_e32 v8, 24, v5
	v_cmp_le_i32_e64 s[6:7], s22, v8
	s_and_saveexec_b64 s[8:9], s[6:7]
	s_xor_b64 s[6:7], exec, s[8:9]
	s_cbranch_execz .LBB129_27
; %bb.26:
	v_mov_b32_e32 v8, 0
	v_mov_b32_e32 v9, v8
	;; [unrolled: 1-line block ×4, first 2 shown]
	ds_write_b128 v1, v[8:11] offset:12672
                                        ; implicit-def: $vgpr1
.LBB129_27:
	s_andn2_saveexec_b64 s[6:7], s[6:7]
	s_cbranch_execz .LBB129_29
; %bb.28:
	s_mul_i32 s8, s24, 24
	s_ashr_i32 s9, s8, 31
	v_lshl_add_u64 v[8:9], s[8:9], 4, v[2:3]
	global_load_dwordx4 v[8:11], v[8:9], off
	v_add_u32_e32 v1, 0x3180, v1
	s_waitcnt vmcnt(0)
	ds_write2_b64 v1, v[8:9], v[10:11] offset1:1
.LBB129_29:
	s_or_b64 exec, exec, s[6:7]
	v_mov_b32_e32 v1, 0
	v_lshl_add_u64 v[0:1], v[2:3], 0, v[0:1]
	s_lshl_b64 s[6:7], s[22:23], 4
	v_mov_b32_e32 v2, s7
	v_subrev_co_u32_e64 v0, s[6:7], s6, v0
	s_nop 1
	v_subb_co_u32_e64 v1, s[6:7], v1, v2, s[6:7]
	v_lshl_add_u64 v[0:1], v[0:1], 0, 16
	v_cndmask_b32_e32 v7, v1, v7, vcc
	v_cndmask_b32_e32 v6, v0, v6, vcc
.LBB129_30:
	v_lshlrev_b32_e32 v0, 2, v5
	v_mul_u32_u24_e32 v44, 33, v4
	v_cmp_lt_u32_e64 s[8:9], v0, v4
	v_add_lshl_u32 v16, v0, v44, 4
	s_waitcnt lgkmcnt(0)
	s_barrier
	s_and_saveexec_b64 s[6:7], s[8:9]
	s_cbranch_execz .LBB129_32
; %bb.31:
	v_mul_u32_u24_e32 v1, 0x84, v5
	v_add_lshl_u32 v1, v1, v4, 4
	ds_read_b128 v[8:11], v1
	s_waitcnt lgkmcnt(0)
	ds_write_b128 v16, v[8:11]
.LBB129_32:
	s_or_b64 exec, exec, s[6:7]
	v_or_b32_e32 v1, 1, v0
	v_cmp_lt_u32_e64 s[10:11], v1, v4
	s_and_saveexec_b64 s[6:7], s[10:11]
	s_cbranch_execz .LBB129_34
; %bb.33:
	v_mul_u32_u24_e32 v1, 33, v1
	v_add_lshl_u32 v1, v1, v4, 4
	ds_read_b128 v[8:11], v1
	s_waitcnt lgkmcnt(0)
	ds_write_b128 v16, v[8:11] offset:16
.LBB129_34:
	s_or_b64 exec, exec, s[6:7]
	v_or_b32_e32 v1, 2, v0
	v_cmp_lt_u32_e64 s[12:13], v1, v4
	s_and_saveexec_b64 s[6:7], s[12:13]
	s_cbranch_execz .LBB129_36
; %bb.35:
	v_mul_u32_u24_e32 v1, 33, v1
	v_add_lshl_u32 v1, v1, v4, 4
	ds_read_b128 v[8:11], v1
	s_waitcnt lgkmcnt(0)
	ds_write_b128 v16, v[8:11] offset:32
.LBB129_36:
	s_or_b64 exec, exec, s[6:7]
	v_or_b32_e32 v1, 3, v0
	v_cmp_lt_u32_e64 s[14:15], v1, v4
	v_mad_u32_u24 v1, v1, 33, v4
	v_lshlrev_b32_e32 v12, 4, v1
	s_and_saveexec_b64 s[6:7], s[14:15]
	s_cbranch_execz .LBB129_38
; %bb.37:
	ds_read_b128 v[8:11], v12
	s_waitcnt lgkmcnt(0)
	ds_write_b128 v16, v[8:11] offset:48
.LBB129_38:
	s_or_b64 exec, exec, s[6:7]
	v_mul_u32_u24_e32 v1, 0x84, v5
	v_lshlrev_b32_e32 v15, 4, v0
	s_waitcnt lgkmcnt(0)
	s_barrier
	v_add_lshl_u32 v14, v1, v4, 4
	ds_read_b128 v[0:3], v15 offset:18176
	ds_read_b128 v[8:11], v14
	ds_read_b128 v[18:21], v15 offset:18192
	ds_read_b128 v[22:25], v15 offset:18208
	v_add_u32_e32 v13, 0xfffffbe0, v12
	ds_read_b128 v[26:29], v13
	ds_read_b128 v[30:33], v13 offset:528
	s_waitcnt lgkmcnt(4)
	v_mul_f64 v[34:35], v[2:3], v[10:11]
	v_fma_f64 v[34:35], v[0:1], v[8:9], -v[34:35]
	v_mul_f64 v[0:1], v[0:1], v[10:11]
	v_fmac_f64_e32 v[0:1], v[2:3], v[8:9]
	s_waitcnt lgkmcnt(1)
	v_mul_f64 v[10:11], v[18:19], v[28:29]
	v_add_f64 v[0:1], v[0:1], 0
	v_mul_f64 v[8:9], v[20:21], v[28:29]
	v_fmac_f64_e32 v[10:11], v[20:21], v[26:27]
	v_add_f64 v[2:3], v[34:35], 0
	v_fma_f64 v[8:9], v[18:19], v[26:27], -v[8:9]
	v_add_f64 v[20:21], v[0:1], v[10:11]
	s_waitcnt lgkmcnt(0)
	v_mul_f64 v[0:1], v[24:25], v[32:33]
	v_add_f64 v[18:19], v[2:3], v[8:9]
	v_fma_f64 v[26:27], v[22:23], v[30:31], -v[0:1]
	ds_read_b128 v[0:3], v15 offset:18224
	ds_read_b128 v[8:11], v12
	v_mul_f64 v[22:23], v[22:23], v[32:33]
	v_fmac_f64_e32 v[22:23], v[24:25], v[30:31]
	v_add_f64 v[20:21], v[20:21], v[22:23]
	v_add_f64 v[18:19], v[18:19], v[26:27]
	s_waitcnt lgkmcnt(0)
	v_mul_f64 v[22:23], v[2:3], v[10:11]
	v_mul_f64 v[10:11], v[0:1], v[10:11]
	v_fma_f64 v[22:23], v[0:1], v[8:9], -v[22:23]
	v_fmac_f64_e32 v[10:11], v[2:3], v[8:9]
	v_add_f64 v[0:1], v[18:19], v[22:23]
	v_add_f64 v[2:3], v[20:21], v[10:11]
	v_add_lshl_u32 v45, v5, v44, 4
	s_barrier
	ds_write_b128 v45, v[0:3]
	v_mov_b64_e32 v[0:1], 0
	v_cmp_gt_u32_e64 s[6:7], 32, v43
	v_mov_b64_e32 v[2:3], v[0:1]
	s_waitcnt lgkmcnt(0)
	s_barrier
	s_and_saveexec_b64 s[16:17], s[6:7]
	s_cbranch_execz .LBB129_40
; %bb.39:
	v_lshlrev_b32_e32 v17, 4, v44
	ds_read_b128 v[0:3], v17
	ds_read_b128 v[8:11], v17 offset:16
	ds_read_b128 v[18:21], v17 offset:32
	;; [unrolled: 1-line block ×3, first 2 shown]
	s_waitcnt lgkmcnt(2)
	v_add_f64 v[0:1], v[8:9], v[0:1]
	v_add_f64 v[8:9], v[10:11], v[2:3]
	s_waitcnt lgkmcnt(1)
	v_add_f64 v[10:11], v[0:1], v[18:19]
	ds_read_b128 v[0:3], v17 offset:64
	v_add_f64 v[8:9], v[8:9], v[20:21]
	s_waitcnt lgkmcnt(1)
	v_add_f64 v[18:19], v[10:11], v[22:23]
	v_add_f64 v[22:23], v[8:9], v[24:25]
	ds_read_b128 v[8:11], v17 offset:80
	s_waitcnt lgkmcnt(1)
	v_add_f64 v[24:25], v[18:19], v[0:1]
	ds_read_b128 v[18:21], v17 offset:96
	v_add_f64 v[22:23], v[22:23], v[2:3]
	ds_read_b128 v[0:3], v17 offset:112
	s_waitcnt lgkmcnt(2)
	v_add_f64 v[8:9], v[24:25], v[8:9]
	v_add_f64 v[10:11], v[22:23], v[10:11]
	s_waitcnt lgkmcnt(1)
	v_add_f64 v[8:9], v[8:9], v[18:19]
	v_add_f64 v[10:11], v[10:11], v[20:21]
	s_waitcnt lgkmcnt(0)
	v_add_f64 v[0:1], v[8:9], v[0:1]
	v_add_f64 v[2:3], v[10:11], v[2:3]
.LBB129_40:
	s_or_b64 exec, exec, s[16:17]
	s_lshl_b32 s34, s24, 5
	s_ashr_i32 s35, s34, 31
	v_lshl_add_u64 v[8:9], s[34:35], 4, v[6:7]
	s_mov_b64 s[40:41], 0x200
	v_cndmask_b32_e64 v6, 0, 1, s[20:21]
	v_cmp_ne_u32_e64 s[16:17], 1, v6
	s_andn2_b64 vcc, exec, s[20:21]
	v_lshl_add_u64 v[6:7], v[8:9], 0, s[40:41]
	s_barrier
	s_cbranch_vccnz .LBB129_42
; %bb.41:
	s_lshl_b32 s20, s24, 3
	s_ashr_i32 s21, s20, 31
	s_ashr_i32 s25, s24, 31
	v_lshl_add_u64 v[26:27], s[20:21], 4, v[8:9]
	s_lshl_b64 s[20:21], s[24:25], 7
	global_load_dwordx4 v[18:21], v[6:7], off
	v_lshl_add_u64 v[28:29], v[26:27], 0, s[20:21]
	global_load_dwordx4 v[8:11], v[26:27], off offset:512
	global_load_dwordx4 v[22:25], v[28:29], off offset:512
	v_lshl_add_u64 v[26:27], v[28:29], 0, s[20:21]
	global_load_dwordx4 v[26:29], v[26:27], off offset:512
	v_mul_u32_u24_e32 v17, 33, v5
	v_add_lshl_u32 v17, v17, v4, 4
	v_add_u32_e32 v30, 0x1080, v17
	v_add_u32_e32 v31, 0x2100, v17
	;; [unrolled: 1-line block ×3, first 2 shown]
	s_waitcnt vmcnt(3)
	ds_write2_b64 v17, v[18:19], v[20:21] offset1:1
	s_waitcnt vmcnt(2)
	ds_write2_b64 v30, v[8:9], v[10:11] offset1:1
	s_waitcnt vmcnt(1)
	ds_write2_b64 v31, v[22:23], v[24:25] offset1:1
	s_waitcnt vmcnt(0)
	ds_write2_b64 v32, v[26:27], v[28:29] offset1:1
	s_cbranch_execz .LBB129_43
	s_branch .LBB129_60
.LBB129_42:
.LBB129_43:
	v_lshlrev_b32_e32 v8, 4, v4
	v_sub_co_u32_e32 v10, vcc, v6, v8
	s_ashr_i32 s23, s22, 31
	s_nop 0
	v_subbrev_co_u32_e32 v11, vcc, 0, v7, vcc
	s_movk_i32 s20, 0xfdf0
	v_or_b32_e32 v9, 32, v4
	v_lshl_add_u64 v[10:11], s[22:23], 4, v[10:11]
	s_mov_b32 s21, -1
	v_lshl_add_u64 v[10:11], v[10:11], 0, s[20:21]
	v_cmp_gt_i32_e32 vcc, s22, v9
	s_sub_i32 s25, s22, 32
	v_mul_u32_u24_e32 v9, 33, v5
	v_cndmask_b32_e32 v11, v11, v7, vcc
	v_cndmask_b32_e32 v10, v10, v6, vcc
	v_cmp_le_i32_e64 s[20:21], s25, v5
	v_add_lshl_u32 v9, v9, v4, 4
	s_and_saveexec_b64 s[40:41], s[20:21]
	s_xor_b64 s[20:21], exec, s[40:41]
	s_cbranch_execz .LBB129_45
; %bb.44:
	v_mov_b32_e32 v18, 0
	v_mov_b32_e32 v19, v18
	;; [unrolled: 1-line block ×4, first 2 shown]
	ds_write_b128 v9, v[18:21]
.LBB129_45:
	s_andn2_saveexec_b64 s[20:21], s[20:21]
	s_cbranch_execz .LBB129_47
; %bb.46:
	global_load_dwordx4 v[18:21], v[10:11], off
	s_waitcnt vmcnt(0)
	ds_write2_b64 v9, v[18:19], v[20:21] offset1:1
.LBB129_47:
	s_or_b64 exec, exec, s[20:21]
	v_add_u32_e32 v17, 8, v5
	v_cmp_le_i32_e64 s[20:21], s25, v17
	s_and_saveexec_b64 s[40:41], s[20:21]
	s_xor_b64 s[20:21], exec, s[40:41]
	s_cbranch_execz .LBB129_49
; %bb.48:
	v_mul_u32_u24_e32 v17, 33, v17
	v_mov_b32_e32 v18, 0
	v_add_lshl_u32 v17, v17, v4, 4
	v_mov_b32_e32 v19, v18
	v_mov_b32_e32 v20, v18
	;; [unrolled: 1-line block ×3, first 2 shown]
	ds_write_b128 v17, v[18:21]
.LBB129_49:
	s_andn2_saveexec_b64 s[20:21], s[20:21]
	s_cbranch_execz .LBB129_51
; %bb.50:
	s_lshl_b32 s40, s24, 3
	s_ashr_i32 s41, s40, 31
	v_lshl_add_u64 v[18:19], s[40:41], 4, v[10:11]
	global_load_dwordx4 v[18:21], v[18:19], off
	v_add_u32_e32 v17, 0x1080, v9
	s_waitcnt vmcnt(0)
	ds_write2_b64 v17, v[18:19], v[20:21] offset1:1
.LBB129_51:
	s_or_b64 exec, exec, s[20:21]
	v_add_u32_e32 v17, 16, v5
	v_cmp_le_i32_e64 s[20:21], s25, v17
	s_and_saveexec_b64 s[40:41], s[20:21]
	s_xor_b64 s[20:21], exec, s[40:41]
	s_cbranch_execz .LBB129_53
; %bb.52:
	v_mul_u32_u24_e32 v17, 33, v17
	v_mov_b32_e32 v18, 0
	v_add_lshl_u32 v17, v17, v4, 4
	v_mov_b32_e32 v19, v18
	v_mov_b32_e32 v20, v18
	;; [unrolled: 1-line block ×3, first 2 shown]
	ds_write_b128 v17, v[18:21]
.LBB129_53:
	s_andn2_saveexec_b64 s[20:21], s[20:21]
	s_cbranch_execz .LBB129_55
; %bb.54:
	s_lshl_b32 s40, s24, 4
	s_ashr_i32 s41, s40, 31
	v_lshl_add_u64 v[18:19], s[40:41], 4, v[10:11]
	global_load_dwordx4 v[18:21], v[18:19], off
	v_add_u32_e32 v17, 0x2100, v9
	s_waitcnt vmcnt(0)
	ds_write2_b64 v17, v[18:19], v[20:21] offset1:1
.LBB129_55:
	s_or_b64 exec, exec, s[20:21]
	v_add_u32_e32 v17, 24, v5
	v_cmp_le_i32_e64 s[20:21], s25, v17
	s_and_saveexec_b64 s[40:41], s[20:21]
	s_xor_b64 s[20:21], exec, s[40:41]
	s_cbranch_execz .LBB129_57
; %bb.56:
	v_mov_b32_e32 v18, 0
	v_mov_b32_e32 v19, v18
	;; [unrolled: 1-line block ×4, first 2 shown]
	ds_write_b128 v9, v[18:21] offset:12672
                                        ; implicit-def: $vgpr9
.LBB129_57:
	s_andn2_saveexec_b64 s[20:21], s[20:21]
	s_cbranch_execz .LBB129_59
; %bb.58:
	s_mul_i32 s40, s24, 24
	s_ashr_i32 s41, s40, 31
	v_lshl_add_u64 v[18:19], s[40:41], 4, v[10:11]
	global_load_dwordx4 v[18:21], v[18:19], off
	v_add_u32_e32 v9, 0x3180, v9
	s_waitcnt vmcnt(0)
	ds_write2_b64 v9, v[18:19], v[20:21] offset1:1
.LBB129_59:
	s_or_b64 exec, exec, s[20:21]
	v_mov_b32_e32 v9, 0
	v_lshl_add_u64 v[8:9], v[10:11], 0, v[8:9]
	s_lshl_b64 s[20:21], s[22:23], 4
	v_mov_b32_e32 v10, s21
	v_subrev_co_u32_e64 v8, s[20:21], s20, v8
	s_nop 1
	v_subb_co_u32_e64 v9, s[20:21], v9, v10, s[20:21]
	s_mov_b64 s[20:21], 0x210
	s_nop 0
	v_lshl_add_u64 v[8:9], v[8:9], 0, s[20:21]
	v_cndmask_b32_e32 v7, v9, v7, vcc
	v_cndmask_b32_e32 v6, v8, v6, vcc
.LBB129_60:
	v_add_u32_e32 v10, 0x4700, v15
	v_add_u32_e32 v8, 0x210, v13
	s_waitcnt lgkmcnt(0)
	s_barrier
	s_and_saveexec_b64 s[20:21], s[8:9]
	s_cbranch_execnz .LBB129_69
; %bb.61:
	s_or_b64 exec, exec, s[20:21]
	s_and_saveexec_b64 s[8:9], s[10:11]
	s_cbranch_execnz .LBB129_70
.LBB129_62:
	s_or_b64 exec, exec, s[8:9]
	s_and_saveexec_b64 s[8:9], s[12:13]
	s_cbranch_execnz .LBB129_71
.LBB129_63:
	s_or_b64 exec, exec, s[8:9]
	s_and_saveexec_b64 s[8:9], s[14:15]
	s_cbranch_execz .LBB129_65
.LBB129_64:
	ds_read_b128 v[18:21], v12
	s_waitcnt lgkmcnt(0)
	ds_write_b128 v16, v[18:21] offset:48
.LBB129_65:
	s_or_b64 exec, exec, s[8:9]
	s_waitcnt lgkmcnt(0)
	s_barrier
	ds_read_b128 v[18:21], v10 offset:512
	ds_read_b128 v[22:25], v14
	ds_read_b128 v[26:29], v10 offset:528
	ds_read_b128 v[30:33], v10 offset:544
	;; [unrolled: 1-line block ×3, first 2 shown]
	ds_read_b128 v[50:53], v13
	v_cmp_eq_u32_e64 s[8:9], 1, v5
	s_waitcnt lgkmcnt(4)
	v_mul_f64 v[8:9], v[20:21], v[24:25]
	v_fma_f64 v[8:9], v[18:19], v[22:23], -v[8:9]
	v_mul_f64 v[14:15], v[18:19], v[24:25]
	s_waitcnt lgkmcnt(0)
	v_mul_f64 v[18:19], v[28:29], v[52:53]
	v_fmac_f64_e32 v[14:15], v[20:21], v[22:23]
	v_fma_f64 v[22:23], v[26:27], v[50:51], -v[18:19]
	v_mul_f64 v[24:25], v[26:27], v[52:53]
	ds_read_b128 v[18:21], v13 offset:528
	v_add_f64 v[8:9], v[8:9], 0
	v_add_f64 v[14:15], v[14:15], 0
	v_fmac_f64_e32 v[24:25], v[28:29], v[50:51]
	v_add_f64 v[8:9], v[8:9], v[22:23]
	v_add_f64 v[22:23], v[14:15], v[24:25]
	ds_read_b128 v[12:15], v12
	s_waitcnt lgkmcnt(1)
	v_mul_f64 v[24:25], v[32:33], v[20:21]
	v_mul_f64 v[20:21], v[30:31], v[20:21]
	v_fmac_f64_e32 v[20:21], v[32:33], v[18:19]
	v_fma_f64 v[24:25], v[30:31], v[18:19], -v[24:25]
	v_add_f64 v[18:19], v[22:23], v[20:21]
	s_waitcnt lgkmcnt(0)
	v_mul_f64 v[20:21], v[48:49], v[14:15]
	v_mul_f64 v[14:15], v[46:47], v[14:15]
	v_add_f64 v[8:9], v[8:9], v[24:25]
	v_fma_f64 v[20:21], v[46:47], v[12:13], -v[20:21]
	v_fmac_f64_e32 v[14:15], v[48:49], v[12:13]
	v_add_f64 v[12:13], v[8:9], v[20:21]
	v_add_f64 v[14:15], v[18:19], v[14:15]
	s_barrier
	ds_write_b128 v45, v[12:15]
	s_waitcnt lgkmcnt(0)
	s_barrier
	s_and_saveexec_b64 s[10:11], s[8:9]
	s_cbranch_execz .LBB129_67
; %bb.66:
	v_lshlrev_b32_e32 v11, 4, v44
	ds_read_b128 v[0:3], v11
	ds_read_b128 v[12:15], v11 offset:16
	ds_read_b128 v[18:21], v11 offset:32
	;; [unrolled: 1-line block ×3, first 2 shown]
	s_waitcnt lgkmcnt(2)
	v_add_f64 v[0:1], v[12:13], v[0:1]
	v_add_f64 v[8:9], v[14:15], v[2:3]
	s_waitcnt lgkmcnt(1)
	v_add_f64 v[12:13], v[0:1], v[18:19]
	ds_read_b128 v[0:3], v11 offset:64
	v_add_f64 v[8:9], v[8:9], v[20:21]
	s_waitcnt lgkmcnt(1)
	v_add_f64 v[18:19], v[12:13], v[22:23]
	ds_read_b128 v[12:15], v11 offset:80
	;; [unrolled: 4-line block ×3, first 2 shown]
	v_add_f64 v[8:9], v[8:9], v[2:3]
	ds_read_b128 v[0:3], v11 offset:112
	s_waitcnt lgkmcnt(2)
	v_add_f64 v[12:13], v[22:23], v[12:13]
	v_add_f64 v[8:9], v[8:9], v[14:15]
	s_waitcnt lgkmcnt(1)
	v_add_f64 v[12:13], v[12:13], v[18:19]
	v_add_f64 v[8:9], v[8:9], v[20:21]
	s_waitcnt lgkmcnt(0)
	v_add_f64 v[0:1], v[12:13], v[0:1]
	v_add_f64 v[2:3], v[8:9], v[2:3]
.LBB129_67:
	s_or_b64 exec, exec, s[10:11]
	s_lshl_b64 s[10:11], s[34:35], 4
	v_mov_b32_e32 v8, s11
	v_subrev_co_u32_e64 v40, s[10:11], s10, v6
	s_and_b64 vcc, exec, s[16:17]
	s_nop 0
	v_subb_co_u32_e64 v41, s[10:11], v7, v8, s[10:11]
	s_barrier
	s_cbranch_vccnz .LBB129_72
; %bb.68:
	s_lshl_b32 s10, s24, 3
	s_ashr_i32 s11, s10, 31
	s_ashr_i32 s25, s24, 31
	v_lshl_add_u64 v[6:7], s[10:11], 4, v[40:41]
	s_lshl_b64 s[10:11], s[24:25], 7
	global_load_dwordx4 v[18:21], v[40:41], off
	global_load_dwordx4 v[22:25], v[6:7], off
	v_lshl_add_u64 v[6:7], v[6:7], 0, s[10:11]
	v_lshl_add_u64 v[8:9], v[6:7], 0, s[10:11]
	global_load_dwordx4 v[26:29], v[6:7], off
	global_load_dwordx4 v[30:33], v[8:9], off
	v_mad_u32_u24 v11, v5, 33, v4
	v_add_u32_e32 v12, 8, v5
	v_add_u32_e32 v13, 16, v5
	;; [unrolled: 1-line block ×3, first 2 shown]
	v_lshlrev_b32_e32 v8, 4, v11
	v_add_u32_e32 v7, 0x108, v11
	v_add_u32_e32 v6, 0x210, v11
	;; [unrolled: 1-line block ×6, first 2 shown]
	s_waitcnt vmcnt(3)
	ds_write2_b64 v8, v[18:19], v[20:21] offset1:1
	s_waitcnt vmcnt(2)
	ds_write2_b64 v9, v[22:23], v[24:25] offset1:1
	;; [unrolled: 2-line block ×4, first 2 shown]
	s_cbranch_execz .LBB129_73
	s_branch .LBB129_90
.LBB129_69:
	ds_read_b128 v[18:21], v14
	s_waitcnt lgkmcnt(0)
	ds_write_b128 v16, v[18:21]
	s_or_b64 exec, exec, s[20:21]
	s_and_saveexec_b64 s[8:9], s[10:11]
	s_cbranch_execz .LBB129_62
.LBB129_70:
	ds_read_b128 v[18:21], v13
	s_waitcnt lgkmcnt(0)
	ds_write_b128 v16, v[18:21] offset:16
	s_or_b64 exec, exec, s[8:9]
	s_and_saveexec_b64 s[8:9], s[12:13]
	s_cbranch_execz .LBB129_63
.LBB129_71:
	ds_read_b128 v[18:21], v8
	s_waitcnt lgkmcnt(0)
	ds_write_b128 v16, v[18:21] offset:32
	s_or_b64 exec, exec, s[8:9]
	s_and_saveexec_b64 s[8:9], s[14:15]
	s_cbranch_execnz .LBB129_64
	s_branch .LBB129_65
.LBB129_72:
                                        ; implicit-def: $vgpr11
                                        ; implicit-def: $vgpr12
                                        ; implicit-def: $vgpr7
                                        ; implicit-def: $vgpr13
                                        ; implicit-def: $vgpr6
                                        ; implicit-def: $vgpr14
                                        ; implicit-def: $vgpr15
.LBB129_73:
	v_lshlrev_b32_e32 v6, 4, v4
	v_sub_co_u32_e32 v8, vcc, v40, v6
	s_ashr_i32 s23, s22, 31
	s_nop 0
	v_subbrev_co_u32_e32 v9, vcc, 0, v41, vcc
	s_movk_i32 s10, 0xfdf0
	v_or_b32_e32 v7, 32, v4
	v_lshl_add_u64 v[8:9], s[22:23], 4, v[8:9]
	s_mov_b32 s11, -1
	v_lshl_add_u64 v[8:9], v[8:9], 0, s[10:11]
	v_cmp_gt_i32_e32 vcc, s22, v7
	v_mad_u32_u24 v11, v5, 33, v4
	v_cmp_le_i32_e64 s[10:11], s22, v5
	v_cndmask_b32_e32 v9, v9, v41, vcc
	v_cndmask_b32_e32 v8, v8, v40, vcc
	v_lshlrev_b32_e32 v7, 4, v11
	s_and_saveexec_b64 s[12:13], s[10:11]
	s_xor_b64 s[10:11], exec, s[12:13]
	s_cbranch_execz .LBB129_75
; %bb.74:
	v_mov_b32_e32 v12, 0
	v_mov_b32_e32 v13, v12
	;; [unrolled: 1-line block ×4, first 2 shown]
	ds_write_b128 v7, v[12:15]
.LBB129_75:
	s_andn2_saveexec_b64 s[10:11], s[10:11]
	s_cbranch_execz .LBB129_77
; %bb.76:
	global_load_dwordx4 v[12:15], v[8:9], off
	s_waitcnt vmcnt(0)
	ds_write2_b64 v7, v[12:13], v[14:15] offset1:1
.LBB129_77:
	s_or_b64 exec, exec, s[10:11]
	v_add_u32_e32 v12, 8, v5
	v_cmp_le_i32_e64 s[10:11], s22, v12
	s_and_saveexec_b64 s[12:13], s[10:11]
	s_xor_b64 s[10:11], exec, s[12:13]
	s_cbranch_execz .LBB129_79
; %bb.78:
	v_mul_u32_u24_e32 v13, 33, v12
	v_mov_b32_e32 v18, 0
	v_add_lshl_u32 v13, v13, v4, 4
	v_mov_b32_e32 v19, v18
	v_mov_b32_e32 v20, v18
	;; [unrolled: 1-line block ×3, first 2 shown]
	ds_write_b128 v13, v[18:21]
.LBB129_79:
	s_andn2_saveexec_b64 s[10:11], s[10:11]
	s_cbranch_execz .LBB129_81
; %bb.80:
	s_lshl_b32 s12, s24, 3
	s_ashr_i32 s13, s12, 31
	v_lshl_add_u64 v[14:15], s[12:13], 4, v[8:9]
	global_load_dwordx4 v[18:21], v[14:15], off
	v_add_u32_e32 v13, 0x1080, v7
	s_waitcnt vmcnt(0)
	ds_write2_b64 v13, v[18:19], v[20:21] offset1:1
.LBB129_81:
	s_or_b64 exec, exec, s[10:11]
	v_add_u32_e32 v13, 16, v5
	v_cmp_le_i32_e64 s[10:11], s22, v13
	s_and_saveexec_b64 s[12:13], s[10:11]
	s_xor_b64 s[10:11], exec, s[12:13]
	s_cbranch_execz .LBB129_83
; %bb.82:
	v_mul_u32_u24_e32 v14, 33, v13
	v_mov_b32_e32 v18, 0
	v_add_lshl_u32 v14, v14, v4, 4
	v_mov_b32_e32 v19, v18
	v_mov_b32_e32 v20, v18
	;; [unrolled: 1-line block ×3, first 2 shown]
	ds_write_b128 v14, v[18:21]
.LBB129_83:
	s_andn2_saveexec_b64 s[10:11], s[10:11]
	s_cbranch_execz .LBB129_85
; %bb.84:
	s_lshl_b32 s12, s24, 4
	s_ashr_i32 s13, s12, 31
	v_lshl_add_u64 v[14:15], s[12:13], 4, v[8:9]
	global_load_dwordx4 v[18:21], v[14:15], off
	v_add_u32_e32 v14, 0x2100, v7
	s_waitcnt vmcnt(0)
	ds_write2_b64 v14, v[18:19], v[20:21] offset1:1
.LBB129_85:
	s_or_b64 exec, exec, s[10:11]
	v_add_u32_e32 v14, 24, v5
	v_cmp_le_i32_e64 s[10:11], s22, v14
                                        ; implicit-def: $vgpr15
	s_and_saveexec_b64 s[12:13], s[10:11]
	s_xor_b64 s[10:11], exec, s[12:13]
	s_cbranch_execz .LBB129_87
; %bb.86:
	v_mad_u32_u24 v15, v14, 33, v4
	v_mov_b32_e32 v18, 0
	v_lshlrev_b32_e32 v4, 4, v15
	v_mov_b32_e32 v19, v18
	v_mov_b32_e32 v20, v18
	;; [unrolled: 1-line block ×3, first 2 shown]
	ds_write_b128 v4, v[18:21]
                                        ; implicit-def: $vgpr7
.LBB129_87:
	s_andn2_saveexec_b64 s[10:11], s[10:11]
	s_cbranch_execz .LBB129_89
; %bb.88:
	s_mul_i32 s12, s24, 24
	s_ashr_i32 s13, s12, 31
	v_lshl_add_u64 v[18:19], s[12:13], 4, v[8:9]
	global_load_dwordx4 v[18:21], v[18:19], off
	v_add_u32_e32 v15, 0x318, v11
	v_add_u32_e32 v4, 0x3180, v7
	s_waitcnt vmcnt(0)
	ds_write2_b64 v4, v[18:19], v[20:21] offset1:1
.LBB129_89:
	s_or_b64 exec, exec, s[10:11]
	v_mov_b32_e32 v7, 0
	v_lshl_add_u64 v[6:7], v[8:9], 0, v[6:7]
	s_lshl_b64 s[10:11], s[22:23], 4
	v_mov_b32_e32 v4, s11
	v_subrev_co_u32_e64 v6, s[10:11], s10, v6
	s_nop 1
	v_subb_co_u32_e64 v7, s[10:11], v7, v4, s[10:11]
	s_mov_b64 s[10:11], 0x210
	s_nop 0
	v_lshl_add_u64 v[6:7], v[6:7], 0, s[10:11]
	v_cndmask_b32_e32 v41, v7, v41, vcc
	v_cndmask_b32_e32 v40, v6, v40, vcc
	v_add_u32_e32 v7, 0x108, v11
	v_add_u32_e32 v6, 0x210, v11
.LBB129_90:
	v_lshlrev_b32_e32 v5, 4, v5
	s_waitcnt lgkmcnt(0)
	s_barrier
	v_lshlrev_b32_e32 v4, 4, v11
	ds_read_b128 v[46:49], v5 offset:18176
	ds_read_b128 v[50:53], v4
	v_lshlrev_b32_e32 v5, 4, v12
	v_lshlrev_b32_e32 v4, 4, v7
	ds_read_b128 v[54:57], v5 offset:18176
	ds_read_b128 v[58:61], v4
	v_lshlrev_b32_e32 v7, 4, v13
	;; [unrolled: 4-line block ×3, first 2 shown]
	v_lshlrev_b32_e32 v6, 4, v15
	ds_read_b128 v[70:73], v7 offset:18176
	ds_read_b128 v[74:77], v6
	s_waitcnt lgkmcnt(6)
	v_mul_f64 v[4:5], v[48:49], v[52:53]
	v_fma_f64 v[4:5], v[46:47], v[50:51], -v[4:5]
	s_waitcnt lgkmcnt(4)
	v_mul_f64 v[8:9], v[56:57], v[60:61]
	v_add_f64 v[4:5], v[4:5], 0
	v_fma_f64 v[8:9], v[54:55], v[58:59], -v[8:9]
	s_waitcnt lgkmcnt(2)
	v_mul_f64 v[6:7], v[64:65], v[68:69]
	v_add_f64 v[4:5], v[4:5], v[8:9]
	v_fma_f64 v[6:7], v[62:63], v[66:67], -v[6:7]
	v_add_f64 v[4:5], v[4:5], v[6:7]
	s_waitcnt lgkmcnt(0)
	v_mul_f64 v[6:7], v[72:73], v[76:77]
	v_fma_f64 v[6:7], v[70:71], v[74:75], -v[6:7]
	v_add_f64 v[78:79], v[4:5], v[6:7]
	ds_read_b128 v[28:31], v16
	ds_read_b128 v[20:23], v16 offset:16
	ds_read_b128 v[12:15], v16 offset:32
	;; [unrolled: 1-line block ×7, first 2 shown]
	v_mul_f64 v[46:47], v[46:47], v[52:53]
	v_fmac_f64_e32 v[46:47], v[48:49], v[50:51]
	v_mul_f64 v[48:49], v[54:55], v[60:61]
	v_add_f64 v[46:47], v[46:47], 0
	v_fmac_f64_e32 v[48:49], v[56:57], v[58:59]
	v_add_f64 v[46:47], v[46:47], v[48:49]
	v_mul_f64 v[48:49], v[62:63], v[68:69]
	v_fmac_f64_e32 v[48:49], v[64:65], v[66:67]
	v_add_f64 v[46:47], v[46:47], v[48:49]
	v_mul_f64 v[48:49], v[70:71], v[76:77]
	v_fmac_f64_e32 v[48:49], v[72:73], v[74:75]
	v_add_f64 v[80:81], v[46:47], v[48:49]
	s_waitcnt lgkmcnt(0)
	s_barrier
	ds_write_b128 v45, v[78:81]
	s_waitcnt lgkmcnt(0)
	s_barrier
	s_and_saveexec_b64 s[10:11], s[8:9]
	s_cbranch_execz .LBB129_92
; %bb.91:
	v_lshlrev_b32_e32 v62, 4, v44
	ds_read_b128 v[46:49], v62
	ds_read_b128 v[50:53], v62 offset:16
	ds_read_b128 v[54:57], v62 offset:32
	;; [unrolled: 1-line block ×3, first 2 shown]
	s_waitcnt lgkmcnt(3)
	v_add_f64 v[0:1], v[0:1], v[46:47]
	v_add_f64 v[2:3], v[2:3], v[48:49]
	s_waitcnt lgkmcnt(2)
	v_add_f64 v[0:1], v[0:1], v[50:51]
	v_add_f64 v[46:47], v[2:3], v[52:53]
	s_waitcnt lgkmcnt(1)
	v_add_f64 v[48:49], v[0:1], v[54:55]
	ds_read_b128 v[0:3], v62 offset:64
	v_add_f64 v[46:47], v[46:47], v[56:57]
	s_waitcnt lgkmcnt(1)
	v_add_f64 v[50:51], v[48:49], v[58:59]
	v_add_f64 v[54:55], v[46:47], v[60:61]
	ds_read_b128 v[46:49], v62 offset:80
	s_waitcnt lgkmcnt(1)
	v_add_f64 v[56:57], v[50:51], v[0:1]
	ds_read_b128 v[50:53], v62 offset:96
	v_add_f64 v[54:55], v[54:55], v[2:3]
	ds_read_b128 v[0:3], v62 offset:112
	s_waitcnt lgkmcnt(2)
	v_add_f64 v[46:47], v[56:57], v[46:47]
	v_add_f64 v[48:49], v[54:55], v[48:49]
	s_waitcnt lgkmcnt(1)
	v_add_f64 v[46:47], v[46:47], v[50:51]
	v_add_f64 v[48:49], v[48:49], v[52:53]
	;; [unrolled: 3-line block ×3, first 2 shown]
.LBB129_92:
	s_or_b64 exec, exec, s[10:11]
	v_mul_f64 v[46:47], v[30:31], v[34:35]
	v_fma_f64 v[46:47], v[28:29], v[32:33], -v[46:47]
	v_mul_f64 v[28:29], v[28:29], v[34:35]
	v_fmac_f64_e32 v[28:29], v[30:31], v[32:33]
	v_mul_f64 v[32:33], v[22:23], v[26:27]
	v_fma_f64 v[32:33], v[20:21], v[24:25], -v[32:33]
	v_mul_f64 v[20:21], v[20:21], v[26:27]
	v_fmac_f64_e32 v[20:21], v[22:23], v[24:25]
	v_mul_f64 v[24:25], v[14:15], v[18:19]
	v_add_f64 v[30:31], v[46:47], 0
	v_add_f64 v[28:29], v[28:29], 0
	v_fma_f64 v[24:25], v[12:13], v[16:17], -v[24:25]
	v_mul_f64 v[12:13], v[12:13], v[18:19]
	v_add_f64 v[22:23], v[30:31], v[32:33]
	v_add_f64 v[20:21], v[28:29], v[20:21]
	v_fmac_f64_e32 v[12:13], v[14:15], v[16:17]
	v_mul_f64 v[16:17], v[6:7], v[10:11]
	v_mul_f64 v[10:11], v[4:5], v[10:11]
	v_add_f64 v[14:15], v[22:23], v[24:25]
	v_add_f64 v[12:13], v[20:21], v[12:13]
	v_fma_f64 v[16:17], v[4:5], v[8:9], -v[16:17]
	v_fmac_f64_e32 v[10:11], v[6:7], v[8:9]
	v_add_f64 v[4:5], v[14:15], v[16:17]
	v_add_f64 v[6:7], v[12:13], v[10:11]
	s_barrier
	ds_write_b128 v45, v[4:7]
	s_waitcnt lgkmcnt(0)
	s_barrier
	s_and_saveexec_b64 s[8:9], s[6:7]
	s_cbranch_execz .LBB129_94
; %bb.93:
	v_lshlrev_b32_e32 v20, 4, v44
	ds_read_b128 v[4:7], v20
	ds_read_b128 v[8:11], v20 offset:16
	ds_read_b128 v[12:15], v20 offset:32
	;; [unrolled: 1-line block ×3, first 2 shown]
	s_waitcnt lgkmcnt(3)
	v_add_f64 v[0:1], v[0:1], v[4:5]
	v_add_f64 v[2:3], v[2:3], v[6:7]
	s_waitcnt lgkmcnt(2)
	v_add_f64 v[0:1], v[0:1], v[8:9]
	v_add_f64 v[4:5], v[2:3], v[10:11]
	s_waitcnt lgkmcnt(1)
	v_add_f64 v[6:7], v[0:1], v[12:13]
	ds_read_b128 v[0:3], v20 offset:64
	v_add_f64 v[4:5], v[4:5], v[14:15]
	s_waitcnt lgkmcnt(1)
	v_add_f64 v[8:9], v[6:7], v[16:17]
	v_add_f64 v[12:13], v[4:5], v[18:19]
	ds_read_b128 v[4:7], v20 offset:80
	s_waitcnt lgkmcnt(1)
	v_add_f64 v[14:15], v[8:9], v[0:1]
	ds_read_b128 v[8:11], v20 offset:96
	v_add_f64 v[12:13], v[12:13], v[2:3]
	ds_read_b128 v[0:3], v20 offset:112
	s_waitcnt lgkmcnt(2)
	v_add_f64 v[4:5], v[14:15], v[4:5]
	v_add_f64 v[6:7], v[12:13], v[6:7]
	s_waitcnt lgkmcnt(1)
	v_add_f64 v[4:5], v[4:5], v[8:9]
	v_add_f64 v[6:7], v[6:7], v[10:11]
	;; [unrolled: 3-line block ×3, first 2 shown]
.LBB129_94:
	s_or_b64 exec, exec, s[8:9]
	s_load_dwordx2 s[0:1], s[0:1], 0x78
	s_mul_hi_u32 s6, s36, s3
	s_mul_i32 s38, s38, s3
	s_add_i32 s6, s6, s38
	s_mul_i32 s3, s36, s3
	s_mul_i32 s6, s6, s37
	s_mul_hi_u32 s7, s3, s37
	s_add_i32 s7, s7, s6
	s_mul_i32 s6, s3, s37
	s_lshl_b64 s[6:7], s[6:7], 4
	s_waitcnt lgkmcnt(0)
	s_add_u32 s3, s0, s6
	s_mul_i32 s0, s2, s36
	s_addc_u32 s7, s1, s7
	s_ashr_i32 s1, s0, 31
	s_lshl_b64 s[0:1], s[0:1], 4
	s_add_u32 s6, s3, s0
	v_cmp_le_i32_e32 vcc, s22, v42
	s_addc_u32 s7, s7, s1
	s_and_b64 vcc, s[30:31], vcc
	s_cmp_lt_i32 s2, 1
	v_lshlrev_b32_e32 v140, 4, v42
	s_barrier
	s_cbranch_scc1 .LBB129_101
; %bb.95:
	s_mul_i32 s0, s26, s33
	s_ashr_i32 s1, s0, 31
	s_lshl_b64 s[0:1], s[0:1], 4
	v_mov_b32_e32 v4, s1
	v_subrev_co_u32_e64 v134, s[0:1], s0, v36
	s_ashr_i32 s23, s22, 31
	s_nop 0
	v_subb_co_u32_e64 v135, s[0:1], v37, v4, s[0:1]
	v_mov_b32_e32 v4, s29
	v_subrev_co_u32_e64 v6, s[0:1], s28, v40
	v_and_b32_e32 v10, 15, v42
	s_nop 0
	v_subb_co_u32_e64 v7, s[0:1], v41, v4, s[0:1]
	v_lshlrev_b64 v[4:5], 4, v[38:39]
	v_sub_co_u32_e64 v4, s[0:1], v6, v4
	v_mul_lo_u32 v6, v133, s24
	s_nop 0
	v_subb_co_u32_e64 v5, s[0:1], v7, v5, s[0:1]
	v_lshl_add_u32 v6, v6, 2, v42
	v_ashrrev_i32_e32 v7, 31, v6
	s_movk_i32 s0, 0xfe00
	v_lshl_add_u64 v[4:5], v[6:7], 4, v[4:5]
	s_mov_b32 s1, -1
	v_lshl_add_u64 v[6:7], v[4:5], 0, s[0:1]
	v_sub_co_u32_e64 v4, s[0:1], v4, v140
	s_movk_i32 s8, 0x430
	s_nop 0
	v_subbrev_co_u32_e64 v5, s[0:1], 0, v5, s[0:1]
	s_movk_i32 s0, 0xfdf0
	v_lshl_add_u64 v[4:5], s[22:23], 4, v[4:5]
	s_mov_b32 s1, -1
	v_lshl_add_u64 v[4:5], v[4:5], 0, s[0:1]
	v_cndmask_b32_e32 v8, v6, v4, vcc
	v_and_b32_e32 v4, 48, v42
	v_cndmask_b32_e32 v9, v7, v5, vcc
	v_lshlrev_b32_e32 v5, 4, v4
	v_mad_u32_u24 v143, v10, s8, v5
	v_or_b32_e32 v5, 0xf0, v140
	v_mad_u32_u24 v144, v10, s8, v5
	v_lshlrev_b32_e32 v5, 2, v43
	v_and_b32_e32 v5, 0x7ffc0, v5
	v_mad_u32_u24 v145, v10, s8, v5
	v_mov_b32_e32 v5, 0x4300
	s_ashr_i32 s25, s24, 31
	v_lshl_add_u32 v146, v133, 6, v5
	s_movk_i32 s9, 0x10c0
	v_and_b32_e32 v5, 0x1fff0, v43
	v_mov_b32_e32 v137, 0
	s_lshl_b32 s3, s33, 6
	v_add_u32_e32 v141, 0x4300, v140
	v_add_u32_e32 v142, 0x4700, v140
	v_cmp_gt_u32_e64 s[0:1], 64, v43
	v_mad_u32_u24 v147, v133, s9, v140
	v_mad_u32_u24 v148, v10, s8, v5
	s_lshl_b64 s[8:9], s[24:25], 4
	s_mul_hi_i32 s11, s24, 0xd0
	s_mul_i32 s10, s24, 0xd0
	v_or_b32_e32 v136, v4, v10
	s_mov_b32 s12, 0
	s_branch .LBB129_97
.LBB129_96:                             ;   in Loop: Header=BB129_97 Depth=1
	s_or_b64 exec, exec, s[14:15]
	v_mul_f64 v[150:151], v[6:7], v[22:23]
	v_fma_f64 v[150:151], v[4:5], v[20:21], -v[150:151]
	v_mul_f64 v[4:5], v[4:5], v[22:23]
	v_mul_f64 v[22:23], v[10:11], v[42:43]
	v_add_f64 v[0:1], v[0:1], v[150:151]
	v_fma_f64 v[22:23], v[8:9], v[40:41], -v[22:23]
	v_add_f64 v[0:1], v[0:1], v[22:23]
	v_mul_f64 v[22:23], v[14:15], v[46:47]
	v_fma_f64 v[22:23], v[12:13], v[44:45], -v[22:23]
	v_add_f64 v[0:1], v[0:1], v[22:23]
	v_mul_f64 v[22:23], v[18:19], v[50:51]
	v_fmac_f64_e32 v[4:5], v[6:7], v[20:21]
	v_fma_f64 v[22:23], v[16:17], v[48:49], -v[22:23]
	v_add_f64 v[2:3], v[2:3], v[4:5]
	v_mul_f64 v[4:5], v[26:27], v[70:71]
	v_add_f64 v[0:1], v[0:1], v[22:23]
	v_fma_f64 v[4:5], v[24:25], v[68:69], -v[4:5]
	v_add_f64 v[0:1], v[0:1], v[4:5]
	v_mul_f64 v[4:5], v[30:31], v[82:83]
	v_fma_f64 v[4:5], v[28:29], v[80:81], -v[4:5]
	v_add_f64 v[0:1], v[0:1], v[4:5]
	v_mul_f64 v[4:5], v[38:39], v[78:79]
	;; [unrolled: 3-line block ×3, first 2 shown]
	v_fma_f64 v[4:5], v[32:33], v[72:73], -v[4:5]
	v_mul_f64 v[8:9], v[8:9], v[42:43]
	v_add_f64 v[0:1], v[0:1], v[4:5]
	v_mul_f64 v[4:5], v[66:67], v[102:103]
	v_mul_f64 v[12:13], v[12:13], v[46:47]
	v_fmac_f64_e32 v[8:9], v[10:11], v[40:41]
	v_fma_f64 v[4:5], v[64:65], v[100:101], -v[4:5]
	v_mul_f64 v[16:17], v[16:17], v[50:51]
	v_add_f64 v[2:3], v[2:3], v[8:9]
	v_fmac_f64_e32 v[12:13], v[14:15], v[44:45]
	v_add_f64 v[0:1], v[0:1], v[4:5]
	v_mul_f64 v[4:5], v[62:63], v[118:119]
	v_add_f64 v[2:3], v[2:3], v[12:13]
	v_fmac_f64_e32 v[16:17], v[18:19], v[48:49]
	v_mul_f64 v[6:7], v[24:25], v[70:71]
	v_fma_f64 v[4:5], v[60:61], v[116:117], -v[4:5]
	v_add_f64 v[2:3], v[2:3], v[16:17]
	v_mul_f64 v[8:9], v[28:29], v[82:83]
	v_fmac_f64_e32 v[6:7], v[26:27], v[68:69]
	v_add_f64 v[0:1], v[0:1], v[4:5]
	v_mul_f64 v[4:5], v[58:59], v[114:115]
	v_mul_f64 v[10:11], v[36:37], v[78:79]
	v_add_f64 v[2:3], v[2:3], v[6:7]
	v_fmac_f64_e32 v[8:9], v[30:31], v[80:81]
	v_fma_f64 v[4:5], v[56:57], v[112:113], -v[4:5]
	v_mul_f64 v[12:13], v[32:33], v[74:75]
	v_add_f64 v[2:3], v[2:3], v[8:9]
	v_fmac_f64_e32 v[10:11], v[38:39], v[76:77]
	v_add_f64 v[0:1], v[0:1], v[4:5]
	v_mul_f64 v[4:5], v[54:55], v[110:111]
	v_add_f64 v[2:3], v[2:3], v[10:11]
	v_fmac_f64_e32 v[12:13], v[34:35], v[72:73]
	v_mul_f64 v[6:7], v[64:65], v[102:103]
	v_fma_f64 v[4:5], v[52:53], v[108:109], -v[4:5]
	v_add_f64 v[2:3], v[2:3], v[12:13]
	v_mul_f64 v[8:9], v[60:61], v[118:119]
	v_add_f64 v[0:1], v[0:1], v[4:5]
	v_fmac_f64_e32 v[6:7], v[66:67], v[100:101]
	v_mul_f64 v[4:5], v[86:87], v[106:107]
	v_mul_f64 v[10:11], v[56:57], v[114:115]
	v_add_f64 v[2:3], v[2:3], v[6:7]
	v_fmac_f64_e32 v[8:9], v[62:63], v[116:117]
	v_fma_f64 v[4:5], v[84:85], v[104:105], -v[4:5]
	v_mul_f64 v[12:13], v[52:53], v[110:111]
	v_add_f64 v[2:3], v[2:3], v[8:9]
	v_fmac_f64_e32 v[10:11], v[58:59], v[112:113]
	v_add_f64 v[0:1], v[0:1], v[4:5]
	v_mul_f64 v[4:5], v[90:91], v[122:123]
	v_add_f64 v[2:3], v[2:3], v[10:11]
	v_fmac_f64_e32 v[12:13], v[54:55], v[108:109]
	v_mul_f64 v[6:7], v[84:85], v[106:107]
	v_fma_f64 v[4:5], v[88:89], v[120:121], -v[4:5]
	v_add_f64 v[2:3], v[2:3], v[12:13]
	v_mul_f64 v[8:9], v[88:89], v[122:123]
	v_add_f64 v[0:1], v[0:1], v[4:5]
	v_mul_f64 v[4:5], v[94:95], v[126:127]
	v_fmac_f64_e32 v[6:7], v[86:87], v[104:105]
	v_fma_f64 v[4:5], v[92:93], v[124:125], -v[4:5]
	v_mul_f64 v[10:11], v[92:93], v[126:127]
	v_fmac_f64_e32 v[8:9], v[90:91], v[120:121]
	v_add_f64 v[2:3], v[2:3], v[6:7]
	v_add_f64 v[0:1], v[0:1], v[4:5]
	v_mul_f64 v[4:5], v[98:99], v[130:131]
	v_mul_f64 v[12:13], v[96:97], v[130:131]
	v_fmac_f64_e32 v[10:11], v[94:95], v[124:125]
	v_add_f64 v[2:3], v[2:3], v[8:9]
	v_fma_f64 v[4:5], v[96:97], v[128:129], -v[4:5]
	v_fmac_f64_e32 v[12:13], v[98:99], v[128:129]
	v_add_f64 v[2:3], v[2:3], v[10:11]
	s_add_i32 s2, s2, -1
	s_add_i32 s12, s12, s3
	v_add_f64 v[0:1], v[0:1], v[4:5]
	v_add_f64 v[2:3], v[2:3], v[12:13]
	v_add_u32_e32 v136, 64, v136
	s_cmp_eq_u32 s2, 0
	v_lshl_add_u64 v[8:9], v[138:139], 0, s[10:11]
	s_barrier
	s_cbranch_scc1 .LBB129_101
.LBB129_97:                             ; =>This Inner Loop Header: Depth=1
	s_and_saveexec_b64 s[14:15], s[18:19]
	s_cbranch_execz .LBB129_99
; %bb.98:                               ;   in Loop: Header=BB129_97 Depth=1
	s_ashr_i32 s13, s12, 31
	v_lshl_add_u64 v[4:5], s[12:13], 4, v[134:135]
	global_load_dwordx4 v[4:7], v[4:5], off
	s_waitcnt vmcnt(0)
	ds_write2_b64 v141, v[4:5], v[6:7] offset1:1
.LBB129_99:                             ;   in Loop: Header=BB129_97 Depth=1
	s_or_b64 exec, exec, s[14:15]
	s_waitcnt lgkmcnt(0)
	s_barrier
	global_load_dwordx4 v[4:7], v[8:9], off
	v_lshl_add_u64 v[12:13], v[8:9], 0, s[8:9]
	global_load_dwordx4 v[8:11], v[12:13], off
	v_lshl_add_u64 v[16:17], v[12:13], 0, s[8:9]
	;; [unrolled: 2-line block ×3, first 2 shown]
	global_load_dwordx4 v[16:19], v[28:29], off
	ds_read_b128 v[24:27], v142
	ds_read_b128 v[20:23], v146
	v_lshl_add_u64 v[36:37], v[28:29], 0, s[10:11]
	s_waitcnt vmcnt(3) lgkmcnt(1)
	v_mul_f64 v[28:29], v[6:7], v[26:27]
	v_mul_f64 v[30:31], v[4:5], v[26:27]
	v_fma_f64 v[28:29], v[4:5], v[24:25], -v[28:29]
	v_fmac_f64_e32 v[30:31], v[6:7], v[24:25]
	s_waitcnt vmcnt(2)
	v_mul_f64 v[34:35], v[10:11], v[26:27]
	v_mul_f64 v[32:33], v[8:9], v[26:27]
	ds_write_b128 v147, v[28:31]
	v_fma_f64 v[30:31], v[8:9], v[24:25], -v[34:35]
	v_fmac_f64_e32 v[32:33], v[10:11], v[24:25]
	s_waitcnt vmcnt(1)
	v_mul_f64 v[28:29], v[14:15], v[26:27]
	v_mul_f64 v[34:35], v[12:13], v[26:27]
	ds_read_b128 v[40:43], v146 offset:16
	ds_write_b128 v147, v[30:33] offset:1072
	v_fma_f64 v[32:33], v[12:13], v[24:25], -v[28:29]
	v_fmac_f64_e32 v[34:35], v[14:15], v[24:25]
	s_waitcnt vmcnt(0)
	v_mul_f64 v[30:31], v[18:19], v[26:27]
	v_mul_f64 v[28:29], v[16:17], v[26:27]
	ds_read_b128 v[44:47], v146 offset:32
	ds_write_b128 v147, v[32:35] offset:2144
	v_fma_f64 v[26:27], v[16:17], v[24:25], -v[30:31]
	v_fmac_f64_e32 v[28:29], v[18:19], v[24:25]
	v_lshl_add_u64 v[32:33], v[36:37], 0, s[8:9]
	ds_read_b128 v[48:51], v146 offset:48
	ds_write_b128 v147, v[26:29] offset:3216
	s_waitcnt lgkmcnt(0)
	s_barrier
	ds_read_b128 v[128:131], v145
	ds_read_b128 v[124:127], v145 offset:16
	ds_read_b128 v[120:123], v145 offset:32
	;; [unrolled: 1-line block ×3, first 2 shown]
	s_waitcnt lgkmcnt(0)
	s_barrier
	global_load_dwordx4 v[24:27], v[36:37], off
	global_load_dwordx4 v[28:31], v[32:33], off
	v_lshl_add_u64 v[32:33], v[32:33], 0, s[8:9]
	v_lshl_add_u64 v[56:57], v[32:33], 0, s[8:9]
	global_load_dwordx4 v[36:39], v[32:33], off
	ds_read_b128 v[52:55], v142
	ds_read_b128 v[68:71], v146 offset:256
	global_load_dwordx4 v[32:35], v[56:57], off
	v_lshl_add_u64 v[88:89], v[56:57], 0, s[10:11]
	v_add_f64 v[128:129], v[128:129], 0
	v_add_f64 v[130:131], v[130:131], 0
	;; [unrolled: 1-line block ×8, first 2 shown]
	s_waitcnt vmcnt(3) lgkmcnt(1)
	v_mul_f64 v[58:59], v[26:27], v[54:55]
	v_mul_f64 v[56:57], v[24:25], v[54:55]
	s_waitcnt vmcnt(2)
	v_mul_f64 v[62:63], v[30:31], v[54:55]
	v_mul_f64 v[60:61], v[28:29], v[54:55]
	s_waitcnt vmcnt(1)
	v_mul_f64 v[66:67], v[38:39], v[54:55]
	v_mul_f64 v[64:65], v[36:37], v[54:55]
	v_fmac_f64_e32 v[56:57], v[26:27], v[52:53]
	s_waitcnt vmcnt(0)
	v_mul_f64 v[72:73], v[34:35], v[54:55]
	v_mul_f64 v[86:87], v[32:33], v[54:55]
	v_fma_f64 v[54:55], v[24:25], v[52:53], -v[58:59]
	v_fma_f64 v[58:59], v[28:29], v[52:53], -v[62:63]
	v_fmac_f64_e32 v[60:61], v[30:31], v[52:53]
	ds_write_b128 v147, v[54:57]
	v_fma_f64 v[62:63], v[36:37], v[52:53], -v[66:67]
	v_fmac_f64_e32 v[64:65], v[38:39], v[52:53]
	ds_read_b128 v[80:83], v146 offset:272
	ds_write_b128 v147, v[58:61] offset:1072
	v_fma_f64 v[84:85], v[32:33], v[52:53], -v[72:73]
	v_fmac_f64_e32 v[86:87], v[34:35], v[52:53]
	ds_read_b128 v[76:79], v146 offset:288
	ds_write_b128 v147, v[62:65] offset:2144
	v_lshl_add_u64 v[52:53], v[88:89], 0, s[8:9]
	ds_read_b128 v[72:75], v146 offset:304
	ds_write_b128 v147, v[84:87] offset:3216
	s_waitcnt lgkmcnt(0)
	s_barrier
	ds_read_b128 v[150:153], v145
	ds_read_b128 v[154:157], v145 offset:16
	ds_read_b128 v[158:161], v145 offset:32
	;; [unrolled: 1-line block ×3, first 2 shown]
	s_waitcnt lgkmcnt(0)
	s_barrier
	global_load_dwordx4 v[60:63], v[52:53], off
	v_lshl_add_u64 v[52:53], v[52:53], 0, s[8:9]
	global_load_dwordx4 v[64:67], v[88:89], off
	v_lshl_add_u64 v[88:89], v[52:53], 0, s[8:9]
	global_load_dwordx4 v[56:59], v[52:53], off
	ds_read_b128 v[84:87], v142
	ds_read_b128 v[100:103], v146 offset:512
	global_load_dwordx4 v[52:55], v[88:89], off
	v_lshl_add_u64 v[98:99], v[88:89], 0, s[10:11]
	v_add_f64 v[104:105], v[150:151], 0
	v_add_f64 v[106:107], v[152:153], 0
	;; [unrolled: 1-line block ×8, first 2 shown]
	s_waitcnt vmcnt(3) lgkmcnt(1)
	v_mul_f64 v[94:95], v[62:63], v[86:87]
	v_mul_f64 v[92:93], v[60:61], v[86:87]
	s_waitcnt vmcnt(2)
	v_mul_f64 v[90:91], v[66:67], v[86:87]
	v_mul_f64 v[88:89], v[64:65], v[86:87]
	s_waitcnt vmcnt(1)
	v_mul_f64 v[108:109], v[58:59], v[86:87]
	v_mul_f64 v[96:97], v[56:57], v[86:87]
	v_fmac_f64_e32 v[88:89], v[66:67], v[84:85]
	s_waitcnt vmcnt(0)
	v_mul_f64 v[110:111], v[54:55], v[86:87]
	v_mul_f64 v[168:169], v[52:53], v[86:87]
	v_fma_f64 v[86:87], v[64:65], v[84:85], -v[90:91]
	v_fma_f64 v[90:91], v[60:61], v[84:85], -v[94:95]
	v_fmac_f64_e32 v[92:93], v[62:63], v[84:85]
	ds_write_b128 v147, v[86:89]
	v_fma_f64 v[94:95], v[56:57], v[84:85], -v[108:109]
	v_fmac_f64_e32 v[96:97], v[58:59], v[84:85]
	ds_read_b128 v[116:119], v146 offset:528
	ds_write_b128 v147, v[90:93] offset:1072
	v_lshl_add_u64 v[92:93], v[98:99], 0, s[8:9]
	v_fma_f64 v[166:167], v[52:53], v[84:85], -v[110:111]
	v_fmac_f64_e32 v[168:169], v[54:55], v[84:85]
	ds_read_b128 v[112:115], v146 offset:544
	ds_write_b128 v147, v[94:97] offset:2144
	v_lshl_add_u64 v[96:97], v[92:93], 0, s[8:9]
	ds_read_b128 v[108:111], v146 offset:560
	ds_write_b128 v147, v[166:169] offset:3216
	s_waitcnt lgkmcnt(0)
	s_barrier
	ds_read_b128 v[166:169], v145
	ds_read_b128 v[170:173], v145 offset:16
	ds_read_b128 v[174:177], v145 offset:32
	;; [unrolled: 1-line block ×3, first 2 shown]
	s_waitcnt lgkmcnt(0)
	s_barrier
	global_load_dwordx4 v[84:87], v[98:99], off
	v_lshl_add_u64 v[138:139], v[96:97], 0, s[8:9]
	global_load_dwordx4 v[88:91], v[92:93], off
	v_add_f64 v[124:125], v[166:167], 0
	global_load_dwordx4 v[92:95], v[96:97], off
	v_add_f64 v[126:127], v[168:169], 0
	global_load_dwordx4 v[96:99], v[138:139], off
	ds_read_b128 v[120:123], v142
	ds_read_b128 v[104:107], v146 offset:768
	v_add_f64 v[124:125], v[124:125], v[170:171]
	v_add_f64 v[126:127], v[126:127], v[172:173]
	;; [unrolled: 1-line block ×6, first 2 shown]
	s_waitcnt vmcnt(3) lgkmcnt(1)
	v_mul_f64 v[126:127], v[86:87], v[122:123]
	v_mul_f64 v[124:125], v[84:85], v[122:123]
	s_waitcnt vmcnt(2)
	v_mul_f64 v[130:131], v[90:91], v[122:123]
	v_mul_f64 v[128:129], v[88:89], v[122:123]
	s_waitcnt vmcnt(1)
	;; [unrolled: 3-line block ×3, first 2 shown]
	v_mul_f64 v[162:163], v[98:99], v[122:123]
	v_mul_f64 v[164:165], v[96:97], v[122:123]
	v_fma_f64 v[122:123], v[84:85], v[120:121], -v[126:127]
	v_fmac_f64_e32 v[124:125], v[86:87], v[120:121]
	v_fma_f64 v[126:127], v[88:89], v[120:121], -v[130:131]
	v_fmac_f64_e32 v[128:129], v[90:91], v[120:121]
	ds_write_b128 v147, v[122:125]
	v_fma_f64 v[158:159], v[92:93], v[120:121], -v[158:159]
	v_fmac_f64_e32 v[160:161], v[94:95], v[120:121]
	v_fma_f64 v[162:163], v[96:97], v[120:121], -v[162:163]
	v_fmac_f64_e32 v[164:165], v[98:99], v[120:121]
	ds_read_b128 v[120:123], v146 offset:784
	ds_write_b128 v147, v[126:129] offset:1072
	ds_read_b128 v[124:127], v146 offset:800
	ds_write_b128 v147, v[158:161] offset:2144
	;; [unrolled: 2-line block ×3, first 2 shown]
	s_waitcnt lgkmcnt(0)
	s_barrier
	ds_read_b128 v[158:161], v145
	ds_read_b128 v[162:165], v145 offset:16
	ds_read_b128 v[166:169], v145 offset:32
	;; [unrolled: 1-line block ×3, first 2 shown]
	s_waitcnt lgkmcnt(0)
	s_barrier
	ds_write_b128 v148, v[182:185]
	ds_write_b128 v148, v[150:153] offset:256
	ds_write_b128 v148, v[154:157] offset:512
	v_add_f64 v[150:151], v[158:159], 0
	v_add_f64 v[152:153], v[160:161], 0
	;; [unrolled: 1-line block ×8, first 2 shown]
	ds_write_b128 v148, v[150:153] offset:768
	s_waitcnt lgkmcnt(0)
	s_barrier
	s_and_saveexec_b64 s[14:15], s[0:1]
	s_cbranch_execz .LBB129_96
; %bb.100:                              ;   in Loop: Header=BB129_97 Depth=1
	ds_read_b128 v[150:153], v143
	ds_read_b128 v[154:157], v143 offset:16
	ds_read_b128 v[158:161], v143 offset:32
	;; [unrolled: 1-line block ×3, first 2 shown]
	s_waitcnt lgkmcnt(2)
	v_add_f64 v[150:151], v[154:155], v[150:151]
	v_add_f64 v[154:155], v[156:157], v[152:153]
	s_waitcnt lgkmcnt(1)
	v_add_f64 v[156:157], v[150:151], v[158:159]
	ds_read_b128 v[150:153], v143 offset:64
	v_add_f64 v[158:159], v[154:155], v[160:161]
	s_waitcnt lgkmcnt(1)
	v_add_f64 v[160:161], v[156:157], v[162:163]
	ds_read_b128 v[154:157], v143 offset:80
	;; [unrolled: 4-line block ×9, first 2 shown]
	v_add_f64 v[152:153], v[162:163], v[152:153]
	s_waitcnt lgkmcnt(1)
	v_add_f64 v[154:155], v[150:151], v[154:155]
	v_add_f64 v[162:163], v[152:153], v[156:157]
	ds_read_b128 v[150:153], v143 offset:208
	s_waitcnt lgkmcnt(1)
	v_add_f64 v[164:165], v[154:155], v[158:159]
	ds_read_b128 v[154:157], v143 offset:224
	v_add_f64 v[162:163], v[162:163], v[160:161]
	ds_read_b128 v[158:161], v144
	s_waitcnt lgkmcnt(2)
	v_add_f64 v[150:151], v[164:165], v[150:151]
	v_add_f64 v[152:153], v[162:163], v[152:153]
	s_waitcnt lgkmcnt(1)
	v_add_f64 v[150:151], v[150:151], v[154:155]
	v_add_f64 v[152:153], v[152:153], v[156:157]
	;; [unrolled: 3-line block ×3, first 2 shown]
	v_lshl_add_u64 v[154:155], v[136:137], 4, s[6:7]
	global_store_dwordx4 v[154:155], v[150:153], off
	s_branch .LBB129_96
.LBB129_101:
	s_movk_i32 s0, 0x430
	v_mad_u32_u24 v4, v133, s0, v140
	s_or_b64 s[0:1], s[4:5], vcc
	s_xor_b64 s[0:1], s[0:1], -1
	ds_write_b128 v4, v[0:3]
	s_waitcnt lgkmcnt(0)
	s_barrier
	s_and_saveexec_b64 s[2:3], s[0:1]
	s_cbranch_execz .LBB129_103
; %bb.102:
	ds_read_b128 v[0:3], v140 offset:1072
	ds_read_b128 v[4:7], v140
	ds_read_b128 v[8:11], v140 offset:2144
	ds_read_b128 v[12:15], v140 offset:3216
	v_ashrrev_i32_e32 v133, 31, v132
	s_waitcnt lgkmcnt(2)
	v_add_f64 v[0:1], v[0:1], v[4:5]
	v_add_f64 v[2:3], v[2:3], v[6:7]
	s_waitcnt lgkmcnt(1)
	v_add_f64 v[0:1], v[0:1], v[8:9]
	v_add_f64 v[2:3], v[2:3], v[10:11]
	;; [unrolled: 3-line block ×3, first 2 shown]
	v_lshl_add_u64 v[4:5], v[132:133], 4, s[6:7]
	global_store_dwordx4 v[4:5], v[0:3], off
.LBB129_103:
	s_endpgm
	.section	.rodata,"a",@progbits
	.p2align	6, 0x0
	.amdhsa_kernel _ZL26rocblas_hemvn_kernel_lowerILb0ELi64ELi4ELi33ELi32ELi16Ei19rocblas_complex_numIdEPKS1_PS1_EviT6_lT7_lT5_lS6_lS7_lS5_lT8_i
		.amdhsa_group_segment_fixed_size 19200
		.amdhsa_private_segment_fixed_size 0
		.amdhsa_kernarg_size 392
		.amdhsa_user_sgpr_count 2
		.amdhsa_user_sgpr_dispatch_ptr 0
		.amdhsa_user_sgpr_queue_ptr 0
		.amdhsa_user_sgpr_kernarg_segment_ptr 1
		.amdhsa_user_sgpr_dispatch_id 0
		.amdhsa_user_sgpr_kernarg_preload_length 0
		.amdhsa_user_sgpr_kernarg_preload_offset 0
		.amdhsa_user_sgpr_private_segment_size 0
		.amdhsa_uses_dynamic_stack 0
		.amdhsa_enable_private_segment 0
		.amdhsa_system_sgpr_workgroup_id_x 1
		.amdhsa_system_sgpr_workgroup_id_y 0
		.amdhsa_system_sgpr_workgroup_id_z 1
		.amdhsa_system_sgpr_workgroup_info 0
		.amdhsa_system_vgpr_workitem_id 1
		.amdhsa_next_free_vgpr 186
		.amdhsa_next_free_sgpr 42
		.amdhsa_accum_offset 188
		.amdhsa_reserve_vcc 1
		.amdhsa_float_round_mode_32 0
		.amdhsa_float_round_mode_16_64 0
		.amdhsa_float_denorm_mode_32 3
		.amdhsa_float_denorm_mode_16_64 3
		.amdhsa_dx10_clamp 1
		.amdhsa_ieee_mode 1
		.amdhsa_fp16_overflow 0
		.amdhsa_tg_split 0
		.amdhsa_exception_fp_ieee_invalid_op 0
		.amdhsa_exception_fp_denorm_src 0
		.amdhsa_exception_fp_ieee_div_zero 0
		.amdhsa_exception_fp_ieee_overflow 0
		.amdhsa_exception_fp_ieee_underflow 0
		.amdhsa_exception_fp_ieee_inexact 0
		.amdhsa_exception_int_div_zero 0
	.end_amdhsa_kernel
	.section	.text._ZL26rocblas_hemvn_kernel_lowerILb0ELi64ELi4ELi33ELi32ELi16Ei19rocblas_complex_numIdEPKS1_PS1_EviT6_lT7_lT5_lS6_lS7_lS5_lT8_i,"axG",@progbits,_ZL26rocblas_hemvn_kernel_lowerILb0ELi64ELi4ELi33ELi32ELi16Ei19rocblas_complex_numIdEPKS1_PS1_EviT6_lT7_lT5_lS6_lS7_lS5_lT8_i,comdat
.Lfunc_end129:
	.size	_ZL26rocblas_hemvn_kernel_lowerILb0ELi64ELi4ELi33ELi32ELi16Ei19rocblas_complex_numIdEPKS1_PS1_EviT6_lT7_lT5_lS6_lS7_lS5_lT8_i, .Lfunc_end129-_ZL26rocblas_hemvn_kernel_lowerILb0ELi64ELi4ELi33ELi32ELi16Ei19rocblas_complex_numIdEPKS1_PS1_EviT6_lT7_lT5_lS6_lS7_lS5_lT8_i
                                        ; -- End function
	.section	.AMDGPU.csdata,"",@progbits
; Kernel info:
; codeLenInByte = 8868
; NumSgprs: 48
; NumVgprs: 186
; NumAgprs: 0
; TotalNumVgprs: 186
; ScratchSize: 0
; MemoryBound: 0
; FloatMode: 240
; IeeeMode: 1
; LDSByteSize: 19200 bytes/workgroup (compile time only)
; SGPRBlocks: 5
; VGPRBlocks: 23
; NumSGPRsForWavesPerEU: 48
; NumVGPRsForWavesPerEU: 186
; AccumOffset: 188
; Occupancy: 2
; WaveLimiterHint : 1
; COMPUTE_PGM_RSRC2:SCRATCH_EN: 0
; COMPUTE_PGM_RSRC2:USER_SGPR: 2
; COMPUTE_PGM_RSRC2:TRAP_HANDLER: 0
; COMPUTE_PGM_RSRC2:TGID_X_EN: 1
; COMPUTE_PGM_RSRC2:TGID_Y_EN: 0
; COMPUTE_PGM_RSRC2:TGID_Z_EN: 1
; COMPUTE_PGM_RSRC2:TIDIG_COMP_CNT: 1
; COMPUTE_PGM_RSRC3_GFX90A:ACCUM_OFFSET: 46
; COMPUTE_PGM_RSRC3_GFX90A:TG_SPLIT: 0
	.section	.text._ZL50rocblas_symv_kernel_upper_double_buffered_diagonalILi32ELi4E24rocblas_internal_val_ptrIfEPKPKfPKPfEvbiT1_lT2_lllSA_lllS9_lT3_llli,"axG",@progbits,_ZL50rocblas_symv_kernel_upper_double_buffered_diagonalILi32ELi4E24rocblas_internal_val_ptrIfEPKPKfPKPfEvbiT1_lT2_lllSA_lllS9_lT3_llli,comdat
	.globl	_ZL50rocblas_symv_kernel_upper_double_buffered_diagonalILi32ELi4E24rocblas_internal_val_ptrIfEPKPKfPKPfEvbiT1_lT2_lllSA_lllS9_lT3_llli ; -- Begin function _ZL50rocblas_symv_kernel_upper_double_buffered_diagonalILi32ELi4E24rocblas_internal_val_ptrIfEPKPKfPKPfEvbiT1_lT2_lllSA_lllS9_lT3_llli
	.p2align	8
	.type	_ZL50rocblas_symv_kernel_upper_double_buffered_diagonalILi32ELi4E24rocblas_internal_val_ptrIfEPKPKfPKPfEvbiT1_lT2_lllSA_lllS9_lT3_llli,@function
_ZL50rocblas_symv_kernel_upper_double_buffered_diagonalILi32ELi4E24rocblas_internal_val_ptrIfEPKPKfPKPfEvbiT1_lT2_lllSA_lllS9_lT3_llli: ; @_ZL50rocblas_symv_kernel_upper_double_buffered_diagonalILi32ELi4E24rocblas_internal_val_ptrIfEPKPKfPKPfEvbiT1_lT2_lllSA_lllS9_lT3_llli
; %bb.0:
	s_mov_b32 s18, s3
	s_load_dword s3, s[0:1], 0x0
	s_load_dwordx8 s[4:11], s[0:1], 0x8
	s_load_dwordx2 s[16:17], s[0:1], 0x28
	s_mov_b64 s[22:23], -1
                                        ; implicit-def: $sgpr26
	s_waitcnt lgkmcnt(0)
	s_bitcmp1_b32 s3, 0
	s_cselect_b64 s[12:13], -1, 0
	s_xor_b64 s[20:21], s[12:13], -1
	s_and_b64 vcc, exec, s[20:21]
	s_cbranch_vccnz .LBB130_7
; %bb.1:
	s_load_dwordx4 s[12:15], s[0:1], 0x58
	s_andn2_b64 vcc, exec, s[22:23]
	s_cbranch_vccz .LBB130_8
.LBB130_2:
	s_andn2_b64 vcc, exec, s[20:21]
	s_cbranch_vccnz .LBB130_4
.LBB130_3:
	s_waitcnt lgkmcnt(0)
	s_mul_i32 s3, s18, s15
	s_mul_hi_u32 s4, s18, s14
	s_add_i32 s5, s4, s3
	s_mul_i32 s4, s18, s14
	s_lshl_b64 s[4:5], s[4:5], 2
	s_add_u32 s4, s12, s4
	s_addc_u32 s5, s13, s5
	s_load_dword s12, s[4:5], 0x0
.LBB130_4:
	s_waitcnt lgkmcnt(0)
	v_cmp_eq_f32_e64 s[20:21], s26, 0
	v_cmp_eq_f32_e64 s[4:5], s12, 1.0
	s_and_b64 s[4:5], s[20:21], s[4:5]
	s_and_b64 vcc, exec, s[4:5]
	s_cbranch_vccnz .LBB130_43
; %bb.5:
	v_cmp_neq_f32_e64 s[24:25], s26, 0
	s_mov_b32 s19, 0
	s_and_b64 vcc, exec, s[24:25]
	s_cbranch_vccnz .LBB130_9
; %bb.6:
	s_mov_b64 s[14:15], 0
	s_load_dwordx2 s[22:23], s[0:1], 0x68
	s_cbranch_execz .LBB130_10
	s_branch .LBB130_11
.LBB130_7:
	s_mul_i32 s3, s18, s7
	s_mul_hi_u32 s7, s18, s6
	s_add_i32 s7, s7, s3
	s_mul_i32 s6, s18, s6
	s_lshl_b64 s[6:7], s[6:7], 2
	s_add_u32 s6, s4, s6
	s_addc_u32 s7, s5, s7
	s_load_dword s26, s[6:7], 0x0
	s_load_dwordx4 s[12:15], s[0:1], 0x58
	s_cbranch_execnz .LBB130_2
.LBB130_8:
	s_waitcnt lgkmcnt(0)
	s_mov_b32 s26, s4
	s_andn2_b64 vcc, exec, s[20:21]
	s_cbranch_vccz .LBB130_3
	s_branch .LBB130_4
.LBB130_9:
                                        ; implicit-def: $sgpr14_sgpr15
	s_load_dwordx2 s[22:23], s[0:1], 0x68
.LBB130_10:
	s_lshl_b64 s[4:5], s[18:19], 3
	s_add_u32 s4, s8, s4
	s_addc_u32 s5, s9, s5
	s_load_dwordx2 s[4:5], s[4:5], 0x0
	s_lshl_b64 s[6:7], s[10:11], 2
	s_waitcnt lgkmcnt(0)
	s_add_u32 s14, s4, s6
	s_addc_u32 s15, s5, s7
.LBB130_11:
	s_load_dwordx4 s[4:7], s[0:1], 0x38
	s_load_dwordx2 s[8:9], s[0:1], 0x48
	s_andn2_b64 vcc, exec, s[24:25]
	s_cbranch_vccnz .LBB130_13
; %bb.12:
	s_lshl_b64 s[10:11], s[18:19], 3
	s_waitcnt lgkmcnt(0)
	s_add_u32 s4, s4, s10
	s_addc_u32 s5, s5, s11
	s_load_dwordx2 s[4:5], s[4:5], 0x0
	s_lshl_b64 s[6:7], s[6:7], 2
	s_waitcnt lgkmcnt(0)
	s_add_u32 s10, s4, s6
	s_addc_u32 s11, s5, s7
	s_branch .LBB130_14
.LBB130_13:
	s_mov_b64 s[10:11], 0
.LBB130_14:
	s_waitcnt lgkmcnt(0)
	s_load_dwordx4 s[4:7], s[0:1], 0x70
	s_lshl_b64 s[0:1], s[18:19], 3
	s_add_u32 s0, s22, s0
	s_addc_u32 s1, s23, s1
	s_load_dwordx2 s[0:1], s[0:1], 0x0
	s_waitcnt lgkmcnt(0)
	s_lshl_b64 s[4:5], s[4:5], 2
	v_bfe_u32 v11, v0, 10, 10
	v_and_b32_e32 v10, 0x3ff, v0
	s_add_u32 s3, s0, s4
	s_addc_u32 s4, s1, s5
	s_lshl_b32 s13, s2, 5
	s_ashr_i32 s18, s13, 31
	s_mul_i32 s0, s13, s7
	s_mul_hi_u32 s1, s13, s6
	s_add_i32 s0, s1, s0
	s_mul_i32 s1, s18, s6
	s_add_i32 s1, s0, s1
	s_mul_i32 s0, s13, s6
	s_lshl_b64 s[0:1], s[0:1], 2
	s_add_u32 s2, s3, s0
	s_addc_u32 s3, s4, s1
	s_mov_b64 s[4:5], -1
	s_andn2_b64 vcc, exec, s[20:21]
	v_cmp_eq_u32_e64 s[0:1], 0, v11
	s_cbranch_vccnz .LBB130_18
; %bb.15:
	s_and_saveexec_b64 s[4:5], s[0:1]
	s_cbranch_execz .LBB130_17
; %bb.16:
	v_mad_u64_u32 v[0:1], s[0:1], v10, s6, 0
	v_mov_b32_e32 v2, v1
	v_mad_u64_u32 v[2:3], s[0:1], v10, s7, v[2:3]
	v_mov_b32_e32 v1, v2
	v_lshl_add_u64 v[0:1], v[0:1], 2, s[2:3]
	global_load_dword v2, v[0:1], off
	s_waitcnt vmcnt(0)
	v_mul_f32_e32 v2, s12, v2
	global_store_dword v[0:1], v2, off
.LBB130_17:
	s_or_b64 exec, exec, s[4:5]
	s_mov_b64 s[4:5], 0
.LBB130_18:
	s_andn2_b64 vcc, exec, s[4:5]
	s_cbranch_vccnz .LBB130_43
; %bb.19:
	v_mov_b32_e32 v12, 0
	v_cmp_eq_u32_e64 s[0:1], 0, v11
	s_and_saveexec_b64 s[4:5], s[0:1]
	s_cbranch_execz .LBB130_23
; %bb.20:
	v_cmp_eq_f32_e64 s[20:21], s12, 0
	v_mov_b32_e32 v12, 0
	s_and_b64 vcc, exec, s[20:21]
	s_cbranch_vccnz .LBB130_22
; %bb.21:
	v_mad_u64_u32 v[0:1], s[20:21], v10, s6, 0
	v_mov_b32_e32 v2, v1
	v_mad_u64_u32 v[2:3], s[20:21], v10, s7, v[2:3]
	v_mov_b32_e32 v1, v2
	v_lshl_add_u64 v[0:1], v[0:1], 2, s[2:3]
	global_load_dword v0, v[0:1], off
	s_waitcnt vmcnt(0)
	v_mul_f32_e32 v12, s12, v0
.LBB130_22:
	s_mul_i32 s19, s13, s9
	s_mul_hi_u32 s20, s13, s8
	s_add_i32 s19, s20, s19
	s_mul_i32 s20, s18, s8
	s_add_i32 s21, s19, s20
	s_mul_i32 s20, s13, s8
	s_lshl_b64 s[20:21], s[20:21], 2
	s_add_u32 s10, s10, s20
	s_addc_u32 s11, s11, s21
	v_mad_u64_u32 v[0:1], s[20:21], v10, s8, 0
	v_mov_b32_e32 v2, v1
	v_mad_u64_u32 v[2:3], s[8:9], v10, s9, v[2:3]
	v_mov_b32_e32 v1, v2
	v_lshl_add_u64 v[0:1], v[0:1], 2, s[10:11]
	flat_load_dword v0, v[0:1]
	v_lshlrev_b32_e32 v1, 2, v10
	s_waitcnt vmcnt(0) lgkmcnt(0)
	ds_write_b32 v1, v0 offset:5120
.LBB130_23:
	s_or_b64 exec, exec, s[4:5]
	s_add_u32 s4, s16, 1
	s_addc_u32 s5, s17, 0
	s_mul_i32 s8, s4, s18
	s_mul_hi_u32 s9, s4, s13
	s_add_i32 s8, s9, s8
	s_mul_i32 s5, s5, s13
	s_add_i32 s5, s8, s5
	s_mul_i32 s4, s4, s13
	v_mad_u64_u32 v[0:1], s[8:9], v11, s16, 0
	s_lshl_b64 s[4:5], s[4:5], 2
	v_mov_b32_e32 v2, v1
	s_add_u32 s4, s14, s4
	v_mad_u64_u32 v[2:3], s[8:9], v11, s17, v[2:3]
	s_addc_u32 s5, s15, s5
	v_mov_b32_e32 v1, v2
	v_lshl_add_u64 v[2:3], v[0:1], 2, s[4:5]
	v_lshlrev_b32_e32 v0, 2, v10
	v_mov_b32_e32 v1, 0
	v_cmp_lt_u32_e32 vcc, 15, v10
	s_mul_i32 s13, s17, 12
	s_mul_hi_u32 s18, s16, 12
	s_mul_i32 s4, s16, 12
                                        ; implicit-def: $sgpr10_sgpr11
                                        ; implicit-def: $sgpr14_sgpr15
	s_and_saveexec_b64 s[8:9], vcc
	s_xor_b64 s[8:9], exec, s[8:9]
; %bb.24:
	s_lshl_b64 s[10:11], s[16:17], 2
	s_lshl_b64 s[14:15], s[16:17], 3
	s_add_i32 s5, s18, s13
; %bb.25:
	s_or_saveexec_b64 s[8:9], s[8:9]
	v_lshl_add_u64 v[2:3], v[2:3], 0, v[0:1]
	v_lshlrev_b32_e32 v1, 5, v11
	v_mov_b64_e32 v[4:5], s[4:5]
	v_mov_b64_e32 v[6:7], s[14:15]
	v_mov_b64_e32 v[8:9], s[10:11]
	s_xor_b64 exec, exec, s[8:9]
	s_cbranch_execz .LBB130_27
; %bb.26:
	flat_load_dword v6, v[2:3]
	v_or_b32_e32 v4, v1, v10
	s_lshl_b64 s[10:11], s[16:17], 4
	v_lshlrev_b32_e32 v8, 2, v4
	v_lshl_add_u64 v[4:5], v[2:3], 0, s[10:11]
	s_lshl_b64 s[14:15], s[16:17], 3
	s_add_i32 s5, s18, s13
	s_waitcnt vmcnt(0) lgkmcnt(0)
	ds_write_b32 v8, v6
	flat_load_dword v6, v[4:5]
	v_lshl_add_u64 v[4:5], v[4:5], 0, s[10:11]
	s_waitcnt vmcnt(0) lgkmcnt(0)
	ds_write_b32 v8, v6 offset:512
	flat_load_dword v6, v[4:5]
	v_lshl_add_u64 v[4:5], v[4:5], 0, s[10:11]
	s_lshl_b64 s[10:11], s[16:17], 2
	s_waitcnt vmcnt(0) lgkmcnt(0)
	ds_write_b32 v8, v6 offset:1024
	flat_load_dword v9, v[4:5]
	v_mov_b64_e32 v[4:5], s[4:5]
	v_mov_b64_e32 v[6:7], s[14:15]
	s_waitcnt vmcnt(0) lgkmcnt(0)
	ds_write_b32 v8, v9 offset:1536
	v_mov_b64_e32 v[8:9], s[10:11]
.LBB130_27:
	s_or_b64 exec, exec, s[8:9]
	s_lshl_b64 s[4:5], s[16:17], 6
	v_lshl_add_u64 v[14:15], v[2:3], 0, s[4:5]
	flat_load_dword v3, v[14:15]
	v_add_lshl_u32 v2, v1, v10, 2
	v_lshl_add_u64 v[8:9], v[8:9], 2, v[14:15]
	v_lshl_add_u64 v[6:7], v[6:7], 2, v[14:15]
	;; [unrolled: 1-line block ×3, first 2 shown]
	s_waitcnt vmcnt(0) lgkmcnt(0)
	ds_write_b32 v2, v3 offset:2048
	flat_load_dword v3, v[8:9]
	s_waitcnt vmcnt(0) lgkmcnt(0)
	ds_write_b32 v2, v3 offset:2560
	flat_load_dword v3, v[6:7]
	v_lshlrev_b32_e32 v6, 5, v10
	s_waitcnt vmcnt(0) lgkmcnt(0)
	ds_write_b32 v2, v3 offset:3072
	flat_load_dword v4, v[4:5]
	v_sub_u32_e32 v5, v10, v11
	v_sub_u32_e32 v7, 0, v5
	v_max_i32_e32 v8, v5, v7
	v_add_u32_e32 v3, 0x800, v2
	v_cmp_lt_u32_e32 vcc, 16, v8
	v_add_lshl_u32 v7, v11, v6, 2
	s_waitcnt vmcnt(0) lgkmcnt(0)
	ds_write_b32 v2, v4 offset:3584
	s_waitcnt lgkmcnt(0)
	s_barrier
	s_and_saveexec_b64 s[4:5], vcc
	s_cbranch_execz .LBB130_29
; %bb.28:
	ds_read_b32 v4, v7 offset:64
	s_waitcnt lgkmcnt(0)
	ds_write_b32 v3, v4
.LBB130_29:
	s_or_b64 exec, exec, s[4:5]
	v_add_u32_e32 v4, 0xa00, v2
	v_cmp_lt_u32_e32 vcc, 20, v8
	s_and_saveexec_b64 s[4:5], vcc
	s_cbranch_execz .LBB130_31
; %bb.30:
	ds_read_b32 v5, v7 offset:80
	s_waitcnt lgkmcnt(0)
	ds_write_b32 v4, v5
.LBB130_31:
	s_or_b64 exec, exec, s[4:5]
	v_add_u32_e32 v5, 0xc00, v2
	v_cmp_lt_u32_e32 vcc, 24, v8
	;; [unrolled: 10-line block ×3, first 2 shown]
	s_and_saveexec_b64 s[4:5], vcc
	s_cbranch_execz .LBB130_35
; %bb.34:
	ds_read_b32 v9, v7 offset:112
	s_waitcnt lgkmcnt(0)
	ds_write_b32 v6, v9
.LBB130_35:
	s_or_b64 exec, exec, s[4:5]
	v_add_u32_e32 v9, v1, v10
	v_cmp_ge_u32_e32 vcc, v10, v11
	v_lshlrev_b32_e32 v9, 2, v9
	s_and_saveexec_b64 s[4:5], vcc
	s_cbranch_execnz .LBB130_44
; %bb.36:
	s_or_b64 exec, exec, s[4:5]
	v_cmp_lt_u32_e32 vcc, 4, v8
	s_and_saveexec_b64 s[4:5], vcc
	s_cbranch_execnz .LBB130_45
.LBB130_37:
	s_or_b64 exec, exec, s[4:5]
	v_cmp_lt_u32_e32 vcc, 8, v8
	s_and_saveexec_b64 s[4:5], vcc
	s_cbranch_execz .LBB130_39
.LBB130_38:
	ds_read_b32 v13, v7 offset:32
	s_waitcnt lgkmcnt(0)
	ds_write_b32 v2, v13 offset:1024
.LBB130_39:
	s_or_b64 exec, exec, s[4:5]
	s_movk_i32 s4, 0x180
	v_add3_u32 v1, v1, v10, s4
	v_cmp_lt_u32_e32 vcc, 12, v8
	v_lshlrev_b32_e32 v1, 2, v1
	s_and_saveexec_b64 s[4:5], vcc
	s_cbranch_execz .LBB130_41
; %bb.40:
	ds_read_b32 v7, v7 offset:48
	s_waitcnt lgkmcnt(0)
	ds_write_b32 v1, v7
.LBB130_41:
	s_or_b64 exec, exec, s[4:5]
	v_lshlrev_b32_e32 v7, 2, v11
	v_add_u32_e32 v7, 0x1400, v7
	s_waitcnt lgkmcnt(0)
	s_barrier
	ds_read2_b32 v[14:15], v7 offset1:4
	ds_read_b32 v8, v9
	ds_read2st64_b32 v[16:17], v2 offset0:2 offset1:4
	ds_read2_b32 v[18:19], v7 offset0:8 offset1:12
	ds_read_b32 v1, v1
	s_waitcnt lgkmcnt(3)
	v_fma_f32 v8, v8, v14, 0
	s_waitcnt lgkmcnt(2)
	v_fmac_f32_e32 v8, v16, v15
	s_waitcnt lgkmcnt(1)
	v_fmac_f32_e32 v8, v17, v18
	ds_read2_b32 v[14:15], v7 offset0:16 offset1:20
	ds_read_b32 v11, v3
	ds_read_b32 v4, v4
	;; [unrolled: 1-line block ×3, first 2 shown]
	ds_read2_b32 v[2:3], v7 offset0:24 offset1:28
	ds_read_b32 v6, v6
	s_waitcnt lgkmcnt(6)
	v_fmac_f32_e32 v8, v1, v19
	s_waitcnt lgkmcnt(4)
	v_fmac_f32_e32 v8, v11, v14
	;; [unrolled: 2-line block ×5, first 2 shown]
	ds_write_b32 v9, v8 offset:4096
	s_waitcnt lgkmcnt(0)
	s_barrier
	s_and_saveexec_b64 s[4:5], s[0:1]
	s_cbranch_execz .LBB130_43
; %bb.42:
	v_add_u32_e32 v2, 0x1000, v0
	ds_read2_b32 v[0:1], v2 offset1:32
	ds_read2_b32 v[2:3], v2 offset0:64 offset1:96
	v_cmp_neq_f32_e64 vcc, s12, 0
	s_waitcnt lgkmcnt(1)
	v_add_f32_e32 v0, 0, v0
	v_add_f32_e32 v0, v0, v1
	s_waitcnt lgkmcnt(0)
	v_add_f32_e32 v0, v0, v2
	v_add_f32_e32 v0, v0, v3
	v_mul_f32_e32 v1, s26, v0
	v_fmac_f32_e32 v12, s26, v0
	v_cndmask_b32_e32 v4, v1, v12, vcc
	v_mad_u64_u32 v[0:1], s[0:1], v10, s6, 0
	v_mov_b32_e32 v2, v1
	v_mad_u64_u32 v[2:3], s[0:1], v10, s7, v[2:3]
	v_mov_b32_e32 v1, v2
	v_lshl_add_u64 v[0:1], v[0:1], 2, s[2:3]
	global_store_dword v[0:1], v4, off
.LBB130_43:
	s_endpgm
.LBB130_44:
	ds_read_b32 v13, v7
	s_waitcnt lgkmcnt(0)
	ds_write_b32 v9, v13
	s_or_b64 exec, exec, s[4:5]
	v_cmp_lt_u32_e32 vcc, 4, v8
	s_and_saveexec_b64 s[4:5], vcc
	s_cbranch_execz .LBB130_37
.LBB130_45:
	ds_read_b32 v13, v7 offset:16
	s_waitcnt lgkmcnt(0)
	ds_write_b32 v2, v13 offset:512
	s_or_b64 exec, exec, s[4:5]
	v_cmp_lt_u32_e32 vcc, 8, v8
	s_and_saveexec_b64 s[4:5], vcc
	s_cbranch_execnz .LBB130_38
	s_branch .LBB130_39
	.section	.rodata,"a",@progbits
	.p2align	6, 0x0
	.amdhsa_kernel _ZL50rocblas_symv_kernel_upper_double_buffered_diagonalILi32ELi4E24rocblas_internal_val_ptrIfEPKPKfPKPfEvbiT1_lT2_lllSA_lllS9_lT3_llli
		.amdhsa_group_segment_fixed_size 5248
		.amdhsa_private_segment_fixed_size 0
		.amdhsa_kernarg_size 140
		.amdhsa_user_sgpr_count 2
		.amdhsa_user_sgpr_dispatch_ptr 0
		.amdhsa_user_sgpr_queue_ptr 0
		.amdhsa_user_sgpr_kernarg_segment_ptr 1
		.amdhsa_user_sgpr_dispatch_id 0
		.amdhsa_user_sgpr_kernarg_preload_length 0
		.amdhsa_user_sgpr_kernarg_preload_offset 0
		.amdhsa_user_sgpr_private_segment_size 0
		.amdhsa_uses_dynamic_stack 0
		.amdhsa_enable_private_segment 0
		.amdhsa_system_sgpr_workgroup_id_x 1
		.amdhsa_system_sgpr_workgroup_id_y 0
		.amdhsa_system_sgpr_workgroup_id_z 1
		.amdhsa_system_sgpr_workgroup_info 0
		.amdhsa_system_vgpr_workitem_id 1
		.amdhsa_next_free_vgpr 20
		.amdhsa_next_free_sgpr 27
		.amdhsa_accum_offset 20
		.amdhsa_reserve_vcc 1
		.amdhsa_float_round_mode_32 0
		.amdhsa_float_round_mode_16_64 0
		.amdhsa_float_denorm_mode_32 3
		.amdhsa_float_denorm_mode_16_64 3
		.amdhsa_dx10_clamp 1
		.amdhsa_ieee_mode 1
		.amdhsa_fp16_overflow 0
		.amdhsa_tg_split 0
		.amdhsa_exception_fp_ieee_invalid_op 0
		.amdhsa_exception_fp_denorm_src 0
		.amdhsa_exception_fp_ieee_div_zero 0
		.amdhsa_exception_fp_ieee_overflow 0
		.amdhsa_exception_fp_ieee_underflow 0
		.amdhsa_exception_fp_ieee_inexact 0
		.amdhsa_exception_int_div_zero 0
	.end_amdhsa_kernel
	.section	.text._ZL50rocblas_symv_kernel_upper_double_buffered_diagonalILi32ELi4E24rocblas_internal_val_ptrIfEPKPKfPKPfEvbiT1_lT2_lllSA_lllS9_lT3_llli,"axG",@progbits,_ZL50rocblas_symv_kernel_upper_double_buffered_diagonalILi32ELi4E24rocblas_internal_val_ptrIfEPKPKfPKPfEvbiT1_lT2_lllSA_lllS9_lT3_llli,comdat
.Lfunc_end130:
	.size	_ZL50rocblas_symv_kernel_upper_double_buffered_diagonalILi32ELi4E24rocblas_internal_val_ptrIfEPKPKfPKPfEvbiT1_lT2_lllSA_lllS9_lT3_llli, .Lfunc_end130-_ZL50rocblas_symv_kernel_upper_double_buffered_diagonalILi32ELi4E24rocblas_internal_val_ptrIfEPKPKfPKPfEvbiT1_lT2_lllSA_lllS9_lT3_llli
                                        ; -- End function
	.section	.AMDGPU.csdata,"",@progbits
; Kernel info:
; codeLenInByte = 1916
; NumSgprs: 33
; NumVgprs: 20
; NumAgprs: 0
; TotalNumVgprs: 20
; ScratchSize: 0
; MemoryBound: 0
; FloatMode: 240
; IeeeMode: 1
; LDSByteSize: 5248 bytes/workgroup (compile time only)
; SGPRBlocks: 4
; VGPRBlocks: 2
; NumSGPRsForWavesPerEU: 33
; NumVGPRsForWavesPerEU: 20
; AccumOffset: 20
; Occupancy: 6
; WaveLimiterHint : 1
; COMPUTE_PGM_RSRC2:SCRATCH_EN: 0
; COMPUTE_PGM_RSRC2:USER_SGPR: 2
; COMPUTE_PGM_RSRC2:TRAP_HANDLER: 0
; COMPUTE_PGM_RSRC2:TGID_X_EN: 1
; COMPUTE_PGM_RSRC2:TGID_Y_EN: 0
; COMPUTE_PGM_RSRC2:TGID_Z_EN: 1
; COMPUTE_PGM_RSRC2:TIDIG_COMP_CNT: 1
; COMPUTE_PGM_RSRC3_GFX90A:ACCUM_OFFSET: 4
; COMPUTE_PGM_RSRC3_GFX90A:TG_SPLIT: 0
	.section	.text._ZL54rocblas_symv_kernel_upper_double_buffered_non_diagonalILi32ELi4ELi4E24rocblas_internal_val_ptrIfEPKPKfPKPfEvbiT2_lT3_lllSA_lllT4_llli,"axG",@progbits,_ZL54rocblas_symv_kernel_upper_double_buffered_non_diagonalILi32ELi4ELi4E24rocblas_internal_val_ptrIfEPKPKfPKPfEvbiT2_lT3_lllSA_lllT4_llli,comdat
	.globl	_ZL54rocblas_symv_kernel_upper_double_buffered_non_diagonalILi32ELi4ELi4E24rocblas_internal_val_ptrIfEPKPKfPKPfEvbiT2_lT3_lllSA_lllT4_llli ; -- Begin function _ZL54rocblas_symv_kernel_upper_double_buffered_non_diagonalILi32ELi4ELi4E24rocblas_internal_val_ptrIfEPKPKfPKPfEvbiT2_lT3_lllSA_lllT4_llli
	.p2align	8
	.type	_ZL54rocblas_symv_kernel_upper_double_buffered_non_diagonalILi32ELi4ELi4E24rocblas_internal_val_ptrIfEPKPKfPKPfEvbiT2_lT3_lllSA_lllT4_llli,@function
_ZL54rocblas_symv_kernel_upper_double_buffered_non_diagonalILi32ELi4ELi4E24rocblas_internal_val_ptrIfEPKPKfPKPfEvbiT2_lT3_lllSA_lllT4_llli: ; @_ZL54rocblas_symv_kernel_upper_double_buffered_non_diagonalILi32ELi4ELi4E24rocblas_internal_val_ptrIfEPKPKfPKPfEvbiT2_lT3_lllSA_lllT4_llli
; %bb.0:
	s_load_dword s5, s[0:1], 0x0
	s_load_dwordx8 s[8:15], s[0:1], 0x8
	s_load_dwordx2 s[16:17], s[0:1], 0x28
	s_waitcnt lgkmcnt(0)
	s_bitcmp0_b32 s5, 0
	s_cbranch_scc0 .LBB131_2
; %bb.1:
	s_mul_i32 s5, s4, s11
	s_mul_hi_u32 s6, s4, s10
	s_add_i32 s7, s6, s5
	s_mul_i32 s6, s4, s10
	s_lshl_b64 s[6:7], s[6:7], 2
	s_add_u32 s6, s8, s6
	s_addc_u32 s7, s9, s7
	s_load_dword s22, s[6:7], 0x0
	s_cbranch_execz .LBB131_3
	s_branch .LBB131_4
.LBB131_2:
                                        ; implicit-def: $sgpr22
.LBB131_3:
	s_waitcnt lgkmcnt(0)
	s_mov_b32 s22, s8
.LBB131_4:
	s_waitcnt lgkmcnt(0)
	v_cmp_eq_f32_e64 s[6:7], s22, 0
	s_and_b64 vcc, exec, s[6:7]
	s_cbranch_vccnz .LBB131_21
; %bb.5:
	s_load_dword s6, s[0:1], 0x84
	s_cmp_eq_u32 s2, 0
	s_waitcnt lgkmcnt(0)
	v_cvt_f32_u32_e32 v1, s6
	v_rcp_iflag_f32_e32 v1, v1
	s_nop 0
	v_mul_f32_e32 v1, 0x4f7ffffe, v1
	v_cvt_u32_f32_e32 v1, v1
	s_nop 0
	v_readfirstlane_b32 s5, v1
	s_cbranch_scc1 .LBB131_21
; %bb.6:
	s_sub_i32 s7, 0, s6
	s_mul_i32 s7, s7, s5
	s_mul_hi_u32 s7, s5, s7
	s_add_i32 s7, s5, s7
	s_load_dwordx4 s[8:11], s[0:1], 0x38
	s_load_dwordx2 s[18:19], s[0:1], 0x48
	s_mov_b32 s5, 0
	s_lshl_b64 s[4:5], s[4:5], 3
	s_add_u32 s12, s12, s4
	s_addc_u32 s13, s13, s5
	s_waitcnt lgkmcnt(0)
	s_add_u32 s8, s8, s4
	s_addc_u32 s9, s9, s5
	s_load_dwordx2 s[20:21], s[8:9], 0x0
	s_load_dwordx2 s[24:25], s[0:1], 0x58
	s_lshl_b64 s[8:9], s[10:11], 2
	v_and_b32_e32 v32, 0x3ff, v0
	v_bfe_u32 v0, v0, 10, 10
	s_waitcnt lgkmcnt(0)
	s_add_u32 s10, s20, s8
	s_addc_u32 s11, s21, s9
	s_add_u32 s20, s24, s4
	s_addc_u32 s21, s25, s5
	s_lshl_b32 s8, s2, 5
	s_mul_hi_u32 s7, s2, s7
	s_ashr_i32 s9, s8, 31
	v_cmp_eq_u32_e32 vcc, 0, v0
	s_and_saveexec_b64 s[4:5], vcc
	s_cbranch_execz .LBB131_8
; %bb.7:
	s_mul_i32 s23, s8, s19
	s_mul_hi_u32 s24, s8, s18
	s_add_i32 s23, s24, s23
	s_mul_i32 s24, s9, s18
	s_add_i32 s25, s23, s24
	s_mul_i32 s24, s8, s18
	v_mad_u64_u32 v[2:3], s[26:27], v32, s18, 0
	s_lshl_b64 s[24:25], s[24:25], 2
	v_mov_b32_e32 v4, v3
	s_add_u32 s24, s10, s24
	v_mad_u64_u32 v[4:5], s[26:27], v32, s19, v[4:5]
	s_addc_u32 s25, s11, s25
	v_mov_b32_e32 v3, v4
	v_lshl_add_u64 v[2:3], v[2:3], 2, s[24:25]
	global_load_dword v1, v[2:3], off
	v_lshlrev_b32_e32 v2, 2, v32
	s_waitcnt vmcnt(0)
	ds_write_b32 v2, v1 offset:3072
.LBB131_8:
	s_or_b64 exec, exec, s[4:5]
	s_mul_i32 s4, s7, s6
	s_sub_i32 s4, s2, s4
	s_add_i32 s5, s7, 1
	s_sub_i32 s23, s4, s6
	s_cmp_ge_u32 s4, s6
	s_cselect_b32 s5, s5, s7
	s_cselect_b32 s4, s23, s4
	s_add_i32 s7, s5, 1
	s_cmp_ge_u32 s4, s6
	s_cselect_b32 s24, s7, s5
	s_add_i32 s4, s6, -1
	s_cmp_lg_u32 s3, s4
	s_mov_b32 s23, s24
	s_cbranch_scc1 .LBB131_10
; %bb.9:
	s_mul_i32 s4, s24, s6
	s_sub_i32 s2, s2, s4
	s_add_i32 s23, s2, s24
.LBB131_10:
	s_cmp_eq_u32 s23, 0
	s_cbranch_scc1 .LBB131_21
; %bb.11:
	s_load_dwordx4 s[4:7], s[0:1], 0x60
	s_load_dwordx2 s[26:27], s[20:21], 0x0
	v_lshl_add_u32 v0, v0, 5, v32
	v_and_b32_e32 v4, 15, v32
	v_lshrrev_b32_e32 v33, 4, v0
	s_waitcnt lgkmcnt(0)
	s_lshl_b64 s[0:1], s[4:5], 2
	s_add_u32 s20, s26, s0
	s_addc_u32 s21, s27, s1
	s_cmp_lt_i32 s23, 1
	v_mov_b32_e32 v42, 0
	v_lshlrev_b32_e32 v6, 2, v4
	v_mov_b32_e32 v43, 0
	v_mov_b32_e32 v44, 0
	;; [unrolled: 1-line block ×3, first 2 shown]
	s_barrier
	s_cbranch_scc1 .LBB131_19
; %bb.12:
	v_lshlrev_b32_e32 v1, 2, v33
	v_mov_b32_e32 v5, 0
	v_mad_u64_u32 v[2:3], s[4:5], v1, s16, v[4:5]
	v_mov_b32_e32 v8, v3
	v_mad_u64_u32 v[8:9], s[4:5], v1, s17, v[8:9]
	;; [unrolled: 2-line block ×3, first 2 shown]
	v_mov_b32_e32 v10, v9
	s_mul_i32 s3, s3, s24
	v_mad_u64_u32 v[10:11], s[4:5], v4, s19, v[10:11]
	s_lshl_b32 s2, s3, 5
	s_ashr_i32 s3, s2, 31
	s_mul_i32 s4, s2, s7
	s_mul_hi_u32 s5, s2, s6
	s_load_dwordx2 s[0:1], s[12:13], 0x0
	s_add_i32 s4, s5, s4
	s_mul_i32 s5, s3, s6
	s_add_i32 s5, s4, s5
	s_mul_i32 s4, s2, s6
	s_lshl_b64 s[4:5], s[4:5], 2
	s_add_u32 s12, s20, s4
	s_addc_u32 s13, s21, s5
	s_lshl_b64 s[4:5], s[14:15], 2
	s_waitcnt lgkmcnt(0)
	s_add_u32 s14, s0, s4
	s_addc_u32 s15, s1, s5
	s_mul_i32 s0, s8, s17
	s_mul_hi_u32 s1, s8, s16
	s_add_i32 s0, s1, s0
	s_mul_i32 s1, s9, s16
	s_add_i32 s1, s0, s1
	s_mul_i32 s0, s8, s16
	s_lshl_b64 s[0:1], s[0:1], 2
	s_lshl_b64 s[4:5], s[2:3], 2
	s_add_u32 s14, s14, s4
	s_addc_u32 s15, s15, s5
	s_add_u32 s0, s14, s0
	s_mul_i32 s24, s2, s19
	s_mul_hi_u32 s25, s2, s18
	s_addc_u32 s1, s15, s1
	s_add_i32 s24, s25, s24
	s_mul_i32 s3, s3, s18
	s_add_i32 s3, s24, s3
	s_mul_i32 s2, s2, s18
	s_lshl_b64 s[2:3], s[2:3], 2
	s_add_u32 s2, s10, s2
	v_mov_b32_e32 v9, v10
	s_addc_u32 s3, s11, s3
	v_lshl_add_u64 v[2:3], v[2:3], 2, s[0:1]
	s_lshl_b64 s[0:1], s[16:17], 2
	v_lshl_add_u64 v[10:11], v[2:3], 0, s[0:1]
	global_load_dword v38, v[2:3], off
	global_load_dword v39, v[10:11], off
	v_lshl_add_u64 v[2:3], v[8:9], 2, s[2:3]
	global_load_dword v37, v[2:3], off
	v_lshl_add_u64 v[2:3], v[10:11], 0, s[0:1]
	;; [unrolled: 2-line block ×3, first 2 shown]
	global_load_dword v41, v[2:3], off
	v_lshl_or_b32 v1, v33, 7, v6
	v_add_u32_e32 v34, 0x800, v1
	v_mov_b32_e32 v1, 0xc00
	v_mad_u64_u32 v[8:9], s[2:3], v32, s6, 0
	v_lshl_add_u32 v35, v33, 4, v1
	v_mov_b32_e32 v1, 0x800
	v_mov_b32_e32 v2, v9
	v_lshl_add_u32 v36, v32, 2, v1
	v_and_b32_e32 v0, 0xfff0, v0
	v_mov_b32_e32 v1, v5
	v_mad_u64_u32 v[2:3], s[2:3], v32, s7, v[2:3]
	v_lshl_add_u64 v[0:1], s[8:9], 2, v[0:1]
	v_mov_b32_e32 v9, v2
	v_lshl_add_u64 v[2:3], v[0:1], 0, 4
	v_mov_b64_e32 v[16:17], s[14:15]
	v_mad_u64_u32 v[10:11], s[14:15], s16, v2, v[16:17]
	v_mul_lo_u32 v3, s16, v3
	v_mul_lo_u32 v2, s17, v2
	v_add3_u32 v11, v2, v11, v3
	v_lshl_add_u64 v[2:3], v[0:1], 0, 8
	v_mad_u64_u32 v[12:13], s[14:15], s16, v2, v[16:17]
	v_mul_lo_u32 v3, s16, v3
	v_mul_lo_u32 v2, s17, v2
	v_add3_u32 v13, v2, v13, v3
	v_lshl_add_u64 v[2:3], v[0:1], 0, 12
	v_mad_u64_u32 v[14:15], s[14:15], s16, v2, v[16:17]
	v_mad_u64_u32 v[16:17], s[14:15], s16, v0, v[16:17]
	v_mul_lo_u32 v1, s16, v1
	v_mul_lo_u32 v0, s17, v0
	;; [unrolled: 1-line block ×4, first 2 shown]
	v_add3_u32 v17, v0, v17, v1
	v_or_b32_e32 v0, s4, v6
	v_add3_u32 v15, v2, v15, v3
	v_or_b32_e32 v2, 64, v0
	v_mov_b32_e32 v1, s5
	s_mul_i32 s14, s18, s5
	v_mad_u64_u32 v[18:19], s[4:5], s18, v2, 0
	s_mov_b64 s[4:5], 0x80
	v_mul_lo_u32 v3, s19, v2
	v_lshl_add_u64 v[0:1], v[0:1], 0, s[4:5]
	v_add3_u32 v19, v19, s14, v3
	v_mul_lo_u32 v2, s19, v0
	v_mul_lo_u32 v1, s18, v1
	v_mad_u64_u32 v[20:21], s[14:15], s18, v0, 0
	s_lshl_b64 s[0:1], s[18:19], 7
	s_lshl_b64 s[2:3], s[6:7], 7
	v_mov_b32_e32 v7, v5
	v_add3_u32 v21, v21, v1, v2
	v_mov_b64_e32 v[22:23], s[12:13]
	v_mov_b32_e32 v44, v5
	v_mov_b32_e32 v43, v5
	;; [unrolled: 1-line block ×3, first 2 shown]
	s_waitcnt vmcnt(4)
	v_mov_b32_e32 v45, v38
	s_waitcnt vmcnt(3)
	v_mov_b32_e32 v46, v39
	;; [unrolled: 2-line block ×5, first 2 shown]
.LBB131_13:                             ; =>This Inner Loop Header: Depth=1
	v_lshl_add_u64 v[0:1], s[10:11], 0, v[18:19]
	v_lshl_add_u64 v[26:27], v[16:17], 0, v[6:7]
	;; [unrolled: 1-line block ×5, first 2 shown]
	global_load_dword v50, v[0:1], off
	global_load_dword v51, v[26:27], off offset:64
	global_load_dword v52, v[24:25], off offset:64
	;; [unrolled: 1-line block ×4, first 2 shown]
	ds_read_b128 v[0:3], v35
	s_cmp_eq_u32 s23, 1
	s_cbranch_scc1 .LBB131_15
; %bb.14:                               ;   in Loop: Header=BB131_13 Depth=1
	global_load_dword v45, v[26:27], off offset:128
	global_load_dword v46, v[24:25], off offset:128
	;; [unrolled: 1-line block ×4, first 2 shown]
	v_lshl_add_u64 v[24:25], s[10:11], 0, v[20:21]
	global_load_dword v49, v[24:25], off
.LBB131_15:                             ;   in Loop: Header=BB131_13 Depth=1
	s_waitcnt lgkmcnt(0)
	v_fma_f32 v24, v38, v0, 0
	s_waitcnt vmcnt(3)
	v_fma_f32 v0, v51, v0, 0
	v_fmac_f32_e32 v24, v39, v1
	s_waitcnt vmcnt(2)
	v_fmac_f32_e32 v0, v52, v1
	v_fmac_f32_e32 v24, v40, v2
	s_waitcnt vmcnt(1)
	v_fmac_f32_e32 v0, v53, v2
	;; [unrolled: 3-line block ×3, first 2 shown]
	s_barrier
	ds_write2_b32 v34, v24, v0 offset1:16
	s_waitcnt lgkmcnt(0)
	s_barrier
	s_and_saveexec_b64 s[12:13], vcc
	s_cbranch_execz .LBB131_17
; %bb.16:                               ;   in Loop: Header=BB131_13 Depth=1
	ds_read2_b32 v[0:1], v36 offset1:32
	ds_read2_b32 v[2:3], v36 offset0:64 offset1:96
	ds_read2_b32 v[24:25], v36 offset0:128 offset1:160
	;; [unrolled: 1-line block ×3, first 2 shown]
	s_waitcnt lgkmcnt(3)
	v_add_f32_e32 v0, 0, v0
	v_add_f32_e32 v0, v0, v1
	s_waitcnt lgkmcnt(2)
	v_add_f32_e32 v0, v0, v2
	v_add_f32_e32 v0, v0, v3
	;; [unrolled: 3-line block ×4, first 2 shown]
	v_lshl_add_u64 v[0:1], v[8:9], 2, v[22:23]
	v_mul_f32_e32 v2, s22, v2
	global_atomic_add_f32 v[0:1], v2, off
	v_lshl_add_u64 v[22:23], v[22:23], 0, s[2:3]
.LBB131_17:                             ;   in Loop: Header=BB131_13 Depth=1
	s_or_b64 exec, exec, s[12:13]
	s_add_i32 s23, s23, -1
	s_add_u32 s10, s10, s0
	v_fmac_f32_e32 v5, v37, v38
	v_fmac_f32_e32 v44, v37, v39
	;; [unrolled: 1-line block ×4, first 2 shown]
	s_addc_u32 s11, s11, s1
	v_fmac_f32_e32 v5, v50, v51
	v_fmac_f32_e32 v44, v50, v52
	;; [unrolled: 1-line block ×4, first 2 shown]
	v_lshl_add_u64 v[10:11], v[10:11], 0, s[4:5]
	v_lshl_add_u64 v[12:13], v[12:13], 0, s[4:5]
	;; [unrolled: 1-line block ×3, first 2 shown]
	s_cmp_eq_u32 s23, 0
	v_lshl_add_u64 v[16:17], v[16:17], 0, s[4:5]
	s_cbranch_scc1 .LBB131_19
; %bb.18:                               ;   in Loop: Header=BB131_13 Depth=1
	v_mov_b32_e32 v37, v49
	v_mov_b32_e32 v38, v45
	;; [unrolled: 1-line block ×5, first 2 shown]
	s_branch .LBB131_13
.LBB131_19:
	v_lshl_or_b32 v0, v33, 8, v6
	ds_write2_b32 v0, v5, v44 offset1:16
	ds_write2_b32 v0, v43, v42 offset0:32 offset1:48
	s_waitcnt lgkmcnt(0)
	s_barrier
	s_and_saveexec_b64 s[0:1], vcc
	s_cbranch_execz .LBB131_21
; %bb.20:
	v_lshlrev_b32_e32 v0, 4, v32
	v_or_b32_e32 v1, v4, v0
	v_add_u32_e32 v3, 1, v32
	v_add_u32_e32 v4, 2, v32
	;; [unrolled: 1-line block ×7, first 2 shown]
	v_and_or_b32 v3, v3, 15, v0
	v_and_or_b32 v4, v4, 15, v0
	;; [unrolled: 1-line block ×7, first 2 shown]
	v_lshlrev_b32_e32 v2, 2, v1
	v_lshlrev_b32_e32 v3, 2, v3
	v_lshlrev_b32_e32 v4, 2, v4
	v_lshlrev_b32_e32 v5, 2, v5
	v_lshlrev_b32_e32 v6, 2, v6
	v_lshlrev_b32_e32 v7, 2, v7
	v_lshlrev_b32_e32 v8, 2, v8
	v_lshlrev_b32_e32 v9, 2, v9
	ds_read_b32 v2, v2
	ds_read_b32 v3, v3
	ds_read_b32 v4, v4
	ds_read_b32 v5, v5
	ds_read_b32 v6, v6
	ds_read_b32 v7, v7
	ds_read_b32 v8, v8
	ds_read_b32 v9, v9
	s_waitcnt lgkmcnt(7)
	v_add_f32_e32 v2, 0, v2
	s_waitcnt lgkmcnt(6)
	v_add_f32_e32 v2, v2, v3
	;; [unrolled: 2-line block ×8, first 2 shown]
	v_add_u32_e32 v3, 9, v32
	v_add_u32_e32 v4, 10, v32
	;; [unrolled: 1-line block ×6, first 2 shown]
	v_add_u32_e32 v9, -1, v32
	v_xor_b32_e32 v1, 8, v1
	v_and_or_b32 v3, v3, 15, v0
	v_and_or_b32 v4, v4, 15, v0
	;; [unrolled: 1-line block ×7, first 2 shown]
	v_lshlrev_b32_e32 v1, 2, v1
	v_lshlrev_b32_e32 v3, 2, v3
	;; [unrolled: 1-line block ×8, first 2 shown]
	ds_read_b32 v1, v1
	ds_read_b32 v3, v3
	;; [unrolled: 1-line block ×8, first 2 shown]
	s_waitcnt lgkmcnt(7)
	v_add_f32_e32 v1, v2, v1
	s_waitcnt lgkmcnt(6)
	v_add_f32_e32 v1, v1, v3
	;; [unrolled: 2-line block ×5, first 2 shown]
	s_mul_i32 s0, s8, s7
	s_mul_hi_u32 s1, s8, s6
	s_waitcnt lgkmcnt(2)
	v_add_f32_e32 v1, v1, v7
	s_add_i32 s0, s1, s0
	s_mul_i32 s1, s9, s6
	s_waitcnt lgkmcnt(1)
	v_add_f32_e32 v1, v1, v8
	s_add_i32 s1, s0, s1
	s_mul_i32 s0, s8, s6
	s_waitcnt lgkmcnt(0)
	v_add_f32_e32 v4, v1, v0
	v_mad_u64_u32 v[0:1], s[2:3], v32, s6, 0
	s_lshl_b64 s[0:1], s[0:1], 2
	v_mov_b32_e32 v2, v1
	s_add_u32 s0, s20, s0
	v_mad_u64_u32 v[2:3], s[2:3], v32, s7, v[2:3]
	s_addc_u32 s1, s21, s1
	v_mov_b32_e32 v1, v2
	v_lshl_add_u64 v[0:1], v[0:1], 2, s[0:1]
	v_mul_f32_e32 v2, s22, v4
	global_atomic_add_f32 v[0:1], v2, off
.LBB131_21:
	s_endpgm
	.section	.rodata,"a",@progbits
	.p2align	6, 0x0
	.amdhsa_kernel _ZL54rocblas_symv_kernel_upper_double_buffered_non_diagonalILi32ELi4ELi4E24rocblas_internal_val_ptrIfEPKPKfPKPfEvbiT2_lT3_lllSA_lllT4_llli
		.amdhsa_group_segment_fixed_size 3200
		.amdhsa_private_segment_fixed_size 0
		.amdhsa_kernarg_size 384
		.amdhsa_user_sgpr_count 2
		.amdhsa_user_sgpr_dispatch_ptr 0
		.amdhsa_user_sgpr_queue_ptr 0
		.amdhsa_user_sgpr_kernarg_segment_ptr 1
		.amdhsa_user_sgpr_dispatch_id 0
		.amdhsa_user_sgpr_kernarg_preload_length 0
		.amdhsa_user_sgpr_kernarg_preload_offset 0
		.amdhsa_user_sgpr_private_segment_size 0
		.amdhsa_uses_dynamic_stack 0
		.amdhsa_enable_private_segment 0
		.amdhsa_system_sgpr_workgroup_id_x 1
		.amdhsa_system_sgpr_workgroup_id_y 1
		.amdhsa_system_sgpr_workgroup_id_z 1
		.amdhsa_system_sgpr_workgroup_info 0
		.amdhsa_system_vgpr_workitem_id 1
		.amdhsa_next_free_vgpr 55
		.amdhsa_next_free_sgpr 28
		.amdhsa_accum_offset 56
		.amdhsa_reserve_vcc 1
		.amdhsa_float_round_mode_32 0
		.amdhsa_float_round_mode_16_64 0
		.amdhsa_float_denorm_mode_32 3
		.amdhsa_float_denorm_mode_16_64 3
		.amdhsa_dx10_clamp 1
		.amdhsa_ieee_mode 1
		.amdhsa_fp16_overflow 0
		.amdhsa_tg_split 0
		.amdhsa_exception_fp_ieee_invalid_op 0
		.amdhsa_exception_fp_denorm_src 0
		.amdhsa_exception_fp_ieee_div_zero 0
		.amdhsa_exception_fp_ieee_overflow 0
		.amdhsa_exception_fp_ieee_underflow 0
		.amdhsa_exception_fp_ieee_inexact 0
		.amdhsa_exception_int_div_zero 0
	.end_amdhsa_kernel
	.section	.text._ZL54rocblas_symv_kernel_upper_double_buffered_non_diagonalILi32ELi4ELi4E24rocblas_internal_val_ptrIfEPKPKfPKPfEvbiT2_lT3_lllSA_lllT4_llli,"axG",@progbits,_ZL54rocblas_symv_kernel_upper_double_buffered_non_diagonalILi32ELi4ELi4E24rocblas_internal_val_ptrIfEPKPKfPKPfEvbiT2_lT3_lllSA_lllT4_llli,comdat
.Lfunc_end131:
	.size	_ZL54rocblas_symv_kernel_upper_double_buffered_non_diagonalILi32ELi4ELi4E24rocblas_internal_val_ptrIfEPKPKfPKPfEvbiT2_lT3_lllSA_lllT4_llli, .Lfunc_end131-_ZL54rocblas_symv_kernel_upper_double_buffered_non_diagonalILi32ELi4ELi4E24rocblas_internal_val_ptrIfEPKPKfPKPfEvbiT2_lT3_lllSA_lllT4_llli
                                        ; -- End function
	.section	.AMDGPU.csdata,"",@progbits
; Kernel info:
; codeLenInByte = 2328
; NumSgprs: 34
; NumVgprs: 55
; NumAgprs: 0
; TotalNumVgprs: 55
; ScratchSize: 0
; MemoryBound: 0
; FloatMode: 240
; IeeeMode: 1
; LDSByteSize: 3200 bytes/workgroup (compile time only)
; SGPRBlocks: 4
; VGPRBlocks: 6
; NumSGPRsForWavesPerEU: 34
; NumVGPRsForWavesPerEU: 55
; AccumOffset: 56
; Occupancy: 8
; WaveLimiterHint : 1
; COMPUTE_PGM_RSRC2:SCRATCH_EN: 0
; COMPUTE_PGM_RSRC2:USER_SGPR: 2
; COMPUTE_PGM_RSRC2:TRAP_HANDLER: 0
; COMPUTE_PGM_RSRC2:TGID_X_EN: 1
; COMPUTE_PGM_RSRC2:TGID_Y_EN: 1
; COMPUTE_PGM_RSRC2:TGID_Z_EN: 1
; COMPUTE_PGM_RSRC2:TIDIG_COMP_CNT: 1
; COMPUTE_PGM_RSRC3_GFX90A:ACCUM_OFFSET: 13
; COMPUTE_PGM_RSRC3_GFX90A:TG_SPLIT: 0
	.section	.text._ZL58rocblas_symv_kernel_upper_double_buffered_diagonal_genericILi32ELi8E24rocblas_internal_val_ptrIfEPKPKfPKPfEvbiT1_lT2_lllSA_lllS9_lT3_lllii,"axG",@progbits,_ZL58rocblas_symv_kernel_upper_double_buffered_diagonal_genericILi32ELi8E24rocblas_internal_val_ptrIfEPKPKfPKPfEvbiT1_lT2_lllSA_lllS9_lT3_lllii,comdat
	.globl	_ZL58rocblas_symv_kernel_upper_double_buffered_diagonal_genericILi32ELi8E24rocblas_internal_val_ptrIfEPKPKfPKPfEvbiT1_lT2_lllSA_lllS9_lT3_lllii ; -- Begin function _ZL58rocblas_symv_kernel_upper_double_buffered_diagonal_genericILi32ELi8E24rocblas_internal_val_ptrIfEPKPKfPKPfEvbiT1_lT2_lllSA_lllS9_lT3_lllii
	.p2align	8
	.type	_ZL58rocblas_symv_kernel_upper_double_buffered_diagonal_genericILi32ELi8E24rocblas_internal_val_ptrIfEPKPKfPKPfEvbiT1_lT2_lllSA_lllS9_lT3_lllii,@function
_ZL58rocblas_symv_kernel_upper_double_buffered_diagonal_genericILi32ELi8E24rocblas_internal_val_ptrIfEPKPKfPKPfEvbiT1_lT2_lllSA_lllS9_lT3_lllii: ; @_ZL58rocblas_symv_kernel_upper_double_buffered_diagonal_genericILi32ELi8E24rocblas_internal_val_ptrIfEPKPKfPKPfEvbiT1_lT2_lllSA_lllS9_lT3_lllii
; %bb.0:
	s_mov_b32 s20, s3
	s_load_dword s3, s[0:1], 0x0
	s_load_dwordx8 s[4:11], s[0:1], 0x8
	s_load_dwordx2 s[16:17], s[0:1], 0x28
	s_mov_b64 s[22:23], -1
	s_waitcnt lgkmcnt(0)
	s_bitcmp1_b32 s3, 0
	s_cselect_b64 s[12:13], -1, 0
	s_xor_b64 s[18:19], s[12:13], -1
	s_and_b64 vcc, exec, s[18:19]
                                        ; implicit-def: $sgpr3
	s_cbranch_vccnz .LBB132_7
; %bb.1:
	s_load_dwordx4 s[12:15], s[0:1], 0x58
	s_andn2_b64 vcc, exec, s[22:23]
	s_cbranch_vccz .LBB132_8
.LBB132_2:
	s_andn2_b64 vcc, exec, s[18:19]
	s_cbranch_vccnz .LBB132_4
.LBB132_3:
	s_waitcnt lgkmcnt(0)
	s_mul_i32 s4, s20, s15
	s_mul_hi_u32 s5, s20, s14
	s_add_i32 s5, s5, s4
	s_mul_i32 s4, s20, s14
	s_lshl_b64 s[4:5], s[4:5], 2
	s_add_u32 s4, s12, s4
	s_addc_u32 s5, s13, s5
	s_load_dword s12, s[4:5], 0x0
.LBB132_4:
	s_waitcnt lgkmcnt(0)
	v_cmp_eq_f32_e64 s[24:25], s3, 0
	v_cmp_eq_f32_e64 s[4:5], s12, 1.0
	s_and_b64 s[4:5], s[24:25], s[4:5]
	s_and_b64 vcc, exec, s[4:5]
	s_cbranch_vccnz .LBB132_63
; %bb.5:
	v_cmp_neq_f32_e64 s[22:23], s3, 0
	s_mov_b32 s21, 0
	s_and_b64 vcc, exec, s[22:23]
	s_cbranch_vccnz .LBB132_9
; %bb.6:
	s_mov_b64 s[14:15], 0
	s_load_dwordx2 s[26:27], s[0:1], 0x68
	s_cbranch_execz .LBB132_10
	s_branch .LBB132_11
.LBB132_7:
	s_mul_i32 s3, s20, s7
	s_mul_hi_u32 s7, s20, s6
	s_add_i32 s7, s7, s3
	s_mul_i32 s6, s20, s6
	s_lshl_b64 s[6:7], s[6:7], 2
	s_add_u32 s6, s4, s6
	s_addc_u32 s7, s5, s7
	s_load_dword s3, s[6:7], 0x0
	s_load_dwordx4 s[12:15], s[0:1], 0x58
	s_cbranch_execnz .LBB132_2
.LBB132_8:
	s_waitcnt lgkmcnt(0)
	s_mov_b32 s3, s4
	s_andn2_b64 vcc, exec, s[18:19]
	s_cbranch_vccz .LBB132_3
	s_branch .LBB132_4
.LBB132_9:
                                        ; implicit-def: $sgpr14_sgpr15
	s_load_dwordx2 s[26:27], s[0:1], 0x68
.LBB132_10:
	s_lshl_b64 s[4:5], s[20:21], 3
	s_add_u32 s4, s8, s4
	s_addc_u32 s5, s9, s5
	s_load_dwordx2 s[4:5], s[4:5], 0x0
	s_lshl_b64 s[6:7], s[10:11], 2
	s_waitcnt lgkmcnt(0)
	s_add_u32 s14, s4, s6
	s_addc_u32 s15, s5, s7
.LBB132_11:
	s_load_dwordx4 s[4:7], s[0:1], 0x38
	s_load_dwordx2 s[18:19], s[0:1], 0x48
	s_andn2_b64 vcc, exec, s[22:23]
	s_cbranch_vccnz .LBB132_13
; %bb.12:
	s_lshl_b64 s[8:9], s[20:21], 3
	s_waitcnt lgkmcnt(0)
	s_add_u32 s4, s4, s8
	s_addc_u32 s5, s5, s9
	s_load_dwordx2 s[4:5], s[4:5], 0x0
	s_lshl_b64 s[6:7], s[6:7], 2
	s_waitcnt lgkmcnt(0)
	s_add_u32 s22, s4, s6
	s_addc_u32 s23, s5, s7
	s_branch .LBB132_14
.LBB132_13:
	s_mov_b64 s[22:23], 0
.LBB132_14:
	s_waitcnt lgkmcnt(0)
	s_lshl_b64 s[4:5], s[20:21], 3
	s_add_u32 s4, s26, s4
	s_addc_u32 s5, s27, s5
	s_load_dwordx4 s[8:11], s[0:1], 0x70
	s_load_dwordx2 s[6:7], s[4:5], 0x0
	s_load_dword s13, s[0:1], 0x88
	v_bfe_u32 v7, v0, 10, 10
	v_and_b32_e32 v6, 0x3ff, v0
	s_waitcnt lgkmcnt(0)
	s_lshl_b64 s[4:5], s[8:9], 2
	s_add_u32 s6, s6, s4
	s_addc_u32 s7, s7, s5
	s_lshl_b32 s28, s2, 5
	s_ashr_i32 s29, s28, 31
	s_mul_i32 s4, s28, s11
	s_mul_hi_u32 s5, s28, s10
	s_add_i32 s4, s5, s4
	s_mul_i32 s5, s29, s10
	s_add_i32 s5, s4, s5
	s_mul_i32 s4, s28, s10
	s_lshl_b64 s[4:5], s[4:5], 2
	s_add_u32 s8, s6, s4
	s_addc_u32 s9, s7, s5
	s_mov_b64 s[6:7], -1
	s_andn2_b64 vcc, exec, s[24:25]
	v_cmp_eq_u32_e64 s[4:5], 0, v7
	s_cbranch_vccnz .LBB132_21
; %bb.15:
	s_and_saveexec_b64 s[6:7], s[4:5]
	s_cbranch_execz .LBB132_20
; %bb.16:
	v_cmp_gt_i32_e64 s[4:5], s13, v6
	v_cmp_le_i32_e32 vcc, s13, v6
	s_and_saveexec_b64 s[20:21], vcc
	s_cbranch_execz .LBB132_18
; %bb.17:
	s_load_dword s24, s[0:1], 0x90
	s_waitcnt lgkmcnt(0)
	s_add_i32 s24, s24, -1
	s_cmp_lt_u32 s2, s24
	s_cselect_b64 s[24:25], -1, 0
	s_andn2_b64 s[4:5], s[4:5], exec
	s_and_b64 s[24:25], s[24:25], exec
	s_or_b64 s[4:5], s[4:5], s[24:25]
.LBB132_18:
	s_or_b64 exec, exec, s[20:21]
	s_and_b64 exec, exec, s[4:5]
	s_cbranch_execz .LBB132_20
; %bb.19:
	v_mad_u64_u32 v[0:1], s[4:5], v6, s10, 0
	v_mov_b32_e32 v2, v1
	v_mad_u64_u32 v[2:3], s[4:5], v6, s11, v[2:3]
	v_mov_b32_e32 v1, v2
	v_lshl_add_u64 v[0:1], v[0:1], 2, s[8:9]
	global_load_dword v2, v[0:1], off
	s_waitcnt vmcnt(0)
	v_mul_f32_e32 v2, s12, v2
	global_store_dword v[0:1], v2, off
.LBB132_20:
	s_or_b64 exec, exec, s[6:7]
	s_mov_b64 s[6:7], 0
.LBB132_21:
	s_andn2_b64 vcc, exec, s[6:7]
	s_cbranch_vccnz .LBB132_63
; %bb.22:
	v_mov_b32_e32 v1, 0
	v_cmp_ne_u32_e64 s[4:5], 0, v7
	v_cmp_eq_u32_e64 s[6:7], 0, v7
	v_mov_b32_e32 v8, 0
	s_and_saveexec_b64 s[20:21], s[6:7]
	s_cbranch_execz .LBB132_29
; %bb.23:
	v_cmp_gt_i32_e64 s[26:27], s13, v6
	v_cmp_le_i32_e32 vcc, s13, v6
                                        ; implicit-def: $sgpr30
	s_and_saveexec_b64 s[24:25], vcc
	s_cbranch_execz .LBB132_25
; %bb.24:
	s_load_dword s31, s[0:1], 0x90
	s_mov_b32 s30, 0
	s_waitcnt lgkmcnt(0)
	s_add_i32 s31, s31, -1
	s_cmp_lt_u32 s2, s31
	s_cselect_b64 s[34:35], -1, 0
	s_andn2_b64 s[26:27], s[26:27], exec
	s_and_b64 s[34:35], s[34:35], exec
	s_or_b64 s[26:27], s[26:27], s[34:35]
.LBB132_25:
	s_or_b64 exec, exec, s[24:25]
	v_mov_b32_e32 v8, s30
	s_and_saveexec_b64 s[24:25], s[26:27]
	s_cbranch_execz .LBB132_28
; %bb.26:
	s_mul_i32 s26, s28, s19
	s_mul_hi_u32 s27, s28, s18
	s_add_i32 s26, s27, s26
	s_mul_i32 s27, s29, s18
	s_add_i32 s27, s26, s27
	s_mul_i32 s26, s28, s18
	s_lshl_b64 s[26:27], s[26:27], 2
	s_add_u32 s22, s22, s26
	s_addc_u32 s23, s23, s27
	v_mad_u64_u32 v[2:3], s[26:27], v6, s18, 0
	v_mov_b32_e32 v0, v3
	v_mad_u64_u32 v[4:5], s[18:19], v6, s19, v[0:1]
	v_mov_b32_e32 v3, v4
	v_lshl_add_u64 v[2:3], v[2:3], 2, s[22:23]
	flat_load_dword v0, v[2:3]
	v_cmp_eq_f32_e64 s[18:19], s12, 0
	v_lshlrev_b32_e32 v2, 2, v6
	v_mov_b32_e32 v8, 0
	s_and_b64 vcc, exec, s[18:19]
	s_waitcnt vmcnt(0) lgkmcnt(0)
	ds_write_b32 v2, v0 offset:6144
	s_cbranch_vccnz .LBB132_28
; %bb.27:
	v_mad_u64_u32 v[2:3], s[18:19], v6, s10, 0
	v_mov_b32_e32 v0, v3
	v_mad_u64_u32 v[4:5], s[18:19], v6, s11, v[0:1]
	v_mov_b32_e32 v3, v4
	v_lshl_add_u64 v[2:3], v[2:3], 2, s[8:9]
	global_load_dword v0, v[2:3], off
	s_waitcnt vmcnt(0)
	v_mul_f32_e32 v8, s12, v0
.LBB132_28:
	s_or_b64 exec, exec, s[24:25]
.LBB132_29:
	s_or_b64 exec, exec, s[20:21]
	s_add_u32 s18, s16, 1
	s_addc_u32 s19, s17, 0
	s_mul_i32 s20, s18, s29
	s_mul_hi_u32 s21, s18, s28
	s_add_i32 s20, s21, s20
	s_mul_i32 s19, s19, s28
	s_load_dword s24, s[0:1], 0x90
	s_add_i32 s19, s20, s19
	s_mul_i32 s18, s18, s28
	v_mad_u64_u32 v[2:3], s[22:23], v7, s16, 0
	s_lshl_b64 s[18:19], s[18:19], 2
	v_mov_b32_e32 v0, v3
	s_add_u32 s20, s14, s18
	v_mad_u64_u32 v[4:5], s[22:23], v7, s17, v[0:1]
	s_addc_u32 s21, s15, s19
	v_mov_b32_e32 v3, v4
	v_lshl_add_u64 v[2:3], v[2:3], 2, s[20:21]
	v_lshlrev_b32_e32 v0, 2, v6
	v_lshl_add_u32 v11, v7, 5, v6
	s_waitcnt lgkmcnt(0)
	s_add_i32 s24, s24, -1
	v_lshl_add_u64 v[2:3], v[2:3], 0, v[0:1]
	s_cmp_eq_u32 s2, s24
	v_lshlrev_b32_e32 v9, 2, v11
	v_add_u32_e32 v10, 16, v7
	s_cbranch_scc1 .LBB132_32
; %bb.30:
	flat_load_dword v1, v[2:3]
	s_lshl_b64 s[0:1], s[16:17], 5
	v_lshl_add_u64 v[4:5], v[2:3], 0, s[0:1]
	v_add_u32_e32 v12, 16, v7
	s_mul_i32 s22, s17, 0x60
	v_lshlrev_b32_e32 v14, 5, v12
	v_add_lshl_u32 v14, v14, v6, 2
	s_waitcnt vmcnt(0) lgkmcnt(0)
	ds_write_b32 v9, v1
	flat_load_dword v1, v[4:5]
	v_lshl_add_u64 v[4:5], v[4:5], 0, s[0:1]
	s_waitcnt vmcnt(0) lgkmcnt(0)
	ds_write_b32 v9, v1 offset:1024
	flat_load_dword v13, v[4:5]
	v_mov_b32_e32 v4, 0x60
	v_mad_u64_u32 v[4:5], s[0:1], s16, v4, v[2:3]
	v_add_u32_e32 v1, 0x300, v11
	v_add_u32_e32 v5, s22, v5
	s_mov_b64 s[0:1], -1
	s_waitcnt vmcnt(0) lgkmcnt(0)
	ds_write_b32 v14, v13
	s_cbranch_execz .LBB132_33
; %bb.31:
                                        ; implicit-def: $vgpr10
	s_and_saveexec_b64 s[4:5], s[0:1]
	s_cbranch_execnz .LBB132_53
	s_branch .LBB132_54
.LBB132_32:
	s_mov_b64 s[0:1], 0
                                        ; implicit-def: $vgpr12
                                        ; implicit-def: $vgpr4_vgpr5
                                        ; implicit-def: $vgpr1
.LBB132_33:
	v_cmp_gt_i32_e32 vcc, s13, v6
	v_lshlrev_b32_e32 v4, 5, v10
	s_or_b64 s[4:5], s[4:5], vcc
	v_mov_b32_e32 v1, 0
	v_add_lshl_u32 v4, v4, v6, 2
	s_xor_b64 s[20:21], s[4:5], -1
	ds_write2st64_b32 v9, v1, v1 offset1:4
	ds_write_b32 v4, v1
	ds_write_b32 v9, v1 offset:3072
	s_and_saveexec_b64 s[4:5], s[20:21]
	s_cbranch_execz .LBB132_35
; %bb.34:
	ds_write_b32 v0, v1 offset:6144
.LBB132_35:
	s_or_b64 exec, exec, s[4:5]
                                        ; implicit-def: $vgpr12
                                        ; implicit-def: $vgpr4_vgpr5
                                        ; implicit-def: $vgpr1
	s_and_saveexec_b64 s[4:5], vcc
	s_cbranch_execz .LBB132_52
; %bb.36:
	s_cmp_lt_u32 s13, 8
	s_mov_b32 s25, 0
	s_cbranch_scc1 .LBB132_49
; %bb.37:
	s_lshr_b32 s25, s13, 3
	s_cmp_lt_u32 s13, 16
	s_cbranch_scc1 .LBB132_41
; %bb.38:
	s_add_i32 s22, s25, -2
	s_cmp_lt_u32 s22, 2
	s_cbranch_scc1 .LBB132_42
; %bb.39:
	s_lshr_b32 s21, s22, 1
	s_add_i32 s21, s21, 1
	s_mov_b32 s20, 1
	s_and_b32 s23, s21, -2
	s_mov_b32 s21, 0
.LBB132_40:                             ; =>This Inner Loop Header: Depth=1
	s_lshl_b32 s27, s21, 3
	s_lshl_b32 s26, s20, 3
	s_mul_i32 s29, s17, s26
	s_mul_hi_u32 s30, s16, s26
	s_mul_i32 s31, s17, s27
	s_mul_hi_u32 s33, s16, s27
	s_mul_i32 s28, s16, s27
	s_add_i32 s27, s30, s29
	s_add_i32 s29, s33, s31
	s_mul_i32 s26, s16, s26
	v_lshl_add_u64 v[4:5], s[28:29], 2, v[2:3]
	v_lshl_add_u64 v[12:13], s[26:27], 2, v[2:3]
	flat_load_dword v1, v[4:5]
	flat_load_dword v14, v[12:13]
	s_lshl_b32 s26, s20, 8
	s_lshl_b32 s27, s21, 8
	s_add_i32 s30, s20, 2
	s_add_i32 s31, s21, 2
	v_add_lshl_u32 v15, s27, v11, 2
	v_add_lshl_u32 v16, s26, v11, 2
	s_lshl_b32 s27, s31, 3
	s_lshl_b32 s26, s30, 3
	s_mul_i32 s29, s17, s26
	s_mul_hi_u32 s33, s16, s26
	s_mul_i32 s34, s17, s27
	s_mul_hi_u32 s35, s16, s27
	s_mul_i32 s28, s16, s27
	s_add_i32 s27, s33, s29
	s_add_i32 s29, s35, s34
	s_mul_i32 s26, s16, s26
	v_lshl_add_u64 v[4:5], s[28:29], 2, v[2:3]
	v_lshl_add_u64 v[12:13], s[26:27], 2, v[2:3]
	s_add_i32 s21, s21, 4
	s_add_i32 s20, s20, 4
	s_add_i32 s23, s23, -2
	s_lshl_b32 s26, s30, 8
	s_lshl_b32 s27, s31, 8
	s_cmp_lg_u32 s23, 0
	s_waitcnt vmcnt(0) lgkmcnt(0)
	ds_write_b32 v15, v1
	ds_write_b32 v16, v14
	flat_load_dword v1, v[4:5]
	flat_load_dword v14, v[12:13]
	v_add_lshl_u32 v4, s27, v11, 2
	v_add_lshl_u32 v5, s26, v11, 2
	s_waitcnt vmcnt(0) lgkmcnt(0)
	ds_write_b32 v4, v1
	ds_write_b32 v5, v14
	s_cbranch_scc1 .LBB132_40
	s_branch .LBB132_43
.LBB132_41:
	s_mov_b64 s[22:23], -1
	s_mov_b32 s20, 0
	s_branch .LBB132_46
.LBB132_42:
	s_mov_b32 s21, 0
	s_mov_b32 s20, 1
.LBB132_43:
	s_bitcmp1_b32 s22, 1
	s_cbranch_scc1 .LBB132_45
; %bb.44:
	s_lshl_b32 s22, s20, 3
	s_lshl_b32 s26, s21, 3
	s_mul_i32 s23, s17, s22
	s_mul_hi_u32 s27, s16, s22
	s_add_i32 s23, s27, s23
	s_mul_i32 s27, s17, s26
	s_mul_hi_u32 s28, s16, s26
	s_add_i32 s27, s28, s27
	s_mul_i32 s26, s16, s26
	s_mul_i32 s22, s16, s22
	v_lshl_add_u64 v[4:5], s[26:27], 2, v[2:3]
	v_lshl_add_u64 v[12:13], s[22:23], 2, v[2:3]
	flat_load_dword v1, v[4:5]
	flat_load_dword v14, v[12:13]
	s_lshl_b32 s21, s21, 8
	s_lshl_b32 s20, s20, 8
	v_add_lshl_u32 v4, s21, v11, 2
	v_add_lshl_u32 v5, s20, v11, 2
	s_waitcnt vmcnt(0) lgkmcnt(0)
	ds_write_b32 v4, v1
	ds_write_b32 v5, v14
.LBB132_45:
	s_and_b32 s20, s25, 0x1ffffffe
	s_cmp_lg_u32 s25, s20
	s_cselect_b64 s[22:23], -1, 0
.LBB132_46:
	s_and_b64 vcc, exec, s[22:23]
	s_cbranch_vccz .LBB132_49
; %bb.47:
	s_lshl_b32 s21, s20, 10
	v_lshlrev_b32_e32 v1, 7, v7
	v_add3_u32 v12, s21, v1, v0
	s_mov_b32 s21, 0
	s_sub_i32 s22, s25, s20
	s_lshl_b64 s[20:21], s[20:21], 5
	v_lshlrev_b32_e32 v4, 2, v7
	v_mov_b32_e32 v5, 0
	v_lshl_add_u64 v[14:15], s[20:21], 0, v[4:5]
	v_mov_b64_e32 v[16:17], s[18:19]
	v_mul_lo_u32 v1, s16, v15
	v_mul_lo_u32 v4, s17, v14
	v_mad_u64_u32 v[14:15], s[18:19], s16, v14, v[16:17]
	v_add3_u32 v15, v4, v15, v1
	v_mov_b32_e32 v1, v5
	v_lshl_add_u64 v[4:5], v[14:15], 0, v[0:1]
	v_lshl_add_u64 v[4:5], s[14:15], 0, v[4:5]
	s_lshl_b64 s[14:15], s[16:17], 5
.LBB132_48:                             ; =>This Inner Loop Header: Depth=1
	flat_load_dword v1, v[4:5]
	s_add_i32 s22, s22, -1
	v_lshl_add_u64 v[4:5], v[4:5], 0, s[14:15]
	s_cmp_lg_u32 s22, 0
	s_waitcnt vmcnt(0) lgkmcnt(0)
	ds_write_b32 v12, v1
	v_add_u32_e32 v12, 0x400, v12
	s_cbranch_scc1 .LBB132_48
.LBB132_49:
	s_and_b32 s14, s13, 7
	v_cmp_gt_u32_e32 vcc, s14, v7
	s_mov_b64 s[14:15], s[0:1]
                                        ; implicit-def: $vgpr4_vgpr5
                                        ; implicit-def: $vgpr1
	s_and_saveexec_b64 s[18:19], vcc
; %bb.50:
	s_lshl_b32 s14, s25, 3
	s_mul_i32 s15, s14, s17
	s_mul_hi_u32 s17, s14, s16
	s_add_i32 s15, s17, s15
	s_mul_i32 s14, s14, s16
	v_lshl_add_u64 v[4:5], s[14:15], 2, v[2:3]
	v_lshl_add_u32 v1, s25, 8, v11
	s_or_b64 s[14:15], s[0:1], exec
; %bb.51:
	s_or_b64 exec, exec, s[18:19]
	s_andn2_b64 s[0:1], s[0:1], exec
	s_and_b64 s[14:15], s[14:15], exec
	s_or_b64 s[0:1], s[0:1], s[14:15]
	v_mov_b32_e32 v12, v10
.LBB132_52:
	s_or_b64 exec, exec, s[4:5]
	s_and_saveexec_b64 s[4:5], s[0:1]
	s_cbranch_execz .LBB132_54
.LBB132_53:
	flat_load_dword v2, v[4:5]
	v_lshlrev_b32_e32 v1, 2, v1
	v_mov_b32_e32 v10, v12
	s_waitcnt vmcnt(0) lgkmcnt(0)
	ds_write_b32 v1, v2
.LBB132_54:
	s_or_b64 exec, exec, s[4:5]
	v_sub_u32_e32 v1, v6, v7
	v_sub_u32_e32 v2, 0, v1
	v_max_i32_e32 v3, v1, v2
	v_lshlrev_b32_e32 v2, 5, v6
	v_add_u32_e32 v4, v10, v2
	v_cmp_lt_u32_e32 vcc, 16, v3
	v_lshlrev_b32_e32 v1, 5, v10
	v_lshlrev_b32_e32 v4, 2, v4
	s_waitcnt lgkmcnt(0)
	s_barrier
	s_and_saveexec_b64 s[0:1], vcc
	s_cbranch_execnz .LBB132_64
; %bb.55:
	s_or_b64 exec, exec, s[0:1]
	v_cmp_lt_u32_e32 vcc, 24, v3
	s_and_saveexec_b64 s[0:1], vcc
	s_cbranch_execnz .LBB132_65
.LBB132_56:
	s_or_b64 exec, exec, s[0:1]
	v_cmp_ge_u32_e32 vcc, v6, v7
	s_and_saveexec_b64 s[0:1], vcc
	s_cbranch_execz .LBB132_58
.LBB132_57:
	v_add_lshl_u32 v4, v2, v7, 2
	ds_read_b32 v4, v4
	s_waitcnt lgkmcnt(0)
	ds_write_b32 v9, v4
.LBB132_58:
	s_or_b64 exec, exec, s[0:1]
	v_cmp_lt_u32_e32 vcc, 8, v3
	v_lshlrev_b32_e32 v3, 5, v7
	s_movk_i32 s0, 0x100
	v_add3_u32 v4, v3, v6, s0
	v_lshlrev_b32_e32 v4, 2, v4
	s_and_saveexec_b64 s[0:1], vcc
	s_cbranch_execz .LBB132_60
; %bb.59:
	v_add_lshl_u32 v2, v7, v2, 2
	ds_read_b32 v2, v2 offset:32
	s_waitcnt lgkmcnt(0)
	ds_write_b32 v4, v2
.LBB132_60:
	s_or_b64 exec, exec, s[0:1]
	v_lshlrev_b32_e32 v2, 2, v7
	v_add_u32_e32 v5, 0x1800, v2
	s_waitcnt lgkmcnt(0)
	s_barrier
	ds_read2_b32 v[12:13], v5 offset1:8
	v_lshlrev_b32_e32 v5, 2, v10
	v_add_lshl_u32 v1, v1, v6, 2
	ds_read_b32 v5, v5 offset:6144
	v_add_lshl_u32 v3, v3, v6, 2
	ds_read_b32 v7, v9
	ds_read_b32 v4, v4
	ds_read_b32 v3, v3 offset:3072
	ds_read_b32 v1, v1
	ds_read_b32 v2, v2 offset:6240
	s_waitcnt lgkmcnt(4)
	v_fma_f32 v7, v7, v12, 0
	s_waitcnt lgkmcnt(3)
	v_fmac_f32_e32 v7, v4, v13
	s_waitcnt lgkmcnt(1)
	v_fmac_f32_e32 v7, v1, v5
	;; [unrolled: 2-line block ×3, first 2 shown]
	ds_write_b32 v9, v7 offset:4096
	s_waitcnt lgkmcnt(0)
	s_barrier
	s_and_saveexec_b64 s[0:1], s[6:7]
	s_cbranch_execz .LBB132_63
; %bb.61:
	s_cmp_lt_u32 s2, s24
	v_cmp_gt_i32_e32 vcc, s13, v6
	s_cselect_b64 s[0:1], -1, 0
	s_or_b64 s[0:1], vcc, s[0:1]
	s_and_b64 exec, exec, s[0:1]
	s_cbranch_execz .LBB132_63
; %bb.62:
	v_add_u32_e32 v7, 0x1000, v0
	ds_read2_b32 v[0:1], v7 offset1:32
	ds_read2_b32 v[2:3], v7 offset0:64 offset1:96
	ds_read2_b32 v[4:5], v7 offset0:128 offset1:160
	;; [unrolled: 1-line block ×3, first 2 shown]
	v_cmp_neq_f32_e64 vcc, s12, 0
	s_waitcnt lgkmcnt(3)
	v_add_f32_e32 v0, 0, v0
	v_add_f32_e32 v0, v0, v1
	s_waitcnt lgkmcnt(2)
	v_add_f32_e32 v0, v0, v2
	v_add_f32_e32 v0, v0, v3
	s_waitcnt lgkmcnt(1)
	v_add_f32_e32 v0, v0, v4
	v_add_f32_e32 v0, v0, v5
	s_waitcnt lgkmcnt(0)
	v_add_f32_e32 v0, v0, v10
	v_add_f32_e32 v0, v0, v11
	v_mul_f32_e32 v1, s3, v0
	v_fmac_f32_e32 v8, s3, v0
	v_cndmask_b32_e32 v4, v1, v8, vcc
	v_mad_u64_u32 v[0:1], s[0:1], v6, s10, 0
	v_mov_b32_e32 v2, v1
	v_mad_u64_u32 v[2:3], s[0:1], v6, s11, v[2:3]
	v_mov_b32_e32 v1, v2
	v_lshl_add_u64 v[0:1], v[0:1], 2, s[8:9]
	global_store_dword v[0:1], v4, off
.LBB132_63:
	s_endpgm
.LBB132_64:
	ds_read_b32 v5, v4
	v_add_lshl_u32 v11, v1, v6, 2
	s_waitcnt lgkmcnt(0)
	ds_write_b32 v11, v5
	s_or_b64 exec, exec, s[0:1]
	v_cmp_lt_u32_e32 vcc, 24, v3
	s_and_saveexec_b64 s[0:1], vcc
	s_cbranch_execz .LBB132_56
.LBB132_65:
	ds_read_b32 v4, v4 offset:32
	s_waitcnt lgkmcnt(0)
	ds_write_b32 v9, v4 offset:3072
	s_or_b64 exec, exec, s[0:1]
	v_cmp_ge_u32_e32 vcc, v6, v7
	s_and_saveexec_b64 s[0:1], vcc
	s_cbranch_execnz .LBB132_57
	s_branch .LBB132_58
	.section	.rodata,"a",@progbits
	.p2align	6, 0x0
	.amdhsa_kernel _ZL58rocblas_symv_kernel_upper_double_buffered_diagonal_genericILi32ELi8E24rocblas_internal_val_ptrIfEPKPKfPKPfEvbiT1_lT2_lllSA_lllS9_lT3_lllii
		.amdhsa_group_segment_fixed_size 6272
		.amdhsa_private_segment_fixed_size 0
		.amdhsa_kernarg_size 400
		.amdhsa_user_sgpr_count 2
		.amdhsa_user_sgpr_dispatch_ptr 0
		.amdhsa_user_sgpr_queue_ptr 0
		.amdhsa_user_sgpr_kernarg_segment_ptr 1
		.amdhsa_user_sgpr_dispatch_id 0
		.amdhsa_user_sgpr_kernarg_preload_length 0
		.amdhsa_user_sgpr_kernarg_preload_offset 0
		.amdhsa_user_sgpr_private_segment_size 0
		.amdhsa_uses_dynamic_stack 0
		.amdhsa_enable_private_segment 0
		.amdhsa_system_sgpr_workgroup_id_x 1
		.amdhsa_system_sgpr_workgroup_id_y 0
		.amdhsa_system_sgpr_workgroup_id_z 1
		.amdhsa_system_sgpr_workgroup_info 0
		.amdhsa_system_vgpr_workitem_id 1
		.amdhsa_next_free_vgpr 18
		.amdhsa_next_free_sgpr 36
		.amdhsa_accum_offset 20
		.amdhsa_reserve_vcc 1
		.amdhsa_float_round_mode_32 0
		.amdhsa_float_round_mode_16_64 0
		.amdhsa_float_denorm_mode_32 3
		.amdhsa_float_denorm_mode_16_64 3
		.amdhsa_dx10_clamp 1
		.amdhsa_ieee_mode 1
		.amdhsa_fp16_overflow 0
		.amdhsa_tg_split 0
		.amdhsa_exception_fp_ieee_invalid_op 0
		.amdhsa_exception_fp_denorm_src 0
		.amdhsa_exception_fp_ieee_div_zero 0
		.amdhsa_exception_fp_ieee_overflow 0
		.amdhsa_exception_fp_ieee_underflow 0
		.amdhsa_exception_fp_ieee_inexact 0
		.amdhsa_exception_int_div_zero 0
	.end_amdhsa_kernel
	.section	.text._ZL58rocblas_symv_kernel_upper_double_buffered_diagonal_genericILi32ELi8E24rocblas_internal_val_ptrIfEPKPKfPKPfEvbiT1_lT2_lllSA_lllS9_lT3_lllii,"axG",@progbits,_ZL58rocblas_symv_kernel_upper_double_buffered_diagonal_genericILi32ELi8E24rocblas_internal_val_ptrIfEPKPKfPKPfEvbiT1_lT2_lllSA_lllS9_lT3_lllii,comdat
.Lfunc_end132:
	.size	_ZL58rocblas_symv_kernel_upper_double_buffered_diagonal_genericILi32ELi8E24rocblas_internal_val_ptrIfEPKPKfPKPfEvbiT1_lT2_lllSA_lllS9_lT3_lllii, .Lfunc_end132-_ZL58rocblas_symv_kernel_upper_double_buffered_diagonal_genericILi32ELi8E24rocblas_internal_val_ptrIfEPKPKfPKPfEvbiT1_lT2_lllSA_lllS9_lT3_lllii
                                        ; -- End function
	.section	.AMDGPU.csdata,"",@progbits
; Kernel info:
; codeLenInByte = 2652
; NumSgprs: 42
; NumVgprs: 18
; NumAgprs: 0
; TotalNumVgprs: 18
; ScratchSize: 0
; MemoryBound: 0
; FloatMode: 240
; IeeeMode: 1
; LDSByteSize: 6272 bytes/workgroup (compile time only)
; SGPRBlocks: 5
; VGPRBlocks: 2
; NumSGPRsForWavesPerEU: 42
; NumVGPRsForWavesPerEU: 18
; AccumOffset: 20
; Occupancy: 8
; WaveLimiterHint : 1
; COMPUTE_PGM_RSRC2:SCRATCH_EN: 0
; COMPUTE_PGM_RSRC2:USER_SGPR: 2
; COMPUTE_PGM_RSRC2:TRAP_HANDLER: 0
; COMPUTE_PGM_RSRC2:TGID_X_EN: 1
; COMPUTE_PGM_RSRC2:TGID_Y_EN: 0
; COMPUTE_PGM_RSRC2:TGID_Z_EN: 1
; COMPUTE_PGM_RSRC2:TIDIG_COMP_CNT: 1
; COMPUTE_PGM_RSRC3_GFX90A:ACCUM_OFFSET: 4
; COMPUTE_PGM_RSRC3_GFX90A:TG_SPLIT: 0
	.section	.text._ZL62rocblas_symv_kernel_upper_double_buffered_non_diagonal_genericILi32ELi8ELi2ELi0E24rocblas_internal_val_ptrIfEPKPKfPKPfEvbiT3_lT4_lllSA_lllT5_lllii,"axG",@progbits,_ZL62rocblas_symv_kernel_upper_double_buffered_non_diagonal_genericILi32ELi8ELi2ELi0E24rocblas_internal_val_ptrIfEPKPKfPKPfEvbiT3_lT4_lllSA_lllT5_lllii,comdat
	.globl	_ZL62rocblas_symv_kernel_upper_double_buffered_non_diagonal_genericILi32ELi8ELi2ELi0E24rocblas_internal_val_ptrIfEPKPKfPKPfEvbiT3_lT4_lllSA_lllT5_lllii ; -- Begin function _ZL62rocblas_symv_kernel_upper_double_buffered_non_diagonal_genericILi32ELi8ELi2ELi0E24rocblas_internal_val_ptrIfEPKPKfPKPfEvbiT3_lT4_lllSA_lllT5_lllii
	.p2align	8
	.type	_ZL62rocblas_symv_kernel_upper_double_buffered_non_diagonal_genericILi32ELi8ELi2ELi0E24rocblas_internal_val_ptrIfEPKPKfPKPfEvbiT3_lT4_lllSA_lllT5_lllii,@function
_ZL62rocblas_symv_kernel_upper_double_buffered_non_diagonal_genericILi32ELi8ELi2ELi0E24rocblas_internal_val_ptrIfEPKPKfPKPfEvbiT3_lT4_lllSA_lllT5_lllii: ; @_ZL62rocblas_symv_kernel_upper_double_buffered_non_diagonal_genericILi32ELi8ELi2ELi0E24rocblas_internal_val_ptrIfEPKPKfPKPfEvbiT3_lT4_lllSA_lllT5_lllii
; %bb.0:
	s_load_dword s5, s[0:1], 0x0
	s_load_dwordx8 s[8:15], s[0:1], 0x8
	s_load_dwordx2 s[16:17], s[0:1], 0x28
	s_waitcnt lgkmcnt(0)
	s_bitcmp0_b32 s5, 0
	s_cbranch_scc0 .LBB133_2
; %bb.1:
	s_mul_i32 s5, s4, s11
	s_mul_hi_u32 s6, s4, s10
	s_add_i32 s7, s6, s5
	s_mul_i32 s6, s4, s10
	s_lshl_b64 s[6:7], s[6:7], 2
	s_add_u32 s6, s8, s6
	s_addc_u32 s7, s9, s7
	s_load_dword s28, s[6:7], 0x0
	s_cbranch_execz .LBB133_3
	s_branch .LBB133_4
.LBB133_2:
                                        ; implicit-def: $sgpr28
.LBB133_3:
	s_waitcnt lgkmcnt(0)
	s_mov_b32 s28, s8
.LBB133_4:
	s_waitcnt lgkmcnt(0)
	v_cmp_eq_f32_e64 s[6:7], s28, 0
	s_and_b64 vcc, exec, s[6:7]
	s_cbranch_vccnz .LBB133_38
; %bb.5:
	s_load_dword s20, s[0:1], 0x84
	s_add_u32 s18, s0, 0x80
	s_addc_u32 s19, s1, 0
	s_cmp_eq_u32 s2, 0
	s_waitcnt lgkmcnt(0)
	v_cvt_f32_u32_e32 v1, s20
	v_rcp_iflag_f32_e32 v1, v1
	s_nop 0
	v_mul_f32_e32 v1, 0x4f7ffffe, v1
	v_cvt_u32_f32_e32 v1, v1
	s_nop 0
	v_readfirstlane_b32 s5, v1
	s_cbranch_scc1 .LBB133_38
; %bb.6:
	s_sub_i32 s6, 0, s20
	s_mul_i32 s6, s6, s5
	s_mul_hi_u32 s6, s5, s6
	s_add_i32 s5, s5, s6
	s_load_dwordx2 s[22:23], s[0:1], 0x58
	s_load_dwordx4 s[8:11], s[0:1], 0x38
	s_mul_hi_u32 s21, s2, s5
	s_mov_b32 s5, 0
	s_lshl_b64 s[24:25], s[4:5], 3
	s_add_u32 s4, s12, s24
	s_addc_u32 s5, s13, s25
	s_waitcnt lgkmcnt(0)
	s_add_u32 s6, s8, s24
	s_addc_u32 s7, s9, s25
	s_add_u32 s8, s22, s24
	s_mul_i32 s12, s21, s20
	s_addc_u32 s9, s23, s25
	s_sub_i32 s12, s2, s12
	s_add_i32 s13, s21, 1
	s_sub_i32 s22, s12, s20
	s_cmp_ge_u32 s12, s20
	s_cselect_b32 s13, s13, s21
	s_cselect_b32 s12, s22, s12
	s_add_i32 s21, s13, 1
	s_cmp_ge_u32 s12, s20
	s_cselect_b32 s33, s21, s13
	s_add_i32 s12, s20, -1
	s_cmp_lg_u32 s3, s12
	s_mov_b32 s29, s33
	s_cbranch_scc1 .LBB133_8
; %bb.7:
	s_mul_i32 s12, s33, s20
	s_sub_i32 s12, s2, s12
	s_add_i32 s29, s12, s33
.LBB133_8:
	s_cmp_eq_u32 s29, 0
	s_cbranch_scc1 .LBB133_38
; %bb.9:
	s_load_dwordx2 s[12:13], s[6:7], 0x0
	s_load_dwordx2 s[22:23], s[4:5], 0x0
	;; [unrolled: 1-line block ×4, first 2 shown]
	s_load_dword s30, s[0:1], 0x78
	s_lshl_b64 s[4:5], s[10:11], 2
	s_waitcnt lgkmcnt(0)
	s_add_u32 s12, s12, s4
	s_addc_u32 s13, s13, s5
	s_lshl_b32 s6, s2, 5
	s_ashr_i32 s7, s6, 31
	s_mul_i32 s4, s6, s21
	s_mul_hi_u32 s5, s6, s20
	s_load_dword s31, s[18:19], 0x0
	s_add_i32 s4, s5, s4
	s_mul_i32 s5, s7, s20
	s_add_i32 s5, s4, s5
	s_mul_i32 s4, s6, s20
	s_lshl_b64 s[4:5], s[4:5], 2
	s_add_u32 s10, s12, s4
	s_addc_u32 s11, s13, s5
	s_waitcnt lgkmcnt(0)
	s_add_i32 s31, s31, -1
	v_and_b32_e32 v22, 0x3ff, v0
	v_bfe_u32 v1, v0, 10, 10
	s_cmp_lg_u32 s2, s31
	v_lshl_add_u32 v8, v1, 5, v22
	s_cselect_b64 s[8:9], -1, 0
	v_and_b32_e32 v0, 15, v22
	v_lshrrev_b32_e32 v4, 4, v8
	v_cmp_eq_u32_e64 s[4:5], 0, v1
	s_mov_b64 s[18:19], -1
	s_and_b64 vcc, exec, s[8:9]
	s_cbranch_vccnz .LBB133_15
; %bb.10:
	s_and_saveexec_b64 s[18:19], s[4:5]
	s_cbranch_execz .LBB133_14
; %bb.11:
	v_cmp_gt_i32_e32 vcc, s30, v22
	v_mov_b32_e32 v1, 0
	s_and_saveexec_b64 s[26:27], vcc
	s_cbranch_execz .LBB133_13
; %bb.12:
	v_mad_u64_u32 v[2:3], s[34:35], v22, s20, 0
	v_mov_b32_e32 v6, v3
	v_mad_u64_u32 v[6:7], s[34:35], v22, s21, v[6:7]
	v_mov_b32_e32 v3, v6
	v_lshl_add_u64 v[2:3], v[2:3], 2, s[10:11]
	global_load_dword v1, v[2:3], off
.LBB133_13:
	s_or_b64 exec, exec, s[26:27]
	v_lshlrev_b32_e32 v2, 2, v22
	s_waitcnt vmcnt(0)
	ds_write_b32 v2, v1 offset:4096
.LBB133_14:
	s_or_b64 exec, exec, s[18:19]
	v_lshlrev_b32_e32 v1, 2, v0
	v_lshl_or_b32 v1, v4, 7, v1
	v_mov_b32_e32 v2, 0
	ds_write2_b32 v1, v2, v2 offset1:16
	v_add_u32_e32 v1, 0x800, v1
	s_mov_b64 s[18:19], 0
	ds_write2_b32 v1, v2, v2 offset1:16
.LBB133_15:
	s_and_b64 vcc, exec, s[18:19]
	s_cbranch_vccz .LBB133_19
; %bb.16:
	s_and_saveexec_b64 s[18:19], s[4:5]
	s_cbranch_execz .LBB133_18
; %bb.17:
	v_mad_u64_u32 v[2:3], s[26:27], v22, s20, 0
	v_mov_b32_e32 v6, v3
	v_mad_u64_u32 v[6:7], s[26:27], v22, s21, v[6:7]
	v_mov_b32_e32 v3, v6
	v_lshl_add_u64 v[2:3], v[2:3], 2, s[10:11]
	global_load_dword v1, v[2:3], off
	v_lshlrev_b32_e32 v2, 2, v22
	s_waitcnt vmcnt(0)
	ds_write_b32 v2, v1 offset:4096
.LBB133_18:
	s_or_b64 exec, exec, s[18:19]
.LBB133_19:
	s_lshr_b32 s10, s30, 31
	s_add_i32 s10, s30, s10
	s_ashr_i32 s10, s10, 1
	v_cmp_gt_i32_e32 vcc, s10, v4
	s_mul_i32 s3, s3, s33
	s_or_b64 s[18:19], s[8:9], vcc
	s_mov_b32 s8, 0
	s_lshl_b32 s26, s3, 5
	s_mov_b32 s9, s8
	s_ashr_i32 s27, s26, 31
	v_lshlrev_b32_e32 v6, 1, v4
	v_mov_b32_e32 v1, 0
	v_mov_b64_e32 v[2:3], s[8:9]
	s_waitcnt lgkmcnt(0)
	s_barrier
	s_and_saveexec_b64 s[8:9], s[18:19]
	s_cbranch_execz .LBB133_21
; %bb.20:
	v_mad_u64_u32 v[2:3], s[10:11], v6, s16, v[0:1]
	v_mov_b32_e32 v10, v3
	v_mad_u64_u32 v[10:11], s[10:11], v6, s17, v[10:11]
	s_lshl_b64 s[10:11], s[14:15], 2
	s_add_u32 s3, s22, s10
	s_addc_u32 s33, s23, s11
	s_mul_i32 s10, s6, s17
	s_mul_hi_u32 s11, s6, s16
	s_add_i32 s10, s11, s10
	s_mul_i32 s11, s7, s16
	s_add_i32 s11, s10, s11
	s_mul_i32 s10, s6, s16
	s_lshl_b64 s[10:11], s[10:11], 2
	s_add_u32 s3, s3, s10
	s_addc_u32 s33, s33, s11
	s_lshl_b64 s[10:11], s[26:27], 2
	s_add_u32 s10, s3, s10
	v_mov_b32_e32 v3, v10
	s_addc_u32 s11, s33, s11
	v_lshl_add_u64 v[10:11], v[2:3], 2, s[10:11]
	v_lshl_add_u64 v[12:13], s[16:17], 2, v[10:11]
	global_load_dword v2, v[10:11], off
	global_load_dword v3, v[12:13], off
.LBB133_21:
	s_or_b64 exec, exec, s[8:9]
	s_load_dwordx4 s[8:11], s[0:1], 0x60
	v_lshl_or_b32 v1, v4, 5, v0
	s_waitcnt lgkmcnt(0)
	s_lshl_b64 s[0:1], s[8:9], 2
	s_add_u32 s3, s24, s0
	s_addc_u32 s24, s25, s1
	s_cmp_gt_i32 s29, 0
	s_cbranch_scc1 .LBB133_23
; %bb.22:
	v_lshl_or_b32 v4, v4, 5, v0
	v_or_b32_e32 v23, 16, v4
	s_mov_b32 s8, 0
	v_mov_b32_e32 v28, s8
	v_mov_b32_e32 v29, s8
	s_cbranch_execz .LBB133_24
	s_branch .LBB133_35
.LBB133_23:
                                        ; implicit-def: $sgpr8
                                        ; implicit-def: $vgpr4
                                        ; implicit-def: $vgpr23
	v_mov_b32_e32 v28, s8
	v_mov_b32_e32 v29, s8
.LBB133_24:
	v_mad_u64_u32 v[4:5], s[0:1], v0, s20, 0
	v_mov_b32_e32 v10, v5
	v_mad_u64_u32 v[10:11], s[0:1], v0, s21, v[10:11]
	s_mul_i32 s0, s26, s21
	s_mul_hi_u32 s1, s26, s20
	s_add_i32 s0, s1, s0
	s_mul_i32 s1, s27, s20
	s_add_i32 s1, s0, s1
	s_mul_i32 s0, s26, s20
	s_lshl_b64 s[0:1], s[0:1], 2
	s_add_u32 s0, s12, s0
	v_mov_b32_e32 v5, v10
	s_addc_u32 s1, s13, s1
	v_lshl_add_u64 v[4:5], v[4:5], 2, s[0:1]
	global_load_dword v27, v[4:5], off
	s_mul_i32 s0, s26, s11
	s_mul_hi_u32 s1, s26, s10
	s_add_i32 s0, s1, s0
	s_mul_i32 s1, s27, s10
	s_add_i32 s1, s0, s1
	s_mul_i32 s0, s26, s10
	v_mad_u64_u32 v[4:5], s[8:9], v22, s10, 0
	s_lshl_b64 s[0:1], s[0:1], 2
	v_mov_b32_e32 v10, v5
	s_add_u32 s34, s3, s0
	v_mad_u64_u32 v[10:11], s[8:9], v22, s11, v[10:11]
	s_addc_u32 s35, s24, s1
	s_lshl_b64 s[0:1], s[20:21], 7
	s_lshl_b64 s[8:9], s[10:11], 7
	;; [unrolled: 1-line block ×4, first 2 shown]
	v_mov_b32_e32 v7, 0x1000
	s_add_u32 s22, s22, s26
	v_lshl_add_u32 v25, v6, 2, v7
	v_mov_b32_e32 v7, 0
	v_lshrrev_b32_e32 v8, 1, v8
	s_addc_u32 s23, s23, s27
	v_and_b32_e32 v8, 0x7ff8, v8
	v_mov_b32_e32 v9, v7
	s_add_u32 s14, s22, s14
	v_lshl_add_u64 v[12:13], s[6:7], 2, v[8:9]
	s_addc_u32 s15, s23, s15
	v_mov_b32_e32 v5, v10
	v_lshl_add_u64 v[10:11], v[12:13], 0, 4
	v_mov_b64_e32 v[14:15], s[14:15]
	v_lshlrev_b32_e32 v6, 2, v0
	v_mad_u64_u32 v[8:9], s[14:15], s16, v10, v[14:15]
	v_mul_lo_u32 v11, s16, v11
	v_mul_lo_u32 v10, s17, v10
	v_add3_u32 v9, v10, v9, v11
	v_mad_u64_u32 v[10:11], s[14:15], s16, v12, v[14:15]
	v_mul_lo_u32 v13, s16, v13
	v_mul_lo_u32 v12, s17, v12
	v_lshl_add_u64 v[14:15], s[26:27], 0, v[6:7]
	v_add3_u32 v11, v12, v11, v13
	v_lshl_add_u64 v[12:13], v[14:15], 0, 64
	v_mul_lo_u32 v16, s21, v12
	v_mul_lo_u32 v17, s20, v13
	v_mad_u64_u32 v[12:13], s[14:15], s20, v12, 0
	s_mov_b64 s[14:15], 0x80
	s_nop 0
	v_lshl_add_u64 v[14:15], v[14:15], 0, s[14:15]
	v_add3_u32 v13, v13, v17, v16
	v_mul_lo_u32 v16, s21, v14
	v_mul_lo_u32 v17, s20, v15
	v_mad_u64_u32 v[14:15], s[16:17], s20, v14, 0
	v_lshlrev_b32_e32 v24, 2, v1
	v_or_b32_e32 v23, 16, v1
	v_lshlrev_b32_e32 v26, 2, v22
	v_add3_u32 v15, v15, v17, v16
	v_mov_b64_e32 v[16:17], s[34:35]
	v_mov_b32_e32 v29, v7
	v_mov_b32_e32 v28, v7
	;; [unrolled: 1-line block ×4, first 2 shown]
	v_lshl_add_u64 v[18:19], s[12:13], 0, v[12:13]
	global_load_dword v32, v[18:19], off
	s_and_saveexec_b64 s[16:17], s[18:19]
	s_cbranch_execz .LBB133_26
.LBB133_25:
	v_lshl_add_u64 v[20:21], v[10:11], 0, v[6:7]
	v_lshl_add_u64 v[18:19], v[8:9], 0, v[6:7]
	global_load_dword v30, v[20:21], off offset:64
	global_load_dword v31, v[18:19], off offset:64
.LBB133_26:                             ; =>This Inner Loop Header: Depth=1
	s_or_b64 exec, exec, s[16:17]
	ds_read_b64 v[20:21], v25
	s_cmp_eq_u32 s29, 1
	s_waitcnt vmcnt(1)
	v_mov_b32_e32 v33, v27
	v_mov_b64_e32 v[18:19], v[2:3]
	s_cbranch_scc1 .LBB133_30
; %bb.27:                               ;   in Loop: Header=BB133_26 Depth=1
	v_mov_b64_e32 v[18:19], v[2:3]
	s_and_saveexec_b64 s[16:17], s[18:19]
	s_cbranch_execz .LBB133_29
; %bb.28:                               ;   in Loop: Header=BB133_26 Depth=1
	v_lshl_add_u64 v[34:35], v[10:11], 0, v[6:7]
	v_lshl_add_u64 v[36:37], v[8:9], 0, v[6:7]
	global_load_dword v18, v[34:35], off offset:128
	global_load_dword v19, v[36:37], off offset:128
.LBB133_29:                             ;   in Loop: Header=BB133_26 Depth=1
	s_or_b64 exec, exec, s[16:17]
	v_lshl_add_u64 v[34:35], s[12:13], 0, v[14:15]
	global_load_dword v33, v[34:35], off
.LBB133_30:                             ;   in Loop: Header=BB133_26 Depth=1
	s_waitcnt lgkmcnt(0)
	v_fma_f32 v34, v2, v20, 0
	v_fma_f32 v20, v30, v20, 0
	v_fmac_f32_e32 v34, v3, v21
	s_waitcnt vmcnt(0)
	v_fmac_f32_e32 v20, v31, v21
	s_barrier
	ds_write2_b32 v24, v34, v20 offset1:16
	s_waitcnt lgkmcnt(0)
	s_barrier
	s_and_saveexec_b64 s[16:17], s[4:5]
	s_cbranch_execz .LBB133_32
; %bb.31:                               ;   in Loop: Header=BB133_26 Depth=1
	ds_read2_b32 v[20:21], v26 offset1:32
	ds_read2_b32 v[34:35], v26 offset0:64 offset1:96
	ds_read2_b32 v[36:37], v26 offset0:128 offset1:160
	;; [unrolled: 1-line block ×3, first 2 shown]
	v_add_u32_e32 v40, 0x400, v26
	s_waitcnt lgkmcnt(3)
	v_add_f32_e32 v20, 0, v20
	v_add_f32_e32 v20, v20, v21
	s_waitcnt lgkmcnt(2)
	v_add_f32_e32 v20, v20, v34
	v_add_f32_e32 v20, v20, v35
	s_waitcnt lgkmcnt(1)
	v_add_f32_e32 v34, v20, v36
	ds_read2_b32 v[20:21], v40 offset1:32
	v_add_f32_e32 v34, v34, v37
	s_waitcnt lgkmcnt(1)
	v_add_f32_e32 v34, v34, v38
	v_add_f32_e32 v36, v34, v39
	ds_read2_b32 v[34:35], v40 offset0:64 offset1:96
	s_waitcnt lgkmcnt(1)
	v_add_f32_e32 v20, v36, v20
	ds_read2_b32 v[36:37], v40 offset0:128 offset1:160
	v_add_f32_e32 v38, v20, v21
	ds_read2_b32 v[20:21], v40 offset0:192 offset1:224
	s_waitcnt lgkmcnt(2)
	v_add_f32_e32 v34, v38, v34
	v_add_f32_e32 v34, v34, v35
	s_waitcnt lgkmcnt(1)
	v_add_f32_e32 v34, v34, v36
	v_add_f32_e32 v34, v34, v37
	;; [unrolled: 3-line block ×3, first 2 shown]
	v_lshl_add_u64 v[20:21], v[4:5], 2, v[16:17]
	v_mul_f32_e32 v34, s28, v34
	global_atomic_add_f32 v[20:21], v34, off
	v_lshl_add_u64 v[16:17], v[16:17], 0, s[8:9]
.LBB133_32:                             ;   in Loop: Header=BB133_26 Depth=1
	s_or_b64 exec, exec, s[16:17]
	s_add_i32 s29, s29, -1
	s_add_u32 s12, s12, s0
	v_fmac_f32_e32 v29, v27, v2
	v_fmac_f32_e32 v28, v27, v3
	s_addc_u32 s13, s13, s1
	v_fmac_f32_e32 v29, v32, v30
	v_fmac_f32_e32 v28, v32, v31
	v_lshl_add_u64 v[8:9], v[8:9], 0, s[14:15]
	s_cmp_eq_u32 s29, 0
	v_lshl_add_u64 v[10:11], v[10:11], 0, s[14:15]
	s_cbranch_scc1 .LBB133_34
; %bb.33:                               ;   in Loop: Header=BB133_26 Depth=1
	v_mov_b32_e32 v27, v33
	v_mov_b64_e32 v[2:3], v[18:19]
	v_lshl_add_u64 v[18:19], s[12:13], 0, v[12:13]
	global_load_dword v32, v[18:19], off
	s_and_saveexec_b64 s[16:17], s[18:19]
	s_cbranch_execnz .LBB133_25
	s_branch .LBB133_26
.LBB133_34:
	v_mov_b32_e32 v4, v1
.LBB133_35:
	v_lshlrev_b32_e32 v1, 2, v4
	ds_write_b32 v1, v29 offset:2048
	v_lshlrev_b32_e32 v1, 2, v23
	ds_write_b32 v1, v28 offset:2048
	s_waitcnt lgkmcnt(0)
	s_barrier
	s_and_saveexec_b64 s[0:1], s[4:5]
	s_cbranch_execz .LBB133_38
; %bb.36:
	s_cmp_lt_u32 s2, s31
	v_cmp_gt_i32_e32 vcc, s30, v22
	s_cselect_b64 s[0:1], -1, 0
	s_or_b64 s[0:1], vcc, s[0:1]
	s_and_b64 exec, exec, s[0:1]
	s_cbranch_execz .LBB133_38
; %bb.37:
	v_lshlrev_b32_e32 v1, 4, v22
	s_waitcnt vmcnt(0)
	v_add_u32_e32 v3, 1, v22
	v_add_u32_e32 v4, 2, v22
	;; [unrolled: 1-line block ×7, first 2 shown]
	v_or_b32_e32 v0, v0, v1
	v_and_or_b32 v3, v3, 15, v1
	v_and_or_b32 v4, v4, 15, v1
	;; [unrolled: 1-line block ×7, first 2 shown]
	v_lshlrev_b32_e32 v2, 2, v0
	v_lshlrev_b32_e32 v3, 2, v3
	;; [unrolled: 1-line block ×8, first 2 shown]
	ds_read_b32 v2, v2 offset:2048
	ds_read_b32 v3, v3 offset:2048
	;; [unrolled: 1-line block ×8, first 2 shown]
	s_waitcnt lgkmcnt(7)
	v_add_f32_e32 v2, 0, v2
	s_waitcnt lgkmcnt(6)
	v_add_f32_e32 v2, v2, v3
	;; [unrolled: 2-line block ×8, first 2 shown]
	v_add_u32_e32 v3, 9, v22
	v_add_u32_e32 v4, 10, v22
	;; [unrolled: 1-line block ×6, first 2 shown]
	v_add_u32_e32 v9, -1, v22
	v_xor_b32_e32 v0, 8, v0
	v_and_or_b32 v3, v3, 15, v1
	v_and_or_b32 v4, v4, 15, v1
	;; [unrolled: 1-line block ×7, first 2 shown]
	v_lshlrev_b32_e32 v0, 2, v0
	v_lshlrev_b32_e32 v3, 2, v3
	;; [unrolled: 1-line block ×8, first 2 shown]
	ds_read_b32 v0, v0 offset:2048
	ds_read_b32 v3, v3 offset:2048
	;; [unrolled: 1-line block ×8, first 2 shown]
	s_waitcnt lgkmcnt(7)
	v_add_f32_e32 v0, v2, v0
	s_waitcnt lgkmcnt(6)
	v_add_f32_e32 v0, v0, v3
	;; [unrolled: 2-line block ×3, first 2 shown]
	s_mul_i32 s0, s6, s11
	s_mul_hi_u32 s1, s6, s10
	s_waitcnt lgkmcnt(4)
	v_add_f32_e32 v0, v0, v5
	s_add_i32 s0, s1, s0
	s_mul_i32 s1, s7, s10
	s_waitcnt lgkmcnt(3)
	v_add_f32_e32 v0, v0, v6
	s_add_i32 s1, s0, s1
	s_mul_i32 s0, s6, s10
	s_waitcnt lgkmcnt(2)
	v_add_f32_e32 v0, v0, v7
	s_lshl_b64 s[0:1], s[0:1], 2
	s_waitcnt lgkmcnt(1)
	v_add_f32_e32 v0, v0, v8
	s_add_u32 s0, s3, s0
	s_waitcnt lgkmcnt(0)
	v_add_f32_e32 v4, v0, v1
	v_mad_u64_u32 v[0:1], s[2:3], v22, s10, 0
	v_mov_b32_e32 v2, v1
	v_mad_u64_u32 v[2:3], s[2:3], v22, s11, v[2:3]
	s_addc_u32 s1, s24, s1
	v_mov_b32_e32 v1, v2
	v_lshl_add_u64 v[0:1], v[0:1], 2, s[0:1]
	v_mul_f32_e32 v2, s28, v4
	global_atomic_add_f32 v[0:1], v2, off
.LBB133_38:
	s_endpgm
	.section	.rodata,"a",@progbits
	.p2align	6, 0x0
	.amdhsa_kernel _ZL62rocblas_symv_kernel_upper_double_buffered_non_diagonal_genericILi32ELi8ELi2ELi0E24rocblas_internal_val_ptrIfEPKPKfPKPfEvbiT3_lT4_lllSA_lllT5_lllii
		.amdhsa_group_segment_fixed_size 4224
		.amdhsa_private_segment_fixed_size 0
		.amdhsa_kernarg_size 384
		.amdhsa_user_sgpr_count 2
		.amdhsa_user_sgpr_dispatch_ptr 0
		.amdhsa_user_sgpr_queue_ptr 0
		.amdhsa_user_sgpr_kernarg_segment_ptr 1
		.amdhsa_user_sgpr_dispatch_id 0
		.amdhsa_user_sgpr_kernarg_preload_length 0
		.amdhsa_user_sgpr_kernarg_preload_offset 0
		.amdhsa_user_sgpr_private_segment_size 0
		.amdhsa_uses_dynamic_stack 0
		.amdhsa_enable_private_segment 0
		.amdhsa_system_sgpr_workgroup_id_x 1
		.amdhsa_system_sgpr_workgroup_id_y 1
		.amdhsa_system_sgpr_workgroup_id_z 1
		.amdhsa_system_sgpr_workgroup_info 0
		.amdhsa_system_vgpr_workitem_id 1
		.amdhsa_next_free_vgpr 41
		.amdhsa_next_free_sgpr 36
		.amdhsa_accum_offset 44
		.amdhsa_reserve_vcc 1
		.amdhsa_float_round_mode_32 0
		.amdhsa_float_round_mode_16_64 0
		.amdhsa_float_denorm_mode_32 3
		.amdhsa_float_denorm_mode_16_64 3
		.amdhsa_dx10_clamp 1
		.amdhsa_ieee_mode 1
		.amdhsa_fp16_overflow 0
		.amdhsa_tg_split 0
		.amdhsa_exception_fp_ieee_invalid_op 0
		.amdhsa_exception_fp_denorm_src 0
		.amdhsa_exception_fp_ieee_div_zero 0
		.amdhsa_exception_fp_ieee_overflow 0
		.amdhsa_exception_fp_ieee_underflow 0
		.amdhsa_exception_fp_ieee_inexact 0
		.amdhsa_exception_int_div_zero 0
	.end_amdhsa_kernel
	.section	.text._ZL62rocblas_symv_kernel_upper_double_buffered_non_diagonal_genericILi32ELi8ELi2ELi0E24rocblas_internal_val_ptrIfEPKPKfPKPfEvbiT3_lT4_lllSA_lllT5_lllii,"axG",@progbits,_ZL62rocblas_symv_kernel_upper_double_buffered_non_diagonal_genericILi32ELi8ELi2ELi0E24rocblas_internal_val_ptrIfEPKPKfPKPfEvbiT3_lT4_lllSA_lllT5_lllii,comdat
.Lfunc_end133:
	.size	_ZL62rocblas_symv_kernel_upper_double_buffered_non_diagonal_genericILi32ELi8ELi2ELi0E24rocblas_internal_val_ptrIfEPKPKfPKPfEvbiT3_lT4_lllSA_lllT5_lllii, .Lfunc_end133-_ZL62rocblas_symv_kernel_upper_double_buffered_non_diagonal_genericILi32ELi8ELi2ELi0E24rocblas_internal_val_ptrIfEPKPKfPKPfEvbiT3_lT4_lllSA_lllT5_lllii
                                        ; -- End function
	.section	.AMDGPU.csdata,"",@progbits
; Kernel info:
; codeLenInByte = 2552
; NumSgprs: 42
; NumVgprs: 41
; NumAgprs: 0
; TotalNumVgprs: 41
; ScratchSize: 0
; MemoryBound: 0
; FloatMode: 240
; IeeeMode: 1
; LDSByteSize: 4224 bytes/workgroup (compile time only)
; SGPRBlocks: 5
; VGPRBlocks: 5
; NumSGPRsForWavesPerEU: 42
; NumVGPRsForWavesPerEU: 41
; AccumOffset: 44
; Occupancy: 8
; WaveLimiterHint : 1
; COMPUTE_PGM_RSRC2:SCRATCH_EN: 0
; COMPUTE_PGM_RSRC2:USER_SGPR: 2
; COMPUTE_PGM_RSRC2:TRAP_HANDLER: 0
; COMPUTE_PGM_RSRC2:TGID_X_EN: 1
; COMPUTE_PGM_RSRC2:TGID_Y_EN: 1
; COMPUTE_PGM_RSRC2:TGID_Z_EN: 1
; COMPUTE_PGM_RSRC2:TIDIG_COMP_CNT: 1
; COMPUTE_PGM_RSRC3_GFX90A:ACCUM_OFFSET: 10
; COMPUTE_PGM_RSRC3_GFX90A:TG_SPLIT: 0
	.section	.text._ZL62rocblas_symv_kernel_upper_double_buffered_non_diagonal_genericILi32ELi8ELi2ELi1E24rocblas_internal_val_ptrIfEPKPKfPKPfEvbiT3_lT4_lllSA_lllT5_lllii,"axG",@progbits,_ZL62rocblas_symv_kernel_upper_double_buffered_non_diagonal_genericILi32ELi8ELi2ELi1E24rocblas_internal_val_ptrIfEPKPKfPKPfEvbiT3_lT4_lllSA_lllT5_lllii,comdat
	.globl	_ZL62rocblas_symv_kernel_upper_double_buffered_non_diagonal_genericILi32ELi8ELi2ELi1E24rocblas_internal_val_ptrIfEPKPKfPKPfEvbiT3_lT4_lllSA_lllT5_lllii ; -- Begin function _ZL62rocblas_symv_kernel_upper_double_buffered_non_diagonal_genericILi32ELi8ELi2ELi1E24rocblas_internal_val_ptrIfEPKPKfPKPfEvbiT3_lT4_lllSA_lllT5_lllii
	.p2align	8
	.type	_ZL62rocblas_symv_kernel_upper_double_buffered_non_diagonal_genericILi32ELi8ELi2ELi1E24rocblas_internal_val_ptrIfEPKPKfPKPfEvbiT3_lT4_lllSA_lllT5_lllii,@function
_ZL62rocblas_symv_kernel_upper_double_buffered_non_diagonal_genericILi32ELi8ELi2ELi1E24rocblas_internal_val_ptrIfEPKPKfPKPfEvbiT3_lT4_lllSA_lllT5_lllii: ; @_ZL62rocblas_symv_kernel_upper_double_buffered_non_diagonal_genericILi32ELi8ELi2ELi1E24rocblas_internal_val_ptrIfEPKPKfPKPfEvbiT3_lT4_lllSA_lllT5_lllii
; %bb.0:
	s_load_dword s5, s[0:1], 0x0
	s_load_dwordx8 s[8:15], s[0:1], 0x8
	s_load_dwordx2 s[18:19], s[0:1], 0x28
	s_waitcnt lgkmcnt(0)
	s_bitcmp0_b32 s5, 0
	s_cbranch_scc0 .LBB134_2
; %bb.1:
	s_mul_i32 s5, s4, s11
	s_mul_hi_u32 s6, s4, s10
	s_add_i32 s7, s6, s5
	s_mul_i32 s6, s4, s10
	s_lshl_b64 s[6:7], s[6:7], 2
	s_add_u32 s6, s8, s6
	s_addc_u32 s7, s9, s7
	s_load_dword s33, s[6:7], 0x0
	s_cbranch_execz .LBB134_3
	s_branch .LBB134_4
.LBB134_2:
                                        ; implicit-def: $sgpr33
.LBB134_3:
	s_waitcnt lgkmcnt(0)
	s_mov_b32 s33, s8
.LBB134_4:
	s_waitcnt lgkmcnt(0)
	v_cmp_eq_f32_e64 s[6:7], s33, 0
	s_and_b64 vcc, exec, s[6:7]
	s_cbranch_vccnz .LBB134_62
; %bb.5:
	s_load_dword s16, s[0:1], 0x84
	s_add_u32 s6, s0, 0x80
	s_addc_u32 s7, s1, 0
	s_cmp_eq_u32 s2, 0
	s_waitcnt lgkmcnt(0)
	v_cvt_f32_u32_e32 v1, s16
	v_rcp_iflag_f32_e32 v1, v1
	s_nop 0
	v_mul_f32_e32 v1, 0x4f7ffffe, v1
	v_cvt_u32_f32_e32 v1, v1
	s_nop 0
	v_readfirstlane_b32 s5, v1
	s_cbranch_scc1 .LBB134_62
; %bb.6:
	s_sub_i32 s8, 0, s16
	s_mul_i32 s8, s8, s5
	s_mul_hi_u32 s8, s5, s8
	s_add_i32 s5, s5, s8
	s_load_dwordx2 s[20:21], s[0:1], 0x58
	s_load_dwordx4 s[8:11], s[0:1], 0x38
	s_mul_hi_u32 s17, s2, s5
	s_mov_b32 s5, 0
	s_lshl_b64 s[22:23], s[4:5], 3
	s_add_u32 s4, s12, s22
	s_addc_u32 s5, s13, s23
	s_waitcnt lgkmcnt(0)
	s_add_u32 s8, s8, s22
	s_addc_u32 s9, s9, s23
	s_add_u32 s12, s20, s22
	s_mul_i32 s20, s17, s16
	s_addc_u32 s13, s21, s23
	s_sub_i32 s20, s2, s20
	s_add_i32 s21, s17, 1
	s_sub_i32 s22, s20, s16
	s_cmp_ge_u32 s20, s16
	s_cselect_b32 s17, s21, s17
	s_cselect_b32 s20, s22, s20
	s_add_i32 s21, s17, 1
	s_cmp_ge_u32 s20, s16
	s_cselect_b32 s28, s21, s17
	s_add_i32 s17, s16, -1
	s_cmp_lg_u32 s3, s17
	s_mov_b32 s34, s28
	s_cbranch_scc1 .LBB134_8
; %bb.7:
	s_mul_i32 s16, s28, s16
	s_sub_i32 s16, s2, s16
	s_add_i32 s34, s16, s28
.LBB134_8:
	s_cmp_eq_u32 s34, 0
	s_cbranch_scc1 .LBB134_62
; %bb.9:
	s_load_dwordx2 s[16:17], s[8:9], 0x0
	s_load_dwordx2 s[20:21], s[0:1], 0x48
	;; [unrolled: 1-line block ×4, first 2 shown]
	s_lshl_b64 s[4:5], s[10:11], 2
	s_waitcnt lgkmcnt(0)
	s_add_u32 s16, s16, s4
	s_addc_u32 s17, s17, s5
	s_lshl_b32 s10, s2, 5
	s_ashr_i32 s11, s10, 31
	s_mul_i32 s4, s10, s21
	s_mul_hi_u32 s5, s10, s20
	s_load_dword s35, s[6:7], 0x0
	s_add_i32 s4, s5, s4
	s_mul_i32 s5, s11, s20
	s_add_i32 s5, s4, s5
	s_mul_i32 s4, s10, s20
	s_lshl_b64 s[4:5], s[4:5], 2
	s_add_u32 s8, s16, s4
	s_addc_u32 s9, s17, s5
	s_waitcnt lgkmcnt(0)
	s_add_i32 s35, s35, -1
	s_cmp_lg_u32 s2, s35
	v_and_b32_e32 v22, 0x3ff, v0
	v_bfe_u32 v0, v0, 10, 10
	s_cselect_b64 s[6:7], -1, 0
	v_lshl_add_u32 v8, v0, 5, v22
	v_cmp_eq_u32_e64 s[4:5], 0, v0
	s_mov_b64 s[12:13], -1
	s_and_b64 vcc, exec, s[6:7]
	s_cbranch_vccz .LBB134_13
; %bb.10:
	s_and_saveexec_b64 s[12:13], s[4:5]
	s_cbranch_execz .LBB134_12
; %bb.11:
	v_mad_u64_u32 v[0:1], s[26:27], v22, s20, 0
	v_mov_b32_e32 v2, v1
	v_mad_u64_u32 v[2:3], s[26:27], v22, s21, v[2:3]
	v_mov_b32_e32 v1, v2
	v_lshl_add_u64 v[0:1], v[0:1], 2, s[8:9]
	global_load_dword v0, v[0:1], off
	v_lshlrev_b32_e32 v1, 2, v22
	s_waitcnt vmcnt(0)
	ds_write_b32 v1, v0 offset:4096
.LBB134_12:
	s_or_b64 exec, exec, s[12:13]
	s_mov_b64 s[12:13], 0
.LBB134_13:
	s_load_dword s36, s[0:1], 0x78
	v_and_b32_e32 v0, 15, v22
	s_andn2_b64 vcc, exec, s[12:13]
	v_lshrrev_b32_e32 v6, 4, v8
	s_cbranch_vccnz .LBB134_19
; %bb.14:
	s_and_saveexec_b64 s[12:13], s[4:5]
	s_cbranch_execz .LBB134_18
; %bb.15:
	s_waitcnt lgkmcnt(0)
	v_cmp_gt_i32_e32 vcc, s36, v22
	v_mov_b32_e32 v1, 0
	s_and_saveexec_b64 s[26:27], vcc
	s_cbranch_execz .LBB134_17
; %bb.16:
	v_mad_u64_u32 v[2:3], s[30:31], v22, s20, 0
	v_mov_b32_e32 v4, v3
	v_mad_u64_u32 v[4:5], s[30:31], v22, s21, v[4:5]
	v_mov_b32_e32 v3, v4
	v_lshl_add_u64 v[2:3], v[2:3], 2, s[8:9]
	global_load_dword v1, v[2:3], off
.LBB134_17:
	s_or_b64 exec, exec, s[26:27]
	v_lshlrev_b32_e32 v2, 2, v22
	s_waitcnt vmcnt(0)
	ds_write_b32 v2, v1 offset:4096
.LBB134_18:
	s_or_b64 exec, exec, s[12:13]
	v_lshlrev_b32_e32 v1, 2, v0
	v_lshl_or_b32 v1, v6, 7, v1
	v_mov_b32_e32 v2, 0
	ds_write2_b32 v1, v2, v2 offset1:16
	v_add_u32_e32 v1, 0x800, v1
	ds_write2_b32 v1, v2, v2 offset1:16
.LBB134_19:
	s_waitcnt lgkmcnt(0)
	s_lshr_b32 s8, s36, 31
	s_add_i32 s8, s36, s8
	s_ashr_i32 s38, s8, 1
	s_lshl_b64 s[26:27], s[14:15], 2
	s_add_u32 s12, s22, s26
	s_mul_i32 s8, s10, s19
	s_mul_hi_u32 s9, s10, s18
	s_addc_u32 s13, s23, s27
	s_add_i32 s8, s9, s8
	s_mul_i32 s9, s11, s18
	s_add_i32 s9, s8, s9
	s_mul_i32 s8, s10, s18
	s_lshl_b64 s[8:9], s[8:9], 2
	s_add_u32 s8, s12, s8
	s_mul_i32 s3, s3, s28
	s_addc_u32 s9, s13, s9
	s_lshl_b32 s30, s3, 5
	s_ashr_i32 s31, s30, 31
	s_lshl_b64 s[28:29], s[30:31], 2
	s_add_u32 s12, s8, s28
	v_lshlrev_b32_e32 v7, 1, v6
	v_mov_b32_e32 v1, 0
	s_addc_u32 s13, s9, s29
	v_mad_u64_u32 v[4:5], s[8:9], v7, s18, v[0:1]
	v_mov_b32_e32 v2, v5
	v_mad_u64_u32 v[2:3], s[8:9], v7, s19, v[2:3]
	v_cndmask_b32_e64 v1, 0, 1, s[6:7]
	v_cmp_ne_u32_e64 s[8:9], 1, v1
	s_andn2_b64 vcc, exec, s[6:7]
	v_mov_b32_e32 v5, v2
	s_barrier
	s_cbranch_vccnz .LBB134_21
; %bb.20:
	v_lshl_add_u64 v[10:11], v[4:5], 2, s[12:13]
	v_lshl_add_u64 v[12:13], s[18:19], 2, v[10:11]
	global_load_dword v2, v[10:11], off
	global_load_dword v3, v[12:13], off
	v_cmp_le_i32_e64 s[6:7], s38, v6
	s_cbranch_execz .LBB134_22
	s_branch .LBB134_29
.LBB134_21:
                                        ; implicit-def: $vgpr2_vgpr3
	v_cmp_le_i32_e64 s[6:7], s38, v6
.LBB134_22:
                                        ; implicit-def: $vgpr2_vgpr3
	s_and_saveexec_b64 s[14:15], s[6:7]
	s_xor_b64 s[6:7], exec, s[14:15]
	s_cbranch_execz .LBB134_26
; %bb.23:
	s_mov_b32 s14, 0
	s_mov_b32 s15, s14
	v_cmp_eq_u32_e32 vcc, s38, v6
	s_waitcnt vmcnt(0)
	v_mov_b64_e32 v[2:3], s[14:15]
	s_and_saveexec_b64 s[14:15], vcc
	s_cbranch_execz .LBB134_25
; %bb.24:
	v_lshl_add_u64 v[2:3], v[4:5], 2, s[12:13]
	global_load_dword v2, v[2:3], off
	v_mov_b32_e32 v3, 0
.LBB134_25:
	s_or_b64 exec, exec, s[14:15]
                                        ; implicit-def: $vgpr4_vgpr5
.LBB134_26:
	s_andn2_saveexec_b64 s[6:7], s[6:7]
	s_cbranch_execz .LBB134_28
; %bb.27:
	v_lshl_add_u64 v[4:5], v[4:5], 2, s[12:13]
	v_lshl_add_u64 v[10:11], s[18:19], 2, v[4:5]
	global_load_dword v2, v[4:5], off
	global_load_dword v3, v[10:11], off
.LBB134_28:
	s_or_b64 exec, exec, s[6:7]
.LBB134_29:
	s_load_dwordx4 s[12:15], s[0:1], 0x60
	s_mov_b32 s6, 0
	v_lshl_or_b32 v1, v6, 5, v0
	s_waitcnt lgkmcnt(0)
	s_lshl_b64 s[0:1], s[12:13], 2
	s_add_u32 s3, s24, s0
	s_addc_u32 s37, s25, s1
	s_cmp_gt_i32 s34, 0
	s_cbranch_scc1 .LBB134_31
; %bb.30:
	v_lshl_or_b32 v4, v6, 5, v0
	v_or_b32_e32 v23, 16, v4
	v_mov_b32_e32 v28, s6
	v_mov_b32_e32 v29, s6
	s_cbranch_execz .LBB134_32
	s_branch .LBB134_59
.LBB134_31:
                                        ; implicit-def: $sgpr6
                                        ; implicit-def: $vgpr4
                                        ; implicit-def: $vgpr23
	v_mov_b32_e32 v28, s6
	v_mov_b32_e32 v29, s6
.LBB134_32:
	v_mad_u64_u32 v[4:5], s[0:1], v0, s20, 0
	v_mov_b32_e32 v10, v5
	v_mad_u64_u32 v[10:11], s[0:1], v0, s21, v[10:11]
	s_mul_i32 s0, s30, s21
	s_mul_hi_u32 s1, s30, s20
	s_add_i32 s0, s1, s0
	s_mul_i32 s1, s31, s20
	s_add_i32 s1, s0, s1
	s_mul_i32 s0, s30, s20
	s_lshl_b64 s[0:1], s[0:1], 2
	s_add_u32 s0, s16, s0
	v_mov_b32_e32 v5, v10
	s_addc_u32 s1, s17, s1
	v_lshl_add_u64 v[4:5], v[4:5], 2, s[0:1]
	global_load_dword v25, v[4:5], off
	s_mul_i32 s0, s30, s15
	s_mul_hi_u32 s1, s30, s14
	s_add_i32 s0, s1, s0
	s_mul_i32 s1, s31, s14
	s_add_i32 s1, s0, s1
	s_mul_i32 s0, s30, s14
	s_lshl_b64 s[0:1], s[0:1], 2
	s_add_u32 s30, s3, s0
	v_mad_u64_u32 v[4:5], s[24:25], v22, s14, 0
	s_addc_u32 s31, s37, s1
	v_cmp_le_i32_e64 s[0:1], s38, v6
	v_cmp_eq_u32_e64 s[6:7], s38, v6
	v_mov_b32_e32 v6, v5
	v_mad_u64_u32 v[10:11], s[24:25], v22, s15, v[6:7]
	s_lshl_b64 s[12:13], s[20:21], 7
	s_lshl_b64 s[24:25], s[14:15], 7
	s_add_u32 s22, s22, s28
	v_mov_b32_e32 v6, 0x1000
	s_addc_u32 s23, s23, s29
	v_lshl_add_u32 v26, v7, 2, v6
	v_mov_b32_e32 v7, 0
	v_lshrrev_b32_e32 v8, 1, v8
	s_add_u32 s22, s22, s26
	v_and_b32_e32 v8, 0x7ff8, v8
	v_mov_b32_e32 v9, v7
	s_addc_u32 s23, s23, s27
	v_mov_b32_e32 v5, v10
	v_lshl_add_u64 v[10:11], s[10:11], 2, v[8:9]
	v_mov_b64_e32 v[12:13], s[22:23]
	v_mad_u64_u32 v[8:9], s[22:23], s18, v10, v[12:13]
	v_mul_lo_u32 v14, s18, v11
	v_mul_lo_u32 v15, s19, v10
	v_lshlrev_b32_e32 v6, 2, v0
	v_add3_u32 v9, v15, v9, v14
	v_lshl_add_u64 v[14:15], v[10:11], 0, 4
	v_mad_u64_u32 v[10:11], s[22:23], s18, v14, v[12:13]
	v_mul_lo_u32 v12, s18, v15
	v_mul_lo_u32 v13, s19, v14
	v_lshl_add_u64 v[14:15], s[28:29], 0, v[6:7]
	v_add3_u32 v11, v13, v11, v12
	v_lshl_add_u64 v[12:13], v[14:15], 0, 64
	v_mul_lo_u32 v16, s21, v12
	v_mul_lo_u32 v17, s20, v13
	v_mad_u64_u32 v[12:13], s[18:19], s20, v12, 0
	s_mov_b64 s[18:19], 0x80
	s_nop 0
	v_lshl_add_u64 v[14:15], v[14:15], 0, s[18:19]
	v_add3_u32 v13, v13, v17, v16
	v_mul_lo_u32 v16, s21, v14
	v_mul_lo_u32 v17, s20, v15
	v_mad_u64_u32 v[14:15], s[20:21], s20, v14, 0
	v_lshlrev_b32_e32 v24, 2, v1
	v_or_b32_e32 v23, 16, v1
	v_lshlrev_b32_e32 v27, 2, v22
	v_add3_u32 v15, v15, v17, v16
	v_mov_b64_e32 v[16:17], s[30:31]
	v_mov_b32_e32 v29, v7
	v_mov_b32_e32 v28, v7
	;; [unrolled: 1-line block ×4, first 2 shown]
	v_lshl_add_u64 v[20:21], s[16:17], 0, v[12:13]
	global_load_dword v30, v[20:21], off
	s_and_b64 vcc, exec, s[8:9]
	s_cbranch_vccnz .LBB134_34
.LBB134_33:
	v_lshl_add_u64 v[20:21], v[8:9], 0, v[6:7]
	global_load_dword v31, v[20:21], off offset:64
	v_lshl_add_u64 v[20:21], v[10:11], 0, v[6:7]
	global_load_dword v32, v[20:21], off offset:64
	s_cbranch_execz .LBB134_35
	s_branch .LBB134_42
.LBB134_34:
                                        ; implicit-def: $vgpr32
                                        ; implicit-def: $vgpr31
.LBB134_35:
	s_and_saveexec_b64 s[20:21], s[0:1]
	s_xor_b64 s[20:21], exec, s[20:21]
	s_cbranch_execz .LBB134_39
; %bb.36:
	s_and_saveexec_b64 s[22:23], s[6:7]
	s_cbranch_execz .LBB134_38
; %bb.37:
	v_lshl_add_u64 v[20:21], v[8:9], 0, v[6:7]
	global_load_dword v18, v[20:21], off offset:64
.LBB134_38:
	s_or_b64 exec, exec, s[22:23]
.LBB134_39:
	s_andn2_saveexec_b64 s[20:21], s[20:21]
	s_cbranch_execz .LBB134_41
; %bb.40:
	s_waitcnt vmcnt(0)
	v_lshl_add_u64 v[18:19], v[8:9], 0, v[6:7]
	v_lshl_add_u64 v[20:21], v[10:11], 0, v[6:7]
	global_load_dword v18, v[18:19], off offset:64
	s_nop 0
	global_load_dword v19, v[20:21], off offset:64
.LBB134_41:
	s_or_b64 exec, exec, s[20:21]
	s_waitcnt vmcnt(0)
	v_mov_b32_e32 v31, v18
	v_mov_b32_e32 v32, v19
.LBB134_42:
	ds_read_b64 v[20:21], v26
	s_cmp_eq_u32 s34, 1
	s_waitcnt vmcnt(1)
	v_mov_b32_e32 v33, v25
	v_mov_b64_e32 v[18:19], v[2:3]
	s_cbranch_scc1 .LBB134_54
; %bb.43:
	s_and_b64 vcc, exec, s[8:9]
	s_cbranch_vccnz .LBB134_45
; %bb.44:
	v_lshl_add_u64 v[18:19], v[8:9], 0, v[6:7]
	v_lshl_add_u64 v[34:35], v[10:11], 0, v[6:7]
	global_load_dword v18, v[18:19], off offset:128
	s_nop 0
	global_load_dword v19, v[34:35], off offset:128
	s_cbranch_execz .LBB134_46
	s_branch .LBB134_53
.LBB134_45:
                                        ; implicit-def: $vgpr18_vgpr19
.LBB134_46:
                                        ; implicit-def: $vgpr18_vgpr19
	s_and_saveexec_b64 s[20:21], s[0:1]
	s_xor_b64 s[20:21], exec, s[20:21]
	s_cbranch_execz .LBB134_50
; %bb.47:
	s_waitcnt vmcnt(0)
	v_mov_b64_e32 v[18:19], v[2:3]
	s_and_saveexec_b64 s[22:23], s[6:7]
	s_cbranch_execz .LBB134_49
; %bb.48:
	v_lshl_add_u64 v[18:19], v[8:9], 0, v[6:7]
	global_load_dword v18, v[18:19], off offset:128
	v_mov_b32_e32 v19, v3
.LBB134_49:
	s_or_b64 exec, exec, s[22:23]
.LBB134_50:
	s_andn2_saveexec_b64 s[20:21], s[20:21]
	s_cbranch_execz .LBB134_52
; %bb.51:
	s_waitcnt vmcnt(0)
	v_lshl_add_u64 v[18:19], v[8:9], 0, v[6:7]
	v_lshl_add_u64 v[34:35], v[10:11], 0, v[6:7]
	global_load_dword v18, v[18:19], off offset:128
	s_nop 0
	global_load_dword v19, v[34:35], off offset:128
.LBB134_52:
	s_or_b64 exec, exec, s[20:21]
.LBB134_53:
	v_lshl_add_u64 v[34:35], s[16:17], 0, v[14:15]
	global_load_dword v33, v[34:35], off
.LBB134_54:
	s_waitcnt lgkmcnt(0)
	v_fma_f32 v34, v2, v20, 0
	s_waitcnt vmcnt(1)
	v_fma_f32 v20, v31, v20, 0
	v_fmac_f32_e32 v34, v3, v21
	s_waitcnt vmcnt(0)
	v_fmac_f32_e32 v20, v32, v21
	s_barrier
	ds_write2_b32 v24, v34, v20 offset1:16
	s_waitcnt lgkmcnt(0)
	s_barrier
	s_and_saveexec_b64 s[20:21], s[4:5]
	s_cbranch_execz .LBB134_56
; %bb.55:
	ds_read2_b32 v[20:21], v27 offset1:32
	ds_read2_b32 v[34:35], v27 offset0:64 offset1:96
	ds_read2_b32 v[36:37], v27 offset0:128 offset1:160
	;; [unrolled: 1-line block ×3, first 2 shown]
	v_add_u32_e32 v40, 0x400, v27
	s_waitcnt lgkmcnt(3)
	v_add_f32_e32 v20, 0, v20
	v_add_f32_e32 v20, v20, v21
	s_waitcnt lgkmcnt(2)
	v_add_f32_e32 v20, v20, v34
	v_add_f32_e32 v20, v20, v35
	s_waitcnt lgkmcnt(1)
	v_add_f32_e32 v34, v20, v36
	ds_read2_b32 v[20:21], v40 offset1:32
	v_add_f32_e32 v34, v34, v37
	s_waitcnt lgkmcnt(1)
	v_add_f32_e32 v34, v34, v38
	v_add_f32_e32 v36, v34, v39
	ds_read2_b32 v[34:35], v40 offset0:64 offset1:96
	s_waitcnt lgkmcnt(1)
	v_add_f32_e32 v20, v36, v20
	ds_read2_b32 v[36:37], v40 offset0:128 offset1:160
	v_add_f32_e32 v38, v20, v21
	ds_read2_b32 v[20:21], v40 offset0:192 offset1:224
	s_waitcnt lgkmcnt(2)
	v_add_f32_e32 v34, v38, v34
	v_add_f32_e32 v34, v34, v35
	s_waitcnt lgkmcnt(1)
	v_add_f32_e32 v34, v34, v36
	v_add_f32_e32 v34, v34, v37
	s_waitcnt lgkmcnt(0)
	v_add_f32_e32 v20, v34, v20
	v_add_f32_e32 v34, v20, v21
	v_lshl_add_u64 v[20:21], v[4:5], 2, v[16:17]
	v_mul_f32_e32 v34, s33, v34
	global_atomic_add_f32 v[20:21], v34, off
	v_lshl_add_u64 v[16:17], v[16:17], 0, s[24:25]
.LBB134_56:
	s_or_b64 exec, exec, s[20:21]
	s_add_i32 s34, s34, -1
	s_add_u32 s16, s16, s12
	v_fmac_f32_e32 v29, v25, v2
	v_fmac_f32_e32 v28, v25, v3
	s_addc_u32 s17, s17, s13
	v_fmac_f32_e32 v29, v30, v31
	v_fmac_f32_e32 v28, v30, v32
	v_lshl_add_u64 v[8:9], v[8:9], 0, s[18:19]
	s_cmp_eq_u32 s34, 0
	v_lshl_add_u64 v[10:11], v[10:11], 0, s[18:19]
	s_cbranch_scc1 .LBB134_58
; %bb.57:
	v_mov_b32_e32 v25, v33
	v_mov_b64_e32 v[2:3], v[18:19]
	v_mov_b32_e32 v18, v31
	v_mov_b32_e32 v19, v32
	v_lshl_add_u64 v[20:21], s[16:17], 0, v[12:13]
	global_load_dword v30, v[20:21], off
	s_and_b64 vcc, exec, s[8:9]
	s_cbranch_vccnz .LBB134_34
	s_branch .LBB134_33
.LBB134_58:
	v_mov_b32_e32 v4, v1
.LBB134_59:
	v_lshlrev_b32_e32 v1, 2, v4
	ds_write_b32 v1, v29 offset:2048
	v_lshlrev_b32_e32 v1, 2, v23
	ds_write_b32 v1, v28 offset:2048
	s_waitcnt lgkmcnt(0)
	s_barrier
	s_and_saveexec_b64 s[0:1], s[4:5]
	s_cbranch_execz .LBB134_62
; %bb.60:
	s_cmp_lt_u32 s2, s35
	v_cmp_gt_i32_e32 vcc, s36, v22
	s_cselect_b64 s[0:1], -1, 0
	s_or_b64 s[0:1], vcc, s[0:1]
	s_and_b64 exec, exec, s[0:1]
	s_cbranch_execz .LBB134_62
; %bb.61:
	v_lshlrev_b32_e32 v1, 4, v22
	s_waitcnt vmcnt(0)
	v_add_u32_e32 v3, 1, v22
	v_add_u32_e32 v4, 2, v22
	;; [unrolled: 1-line block ×7, first 2 shown]
	v_or_b32_e32 v0, v0, v1
	v_and_or_b32 v3, v3, 15, v1
	v_and_or_b32 v4, v4, 15, v1
	;; [unrolled: 1-line block ×7, first 2 shown]
	v_lshlrev_b32_e32 v2, 2, v0
	v_lshlrev_b32_e32 v3, 2, v3
	;; [unrolled: 1-line block ×8, first 2 shown]
	ds_read_b32 v2, v2 offset:2048
	ds_read_b32 v3, v3 offset:2048
	ds_read_b32 v4, v4 offset:2048
	ds_read_b32 v5, v5 offset:2048
	ds_read_b32 v6, v6 offset:2048
	ds_read_b32 v7, v7 offset:2048
	ds_read_b32 v8, v8 offset:2048
	ds_read_b32 v9, v9 offset:2048
	s_waitcnt lgkmcnt(7)
	v_add_f32_e32 v2, 0, v2
	s_waitcnt lgkmcnt(6)
	v_add_f32_e32 v2, v2, v3
	;; [unrolled: 2-line block ×8, first 2 shown]
	v_add_u32_e32 v3, 9, v22
	v_add_u32_e32 v4, 10, v22
	;; [unrolled: 1-line block ×6, first 2 shown]
	v_add_u32_e32 v9, -1, v22
	v_xor_b32_e32 v0, 8, v0
	v_and_or_b32 v3, v3, 15, v1
	v_and_or_b32 v4, v4, 15, v1
	;; [unrolled: 1-line block ×7, first 2 shown]
	v_lshlrev_b32_e32 v0, 2, v0
	v_lshlrev_b32_e32 v3, 2, v3
	;; [unrolled: 1-line block ×8, first 2 shown]
	ds_read_b32 v0, v0 offset:2048
	ds_read_b32 v3, v3 offset:2048
	;; [unrolled: 1-line block ×8, first 2 shown]
	s_waitcnt lgkmcnt(7)
	v_add_f32_e32 v0, v2, v0
	s_waitcnt lgkmcnt(6)
	v_add_f32_e32 v0, v0, v3
	;; [unrolled: 2-line block ×3, first 2 shown]
	s_mul_i32 s0, s10, s15
	s_mul_hi_u32 s1, s10, s14
	s_waitcnt lgkmcnt(4)
	v_add_f32_e32 v0, v0, v5
	s_add_i32 s0, s1, s0
	s_mul_i32 s1, s11, s14
	s_waitcnt lgkmcnt(3)
	v_add_f32_e32 v0, v0, v6
	s_add_i32 s1, s0, s1
	s_mul_i32 s0, s10, s14
	s_waitcnt lgkmcnt(2)
	v_add_f32_e32 v0, v0, v7
	s_lshl_b64 s[0:1], s[0:1], 2
	s_waitcnt lgkmcnt(1)
	v_add_f32_e32 v0, v0, v8
	s_add_u32 s0, s3, s0
	s_waitcnt lgkmcnt(0)
	v_add_f32_e32 v4, v0, v1
	v_mad_u64_u32 v[0:1], s[2:3], v22, s14, 0
	v_mov_b32_e32 v2, v1
	v_mad_u64_u32 v[2:3], s[2:3], v22, s15, v[2:3]
	s_addc_u32 s1, s37, s1
	v_mov_b32_e32 v1, v2
	v_lshl_add_u64 v[0:1], v[0:1], 2, s[0:1]
	v_mul_f32_e32 v2, s33, v4
	global_atomic_add_f32 v[0:1], v2, off
.LBB134_62:
	s_endpgm
	.section	.rodata,"a",@progbits
	.p2align	6, 0x0
	.amdhsa_kernel _ZL62rocblas_symv_kernel_upper_double_buffered_non_diagonal_genericILi32ELi8ELi2ELi1E24rocblas_internal_val_ptrIfEPKPKfPKPfEvbiT3_lT4_lllSA_lllT5_lllii
		.amdhsa_group_segment_fixed_size 4224
		.amdhsa_private_segment_fixed_size 0
		.amdhsa_kernarg_size 384
		.amdhsa_user_sgpr_count 2
		.amdhsa_user_sgpr_dispatch_ptr 0
		.amdhsa_user_sgpr_queue_ptr 0
		.amdhsa_user_sgpr_kernarg_segment_ptr 1
		.amdhsa_user_sgpr_dispatch_id 0
		.amdhsa_user_sgpr_kernarg_preload_length 0
		.amdhsa_user_sgpr_kernarg_preload_offset 0
		.amdhsa_user_sgpr_private_segment_size 0
		.amdhsa_uses_dynamic_stack 0
		.amdhsa_enable_private_segment 0
		.amdhsa_system_sgpr_workgroup_id_x 1
		.amdhsa_system_sgpr_workgroup_id_y 1
		.amdhsa_system_sgpr_workgroup_id_z 1
		.amdhsa_system_sgpr_workgroup_info 0
		.amdhsa_system_vgpr_workitem_id 1
		.amdhsa_next_free_vgpr 41
		.amdhsa_next_free_sgpr 39
		.amdhsa_accum_offset 44
		.amdhsa_reserve_vcc 1
		.amdhsa_float_round_mode_32 0
		.amdhsa_float_round_mode_16_64 0
		.amdhsa_float_denorm_mode_32 3
		.amdhsa_float_denorm_mode_16_64 3
		.amdhsa_dx10_clamp 1
		.amdhsa_ieee_mode 1
		.amdhsa_fp16_overflow 0
		.amdhsa_tg_split 0
		.amdhsa_exception_fp_ieee_invalid_op 0
		.amdhsa_exception_fp_denorm_src 0
		.amdhsa_exception_fp_ieee_div_zero 0
		.amdhsa_exception_fp_ieee_overflow 0
		.amdhsa_exception_fp_ieee_underflow 0
		.amdhsa_exception_fp_ieee_inexact 0
		.amdhsa_exception_int_div_zero 0
	.end_amdhsa_kernel
	.section	.text._ZL62rocblas_symv_kernel_upper_double_buffered_non_diagonal_genericILi32ELi8ELi2ELi1E24rocblas_internal_val_ptrIfEPKPKfPKPfEvbiT3_lT4_lllSA_lllT5_lllii,"axG",@progbits,_ZL62rocblas_symv_kernel_upper_double_buffered_non_diagonal_genericILi32ELi8ELi2ELi1E24rocblas_internal_val_ptrIfEPKPKfPKPfEvbiT3_lT4_lllSA_lllT5_lllii,comdat
.Lfunc_end134:
	.size	_ZL62rocblas_symv_kernel_upper_double_buffered_non_diagonal_genericILi32ELi8ELi2ELi1E24rocblas_internal_val_ptrIfEPKPKfPKPfEvbiT3_lT4_lllSA_lllT5_lllii, .Lfunc_end134-_ZL62rocblas_symv_kernel_upper_double_buffered_non_diagonal_genericILi32ELi8ELi2ELi1E24rocblas_internal_val_ptrIfEPKPKfPKPfEvbiT3_lT4_lllSA_lllT5_lllii
                                        ; -- End function
	.section	.AMDGPU.csdata,"",@progbits
; Kernel info:
; codeLenInByte = 2916
; NumSgprs: 45
; NumVgprs: 41
; NumAgprs: 0
; TotalNumVgprs: 41
; ScratchSize: 0
; MemoryBound: 0
; FloatMode: 240
; IeeeMode: 1
; LDSByteSize: 4224 bytes/workgroup (compile time only)
; SGPRBlocks: 5
; VGPRBlocks: 5
; NumSGPRsForWavesPerEU: 45
; NumVGPRsForWavesPerEU: 41
; AccumOffset: 44
; Occupancy: 8
; WaveLimiterHint : 1
; COMPUTE_PGM_RSRC2:SCRATCH_EN: 0
; COMPUTE_PGM_RSRC2:USER_SGPR: 2
; COMPUTE_PGM_RSRC2:TRAP_HANDLER: 0
; COMPUTE_PGM_RSRC2:TGID_X_EN: 1
; COMPUTE_PGM_RSRC2:TGID_Y_EN: 1
; COMPUTE_PGM_RSRC2:TGID_Z_EN: 1
; COMPUTE_PGM_RSRC2:TIDIG_COMP_CNT: 1
; COMPUTE_PGM_RSRC3_GFX90A:ACCUM_OFFSET: 10
; COMPUTE_PGM_RSRC3_GFX90A:TG_SPLIT: 0
	.section	.text._ZL26rocblas_hemvn_kernel_upperILb0ELi64ELi4ELi33ELi32ELi16ElPKfPKS1_PfEviT6_lT7_lT5_lS6_lS7_lS5_lT8_i,"axG",@progbits,_ZL26rocblas_hemvn_kernel_upperILb0ELi64ELi4ELi33ELi32ELi16ElPKfPKS1_PfEviT6_lT7_lT5_lS6_lS7_lS5_lT8_i,comdat
	.globl	_ZL26rocblas_hemvn_kernel_upperILb0ELi64ELi4ELi33ELi32ELi16ElPKfPKS1_PfEviT6_lT7_lT5_lS6_lS7_lS5_lT8_i ; -- Begin function _ZL26rocblas_hemvn_kernel_upperILb0ELi64ELi4ELi33ELi32ELi16ElPKfPKS1_PfEviT6_lT7_lT5_lS6_lS7_lS5_lT8_i
	.p2align	8
	.type	_ZL26rocblas_hemvn_kernel_upperILb0ELi64ELi4ELi33ELi32ELi16ElPKfPKS1_PfEviT6_lT7_lT5_lS6_lS7_lS5_lT8_i,@function
_ZL26rocblas_hemvn_kernel_upperILb0ELi64ELi4ELi33ELi32ELi16ElPKfPKS1_PfEviT6_lT7_lT5_lS6_lS7_lS5_lT8_i: ; @_ZL26rocblas_hemvn_kernel_upperILb0ELi64ELi4ELi33ELi32ELi16ElPKfPKS1_PfEviT6_lT7_lT5_lS6_lS7_lS5_lT8_i
; %bb.0:
	s_load_dwordx2 s[4:5], s[0:1], 0x84
	s_add_u32 s12, s0, 0x78
	s_mov_b32 s26, s3
	s_addc_u32 s13, s1, 0
	s_waitcnt lgkmcnt(0)
	s_and_b32 s3, s5, 0xffff
	s_lshr_b32 s5, s4, 16
	s_and_b32 s4, s4, 0xffff
	s_mul_i32 s4, s5, s4
	s_mul_i32 s4, s4, s3
	s_cmpk_lg_i32 s4, 0x100
	s_cbranch_scc1 .LBB135_130
; %bb.1:
	s_load_dwordx8 s[4:11], s[0:1], 0x8
	s_load_dwordx4 s[16:19], s[0:1], 0x58
	s_waitcnt lgkmcnt(0)
	s_mul_i32 s3, s26, s7
	s_mul_hi_u32 s7, s26, s6
	s_mul_i32 s6, s26, s6
	s_add_i32 s7, s7, s3
	s_lshl_b64 s[6:7], s[6:7], 2
	s_add_u32 s4, s4, s6
	s_addc_u32 s5, s5, s7
	s_mul_i32 s14, s26, s19
	s_load_dword s3, s[4:5], 0x0
	s_mul_hi_u32 s4, s26, s18
	s_add_i32 s5, s4, s14
	s_mul_i32 s4, s26, s18
	s_lshl_b64 s[4:5], s[4:5], 2
	s_add_u32 s4, s16, s4
	s_addc_u32 s5, s17, s5
	s_load_dword s6, s[4:5], 0x0
	s_waitcnt lgkmcnt(0)
	v_cmp_eq_f32_e64 s[4:5], s3, 0
	v_cmp_eq_f32_e64 s[6:7], s6, 1.0
	s_and_b64 s[6:7], s[4:5], s[6:7]
	s_and_b64 vcc, exec, s[6:7]
	s_cbranch_vccnz .LBB135_130
; %bb.2:
	s_load_dwordx2 s[22:23], s[0:1], 0x28
	s_mov_b32 s27, 0
	v_cmp_neq_f32_e64 s[18:19], s3, 0
	s_mov_b64 s[14:15], 0
	s_and_b64 vcc, exec, s[4:5]
	s_mov_b64 s[6:7], 0
	s_cbranch_vccnz .LBB135_4
; %bb.3:
	s_lshl_b64 s[4:5], s[26:27], 3
	s_add_u32 s4, s8, s4
	s_addc_u32 s5, s9, s5
	s_load_dwordx2 s[4:5], s[4:5], 0x0
	s_lshl_b64 s[6:7], s[10:11], 2
	s_waitcnt lgkmcnt(0)
	s_add_u32 s6, s4, s6
	s_addc_u32 s7, s5, s7
.LBB135_4:
	s_load_dwordx4 s[8:11], s[0:1], 0x38
	s_load_dwordx2 s[16:17], s[0:1], 0x48
	v_cndmask_b32_e64 v1, 0, 1, s[18:19]
	v_cmp_ne_u32_e64 s[4:5], 1, v1
	s_andn2_b64 vcc, exec, s[18:19]
	s_cbranch_vccnz .LBB135_6
; %bb.5:
	s_lshl_b64 s[14:15], s[26:27], 3
	s_waitcnt lgkmcnt(0)
	s_add_u32 s8, s8, s14
	s_addc_u32 s9, s9, s15
	s_load_dwordx2 s[8:9], s[8:9], 0x0
	s_lshl_b64 s[10:11], s[10:11], 2
	s_waitcnt lgkmcnt(0)
	s_add_u32 s14, s8, s10
	s_addc_u32 s15, s9, s11
.LBB135_6:
	s_and_b64 vcc, exec, s[4:5]
	s_cbranch_vccnz .LBB135_130
; %bb.7:
	s_load_dword s3, s[12:13], 0x0
	s_load_dwordx2 s[28:29], s[0:1], 0x68
	s_load_dword s33, s[0:1], 0x0
	v_and_b32_e32 v52, 0x3ff, v0
	s_lshl_b32 s24, s2, 6
	v_add_u32_e32 v4, s24, v52
	s_waitcnt lgkmcnt(0)
	s_add_i32 s0, s3, -1
	s_ashr_i32 s38, s33, 31
	s_lshr_b32 s1, s38, 26
	s_add_i32 s1, s33, s1
	s_andn2_b32 s1, s1, 63
	s_sub_i32 s27, s33, s1
	v_ashrrev_i32_e32 v5, 31, v4
	v_bfe_u32 v53, v0, 10, 10
	s_cmp_eq_u32 s2, s0
	v_mul_lo_u32 v2, v5, s16
	v_mul_lo_u32 v3, v4, s17
	v_mad_u64_u32 v[0:1], s[0:1], v4, s16, 0
	v_add3_u32 v1, v1, v3, v2
	s_cselect_b32 s18, s27, 0
	v_lshl_add_u64 v[6:7], v[0:1], 2, s[14:15]
	v_cmp_eq_u32_e64 s[0:1], 0, v53
	s_and_saveexec_b64 s[4:5], s[0:1]
	s_cbranch_execz .LBB135_11
; %bb.8:
	s_cmp_eq_u32 s18, 0
	s_cselect_b64 s[8:9], -1, 0
	v_cmp_gt_i32_e32 vcc, s18, v52
	s_or_b64 s[10:11], s[8:9], vcc
	v_mov_b32_e32 v0, 0
	s_and_saveexec_b64 s[8:9], s[10:11]
	s_cbranch_execz .LBB135_10
; %bb.9:
	flat_load_dword v0, v[6:7]
.LBB135_10:
	s_or_b64 exec, exec, s[8:9]
	v_lshlrev_b32_e32 v1, 2, v52
	s_waitcnt vmcnt(0) lgkmcnt(0)
	ds_write_b32 v1, v0 offset:4544
.LBB135_11:
	s_or_b64 exec, exec, s[4:5]
	s_ashr_i32 s25, s24, 31
	v_lshl_add_u32 v16, v53, 6, v52
	s_lshl_b64 s[4:5], s[24:25], 2
	v_and_b32_e32 v0, 31, v52
	v_lshrrev_b32_e32 v17, 5, v16
	s_add_u32 s6, s6, s4
	v_mov_b32_e32 v1, 0
	s_addc_u32 s7, s7, s5
	v_mad_u64_u32 v[8:9], s[4:5], v17, s22, v[0:1]
	v_mov_b32_e32 v2, v9
	v_mad_u64_u32 v[2:3], s[4:5], v17, s23, v[2:3]
	s_mul_i32 s4, s24, s23
	s_mul_hi_u32 s5, s24, s22
	s_add_i32 s4, s5, s4
	s_mul_i32 s5, s25, s22
	s_add_i32 s5, s4, s5
	s_mul_i32 s4, s24, s22
	s_lshl_b64 s[4:5], s[4:5], 2
	s_add_u32 s4, s4, s6
	s_addc_u32 s5, s5, s7
	s_cmp_eq_u32 s18, 0
	s_cselect_b64 s[20:21], -1, 0
	s_cmp_lg_u32 s18, 0
	v_mov_b32_e32 v9, v2
	s_cselect_b64 s[34:35], -1, 0
	v_lshl_add_u64 v[12:13], v[8:9], 2, s[4:5]
	s_and_b64 vcc, exec, s[34:35]
	v_cmp_gt_i32_e64 s[4:5], s18, v0
	v_lshlrev_b32_e32 v2, 2, v0
	s_mul_i32 s39, s23, 0x60
	s_cbranch_vccz .LBB135_21
; %bb.12:
	v_sub_co_u32_e32 v10, vcc, v12, v2
	s_ashr_i32 s19, s18, 31
	s_nop 0
	v_subbrev_co_u32_e32 v11, vcc, 0, v13, vcc
	v_lshl_add_u64 v[10:11], s[18:19], 2, v[10:11]
	v_lshl_add_u64 v[10:11], v[10:11], 0, -4
	v_cndmask_b32_e64 v11, v11, v13, s[4:5]
	v_cndmask_b32_e64 v10, v10, v12, s[4:5]
	v_cmp_gt_i32_e32 vcc, s18, v17
	s_and_saveexec_b64 s[6:7], vcc
	s_cbranch_execz .LBB135_14
; %bb.13:
	flat_load_dword v1, v[10:11]
.LBB135_14:
	s_or_b64 exec, exec, s[6:7]
	v_mul_u32_u24_e32 v3, 33, v17
	v_add_lshl_u32 v14, v3, v0, 2
	s_waitcnt vmcnt(0) lgkmcnt(0)
	ds_write_b32 v14, v1
	v_add_u32_e32 v1, 8, v17
	v_cmp_gt_i32_e32 vcc, s18, v1
	v_mov_b32_e32 v1, 0
	v_mov_b32_e32 v3, 0
	s_and_saveexec_b64 s[6:7], vcc
	s_cbranch_execz .LBB135_16
; %bb.15:
	s_lshl_b64 s[8:9], s[22:23], 5
	v_lshl_add_u64 v[18:19], v[10:11], 0, s[8:9]
	flat_load_dword v3, v[18:19]
.LBB135_16:
	s_or_b64 exec, exec, s[6:7]
	s_waitcnt vmcnt(0) lgkmcnt(0)
	ds_write_b32 v14, v3 offset:1056
	v_add_u32_e32 v3, 16, v17
	v_cmp_gt_i32_e32 vcc, s18, v3
	s_and_saveexec_b64 s[6:7], vcc
	s_cbranch_execz .LBB135_18
; %bb.17:
	s_lshl_b64 s[8:9], s[22:23], 6
	v_lshl_add_u64 v[18:19], v[10:11], 0, s[8:9]
	flat_load_dword v1, v[18:19]
.LBB135_18:
	s_or_b64 exec, exec, s[6:7]
	s_waitcnt vmcnt(0) lgkmcnt(0)
	ds_write_b32 v14, v1 offset:2112
	v_add_u32_e32 v1, 24, v17
	v_cmp_gt_i32_e32 vcc, s18, v1
	v_mov_b32_e32 v3, 0
	v_mov_b32_e32 v1, 0
	s_and_saveexec_b64 s[6:7], vcc
	s_cbranch_execz .LBB135_20
; %bb.19:
	v_mov_b32_e32 v1, 0x60
	v_mad_u64_u32 v[18:19], s[8:9], s22, v1, v[10:11]
	v_add_u32_e32 v19, s39, v19
	flat_load_dword v1, v[18:19]
.LBB135_20:
	s_or_b64 exec, exec, s[6:7]
	v_lshl_add_u64 v[10:11], v[10:11], 0, v[2:3]
	s_lshl_b64 s[6:7], s[18:19], 2
	s_waitcnt vmcnt(0) lgkmcnt(0)
	ds_write_b32 v14, v1 offset:3168
	v_mov_b32_e32 v1, s7
	v_subrev_co_u32_e32 v10, vcc, s6, v10
	s_nop 1
	v_subb_co_u32_e32 v11, vcc, v11, v1, vcc
	v_lshl_add_u64 v[10:11], v[10:11], 0, 4
	v_cndmask_b32_e64 v11, v11, v13, s[4:5]
	v_cndmask_b32_e64 v10, v10, v12, s[4:5]
	v_mul_u32_u24_e32 v20, 33, v17
	s_branch .LBB135_23
.LBB135_21:
                                        ; implicit-def: $vgpr10_vgpr11
	v_mul_u32_u24_e32 v20, 33, v17
	s_cbranch_execz .LBB135_23
; %bb.22:
	flat_load_dword v1, v[12:13]
	v_add_lshl_u32 v3, v20, v0, 2
	s_lshl_b64 s[4:5], s[22:23], 5
	v_lshl_add_u64 v[10:11], v[12:13], 0, s[4:5]
	s_waitcnt vmcnt(0) lgkmcnt(0)
	ds_write_b32 v3, v1
	flat_load_dword v1, v[10:11]
	v_lshl_add_u64 v[10:11], v[10:11], 0, s[4:5]
	s_waitcnt vmcnt(0) lgkmcnt(0)
	ds_write_b32 v3, v1 offset:1056
	flat_load_dword v1, v[10:11]
	v_mov_b32_e32 v10, 0x60
	v_mad_u64_u32 v[10:11], s[4:5], s22, v10, v[12:13]
	v_add_u32_e32 v11, s39, v11
	s_waitcnt vmcnt(0) lgkmcnt(0)
	ds_write_b32 v3, v1 offset:2112
	flat_load_dword v1, v[10:11]
	v_mov_b64_e32 v[10:11], v[12:13]
	s_waitcnt vmcnt(0) lgkmcnt(0)
	ds_write_b32 v3, v1 offset:3168
.LBB135_23:
	v_lshlrev_b32_e32 v1, 2, v17
	v_mul_u32_u24_e32 v18, 33, v0
	v_cmp_gt_u32_e64 s[4:5], v1, v0
	v_add_lshl_u32 v25, v1, v18, 2
	s_waitcnt lgkmcnt(0)
	s_barrier
	s_and_saveexec_b64 s[6:7], s[4:5]
	s_cbranch_execz .LBB135_25
; %bb.24:
	v_mul_u32_u24_e32 v3, 0x84, v17
	v_add_lshl_u32 v3, v3, v0, 2
	ds_read_b32 v3, v3
	s_waitcnt lgkmcnt(0)
	ds_write_b32 v25, v3
.LBB135_25:
	s_or_b64 exec, exec, s[6:7]
	v_cmp_ge_u32_e64 s[6:7], v1, v0
	s_and_saveexec_b64 s[8:9], s[6:7]
	s_cbranch_execz .LBB135_27
; %bb.26:
	v_or_b32_e32 v3, 1, v1
	v_mul_u32_u24_e32 v3, 33, v3
	v_add_lshl_u32 v3, v3, v0, 2
	ds_read_b32 v3, v3
	s_waitcnt lgkmcnt(0)
	ds_write_b32 v25, v3 offset:4
.LBB135_27:
	s_or_b64 exec, exec, s[8:9]
	v_or_b32_e32 v3, 2, v1
	v_cmp_gt_u32_e64 s[8:9], v3, v0
	s_and_saveexec_b64 s[10:11], s[8:9]
	s_cbranch_execz .LBB135_29
; %bb.28:
	v_mul_u32_u24_e32 v3, 33, v3
	v_add_lshl_u32 v3, v3, v0, 2
	ds_read_b32 v3, v3
	s_waitcnt lgkmcnt(0)
	ds_write_b32 v25, v3 offset:8
.LBB135_29:
	s_or_b64 exec, exec, s[10:11]
	v_or_b32_e32 v3, 3, v1
	v_cmp_gt_u32_e64 s[10:11], v3, v0
	v_mad_u32_u24 v3, v3, 33, v0
	v_lshlrev_b32_e32 v22, 2, v3
	s_and_saveexec_b64 s[12:13], s[10:11]
	s_cbranch_execz .LBB135_31
; %bb.30:
	ds_read_b32 v3, v22
	s_waitcnt lgkmcnt(0)
	ds_write_b32 v25, v3 offset:12
.LBB135_31:
	s_or_b64 exec, exec, s[12:13]
	v_mul_u32_u24_e32 v3, 0x84, v17
	v_add_u32_e32 v24, 0xfffffef8, v22
	s_waitcnt lgkmcnt(0)
	s_barrier
	v_add_lshl_u32 v23, v3, v0, 2
	v_lshlrev_b32_e32 v26, 2, v1
	ds_read2_b32 v[28:29], v24 offset1:33
	ds_read_b32 v30, v23
	ds_read_b128 v[12:15], v26 offset:4544
	ds_read_b32 v33, v22
	v_add_lshl_u32 v21, v17, v18, 2
	s_waitcnt lgkmcnt(3)
	v_mov_b32_e32 v31, v28
	v_mov_b32_e32 v32, v29
	s_waitcnt lgkmcnt(1)
	v_pk_mul_f32 v[12:13], v[30:31], v[12:13]
	v_cmp_gt_u32_e64 s[12:13], 32, v16
	v_add_f32_e32 v3, 0, v12
	v_add_f32_e32 v3, v3, v13
	s_waitcnt lgkmcnt(0)
	v_pk_mul_f32 v[12:13], v[32:33], v[14:15]
	v_mov_b32_e32 v54, 0
	v_add_f32_e32 v3, v3, v12
	v_add_f32_e32 v3, v3, v13
	v_lshlrev_b32_e32 v19, 2, v18
	s_barrier
	ds_write_b32 v21, v3
	s_waitcnt lgkmcnt(0)
	s_barrier
	s_and_saveexec_b64 s[14:15], s[12:13]
	s_cbranch_execz .LBB135_33
; %bb.32:
	ds_read2_b32 v[12:13], v19 offset1:1
	ds_read2_b32 v[14:15], v19 offset0:2 offset1:3
	ds_read2_b32 v[28:29], v19 offset0:4 offset1:5
	;; [unrolled: 1-line block ×3, first 2 shown]
	s_waitcnt lgkmcnt(3)
	v_add_f32_e32 v3, v12, v13
	s_waitcnt lgkmcnt(2)
	v_add_f32_e32 v3, v3, v14
	v_add_f32_e32 v3, v3, v15
	s_waitcnt lgkmcnt(1)
	v_add_f32_e32 v3, v3, v28
	;; [unrolled: 3-line block ×3, first 2 shown]
	v_add_f32_e32 v54, v3, v31
.LBB135_33:
	s_or_b64 exec, exec, s[14:15]
	s_lshl_b64 s[14:15], s[22:23], 7
	v_lshl_add_u64 v[12:13], v[10:11], 0, s[14:15]
	s_mov_b64 s[14:15], 0x80
	s_lshl_b64 s[30:31], s[22:23], 5
	v_lshl_add_u64 v[10:11], v[12:13], 0, s[14:15]
	s_and_b64 vcc, exec, s[34:35]
	s_barrier
	s_cbranch_vccz .LBB135_43
; %bb.34:
	v_or_b32_e32 v3, 32, v0
	v_lshlrev_b32_e32 v14, 2, v3
	v_sub_co_u32_e32 v14, vcc, v10, v14
	s_ashr_i32 s19, s18, 31
	s_nop 0
	v_subbrev_co_u32_e32 v15, vcc, 0, v11, vcc
	v_lshl_add_u64 v[14:15], s[18:19], 2, v[14:15]
	v_lshl_add_u64 v[14:15], v[14:15], 0, -4
	v_cmp_gt_i32_e32 vcc, s18, v3
	s_sub_i32 s40, s18, 32
	v_mov_b32_e32 v27, 0
	v_cndmask_b32_e32 v15, v15, v11, vcc
	v_cndmask_b32_e32 v14, v14, v10, vcc
	v_cmp_gt_i32_e64 s[14:15], s40, v17
	v_mov_b32_e32 v28, 0
	s_and_saveexec_b64 s[36:37], s[14:15]
	s_cbranch_execz .LBB135_36
; %bb.35:
	flat_load_dword v28, v[14:15]
.LBB135_36:
	s_or_b64 exec, exec, s[36:37]
	v_add_lshl_u32 v3, v20, v0, 2
	s_waitcnt vmcnt(0) lgkmcnt(0)
	ds_write_b32 v3, v28
	v_add_u32_e32 v28, 8, v17
	v_cmp_gt_i32_e64 s[14:15], s40, v28
	s_and_saveexec_b64 s[36:37], s[14:15]
	s_cbranch_execz .LBB135_38
; %bb.37:
	v_lshl_add_u64 v[28:29], v[14:15], 0, s[30:31]
	flat_load_dword v27, v[28:29]
.LBB135_38:
	s_or_b64 exec, exec, s[36:37]
	s_waitcnt vmcnt(0) lgkmcnt(0)
	ds_write_b32 v3, v27 offset:1056
	v_add_u32_e32 v27, 16, v17
	v_cmp_gt_i32_e64 s[14:15], s40, v27
	v_mov_b32_e32 v27, 0
	v_mov_b32_e32 v28, 0
	s_and_saveexec_b64 s[36:37], s[14:15]
	s_cbranch_execz .LBB135_40
; %bb.39:
	s_lshl_b64 s[14:15], s[22:23], 6
	v_lshl_add_u64 v[28:29], v[14:15], 0, s[14:15]
	flat_load_dword v28, v[28:29]
.LBB135_40:
	s_or_b64 exec, exec, s[36:37]
	s_waitcnt vmcnt(0) lgkmcnt(0)
	ds_write_b32 v3, v28 offset:2112
	v_add_u32_e32 v28, 24, v17
	v_cmp_gt_i32_e64 s[14:15], s40, v28
	s_and_saveexec_b64 s[36:37], s[14:15]
	s_cbranch_execz .LBB135_42
; %bb.41:
	v_mov_b32_e32 v27, 0x60
	v_mad_u64_u32 v[28:29], s[14:15], s22, v27, v[14:15]
	v_add_u32_e32 v29, s39, v29
	flat_load_dword v27, v[28:29]
.LBB135_42:
	s_or_b64 exec, exec, s[36:37]
	s_waitcnt vmcnt(0) lgkmcnt(0)
	ds_write_b32 v3, v27 offset:3168
	v_mov_b32_e32 v3, 0
	v_lshl_add_u64 v[14:15], v[14:15], 0, v[2:3]
	s_lshl_b64 s[14:15], s[18:19], 2
	v_mov_b32_e32 v3, s15
	v_subrev_co_u32_e64 v14, s[14:15], s14, v14
	s_nop 1
	v_subb_co_u32_e64 v15, s[14:15], v15, v3, s[14:15]
	s_mov_b64 s[14:15], 0x84
	s_nop 0
	v_lshl_add_u64 v[14:15], v[14:15], 0, s[14:15]
	v_cndmask_b32_e32 v15, v15, v11, vcc
	v_cndmask_b32_e32 v14, v14, v10, vcc
	s_branch .LBB135_45
.LBB135_43:
                                        ; implicit-def: $vgpr14_vgpr15
	s_cbranch_execz .LBB135_45
; %bb.44:
	flat_load_dword v3, v[12:13] offset:128
	v_add_lshl_u32 v27, v20, v0, 2
	v_lshl_add_u64 v[14:15], v[12:13], 0, s[30:31]
	s_waitcnt vmcnt(0) lgkmcnt(0)
	ds_write_b32 v27, v3
	flat_load_dword v3, v[14:15] offset:128
	v_lshl_add_u64 v[14:15], v[14:15], 0, s[30:31]
	s_waitcnt vmcnt(0) lgkmcnt(0)
	ds_write_b32 v27, v3 offset:1056
	flat_load_dword v3, v[14:15] offset:128
	v_mov_b32_e32 v14, 0x60
	v_mad_u64_u32 v[12:13], s[14:15], s22, v14, v[12:13]
	v_add_u32_e32 v13, s39, v13
	v_mov_b64_e32 v[14:15], v[10:11]
	s_waitcnt vmcnt(0) lgkmcnt(0)
	ds_write_b32 v27, v3 offset:2112
	flat_load_dword v3, v[12:13] offset:128
	s_waitcnt vmcnt(0) lgkmcnt(0)
	ds_write_b32 v27, v3 offset:3168
.LBB135_45:
	s_waitcnt lgkmcnt(0)
	s_barrier
	s_and_saveexec_b64 s[14:15], s[4:5]
	s_cbranch_execnz .LBB135_62
; %bb.46:
	s_or_b64 exec, exec, s[14:15]
	s_and_saveexec_b64 s[4:5], s[6:7]
	s_cbranch_execnz .LBB135_63
.LBB135_47:
	s_or_b64 exec, exec, s[4:5]
	s_and_saveexec_b64 s[4:5], s[8:9]
	s_cbranch_execnz .LBB135_64
.LBB135_48:
	s_or_b64 exec, exec, s[4:5]
	v_add_u32_e32 v26, 0x11c0, v26
	s_and_saveexec_b64 s[4:5], s[10:11]
	s_cbranch_execz .LBB135_50
.LBB135_49:
	ds_read_b32 v3, v22
	s_waitcnt lgkmcnt(0)
	ds_write_b32 v25, v3 offset:12
.LBB135_50:
	s_or_b64 exec, exec, s[4:5]
	s_waitcnt lgkmcnt(0)
	s_barrier
	ds_read_b32 v3, v23
	ds_read_b128 v[10:13], v26 offset:128
	ds_read2_b32 v[28:29], v24 offset1:33
	ds_read_b32 v25, v22
	v_cmp_eq_u32_e64 s[4:5], 1, v17
	s_waitcnt lgkmcnt(0)
	v_fma_f32 v3, v3, v10, 0
	v_fmac_f32_e32 v3, v28, v11
	v_fmac_f32_e32 v3, v29, v12
	;; [unrolled: 1-line block ×3, first 2 shown]
	s_barrier
	ds_write_b32 v21, v3
	s_waitcnt lgkmcnt(0)
	s_barrier
	s_and_saveexec_b64 s[6:7], s[4:5]
	s_cbranch_execz .LBB135_52
; %bb.51:
	ds_read2_b32 v[10:11], v19 offset1:1
	ds_read2_b32 v[12:13], v19 offset0:2 offset1:3
	ds_read2_b32 v[28:29], v19 offset0:4 offset1:5
	;; [unrolled: 1-line block ×3, first 2 shown]
	s_waitcnt lgkmcnt(3)
	v_add_f32_e32 v3, v10, v11
	s_waitcnt lgkmcnt(2)
	v_add_f32_e32 v3, v3, v12
	v_add_f32_e32 v3, v3, v13
	s_waitcnt lgkmcnt(1)
	v_add_f32_e32 v3, v3, v28
	;; [unrolled: 3-line block ×3, first 2 shown]
	v_add_f32_e32 v54, v3, v31
.LBB135_52:
	s_or_b64 exec, exec, s[6:7]
	s_movk_i32 s6, 0xff80
	s_mov_b32 s7, -1
	v_lshl_add_u64 v[10:11], v[14:15], 0, s[6:7]
	s_and_b64 vcc, exec, s[34:35]
	s_barrier
	s_cbranch_vccz .LBB135_65
; %bb.53:
	v_sub_co_u32_e32 v12, vcc, v10, v2
	s_ashr_i32 s19, s18, 31
	s_nop 0
	v_subbrev_co_u32_e32 v13, vcc, 0, v11, vcc
	v_lshl_add_u64 v[12:13], s[18:19], 2, v[12:13]
	v_lshl_add_u64 v[12:13], v[12:13], 0, -4
	v_cmp_gt_i32_e32 vcc, s18, v0
	s_sub_i32 s10, s18, 32
	v_mov_b32_e32 v15, 0
	v_cndmask_b32_e32 v13, v13, v11, vcc
	v_cndmask_b32_e32 v12, v12, v10, vcc
	v_cmp_gt_i32_e64 s[6:7], s10, v17
	v_mov_b32_e32 v14, 0
	s_and_saveexec_b64 s[8:9], s[6:7]
	s_cbranch_execz .LBB135_55
; %bb.54:
	flat_load_dword v14, v[12:13]
.LBB135_55:
	s_or_b64 exec, exec, s[8:9]
	v_add_lshl_u32 v3, v20, v0, 2
	s_waitcnt vmcnt(0) lgkmcnt(0)
	ds_write_b32 v3, v14
	v_add_u32_e32 v14, 8, v17
	v_cmp_gt_i32_e64 s[6:7], s10, v14
	s_and_saveexec_b64 s[8:9], s[6:7]
	s_cbranch_execz .LBB135_57
; %bb.56:
	v_lshl_add_u64 v[28:29], v[12:13], 0, s[30:31]
	flat_load_dword v15, v[28:29]
.LBB135_57:
	s_or_b64 exec, exec, s[8:9]
	s_waitcnt vmcnt(0) lgkmcnt(0)
	ds_write_b32 v3, v15 offset:1056
	v_add_u32_e32 v15, 16, v17
	v_cmp_gt_i32_e64 s[6:7], s10, v15
	v_mov_b32_e32 v27, 0
	v_mov_b32_e32 v25, 0
	s_and_saveexec_b64 s[8:9], s[6:7]
	s_cbranch_execz .LBB135_59
; %bb.58:
	s_lshl_b64 s[6:7], s[22:23], 6
	v_lshl_add_u64 v[28:29], v[12:13], 0, s[6:7]
	flat_load_dword v25, v[28:29]
.LBB135_59:
	s_or_b64 exec, exec, s[8:9]
	s_waitcnt vmcnt(0) lgkmcnt(0)
	ds_write_b32 v3, v25 offset:2112
	v_add_u32_e32 v25, 24, v17
	v_cmp_gt_i32_e64 s[6:7], s10, v25
	s_and_saveexec_b64 s[8:9], s[6:7]
	s_cbranch_execz .LBB135_61
; %bb.60:
	v_mov_b32_e32 v27, 0x60
	v_mad_u64_u32 v[28:29], s[6:7], s22, v27, v[12:13]
	v_add_u32_e32 v29, s39, v29
	flat_load_dword v27, v[28:29]
.LBB135_61:
	s_or_b64 exec, exec, s[8:9]
	s_waitcnt vmcnt(0) lgkmcnt(0)
	ds_write_b32 v3, v27 offset:3168
	v_mov_b32_e32 v3, 0
	v_lshl_add_u64 v[2:3], v[12:13], 0, v[2:3]
	s_lshl_b64 s[6:7], s[18:19], 2
	v_mov_b32_e32 v12, s7
	v_subrev_co_u32_e64 v2, s[6:7], s6, v2
	s_nop 1
	v_subb_co_u32_e64 v3, s[6:7], v3, v12, s[6:7]
	v_lshl_add_u64 v[2:3], v[2:3], 0, 4
	v_cndmask_b32_e32 v37, v3, v11, vcc
	v_cndmask_b32_e32 v36, v2, v10, vcc
	s_branch .LBB135_67
.LBB135_62:
	ds_read_b32 v3, v23
	s_waitcnt lgkmcnt(0)
	ds_write_b32 v25, v3
	s_or_b64 exec, exec, s[14:15]
	s_and_saveexec_b64 s[4:5], s[6:7]
	s_cbranch_execz .LBB135_47
.LBB135_63:
	ds_read_b32 v3, v24
	s_waitcnt lgkmcnt(0)
	ds_write_b32 v25, v3 offset:4
	s_or_b64 exec, exec, s[4:5]
	s_and_saveexec_b64 s[4:5], s[8:9]
	s_cbranch_execz .LBB135_48
.LBB135_64:
	ds_read_b32 v3, v24 offset:132
	s_waitcnt lgkmcnt(0)
	ds_write_b32 v25, v3 offset:8
	s_or_b64 exec, exec, s[4:5]
	v_add_u32_e32 v26, 0x11c0, v26
	s_and_saveexec_b64 s[4:5], s[10:11]
	s_cbranch_execnz .LBB135_49
	s_branch .LBB135_50
.LBB135_65:
                                        ; implicit-def: $vgpr36_vgpr37
                                        ; implicit-def: $vgpr14
                                        ; implicit-def: $vgpr15
                                        ; implicit-def: $vgpr25
	s_cbranch_execz .LBB135_67
; %bb.66:
	flat_load_dword v12, v[10:11]
	v_add_lshl_u32 v0, v20, v0, 2
	v_lshl_add_u64 v[2:3], v[10:11], 0, s[30:31]
	v_add_u32_e32 v14, 8, v17
	v_add_u32_e32 v15, 16, v17
	;; [unrolled: 1-line block ×3, first 2 shown]
	v_mov_b64_e32 v[36:37], v[10:11]
	s_waitcnt vmcnt(0) lgkmcnt(0)
	ds_write_b32 v0, v12
	flat_load_dword v12, v[2:3]
	v_lshl_add_u64 v[2:3], v[2:3], 0, s[30:31]
	s_waitcnt vmcnt(0) lgkmcnt(0)
	ds_write_b32 v0, v12 offset:1056
	flat_load_dword v12, v[2:3]
	v_mov_b32_e32 v2, 0x60
	v_mad_u64_u32 v[2:3], s[6:7], s22, v2, v[10:11]
	v_add_u32_e32 v3, s39, v3
	s_waitcnt vmcnt(0) lgkmcnt(0)
	ds_write_b32 v0, v12 offset:2112
	flat_load_dword v2, v[2:3]
	s_waitcnt vmcnt(0) lgkmcnt(0)
	ds_write_b32 v0, v2 offset:3168
.LBB135_67:
	v_add_lshl_u32 v13, v14, v18, 2
	v_lshlrev_b32_e32 v14, 2, v14
	v_add_lshl_u32 v17, v15, v18, 2
	v_lshlrev_b32_e32 v15, 2, v15
	;; [unrolled: 2-line block ×3, first 2 shown]
	s_waitcnt lgkmcnt(0)
	s_barrier
	ds_read_b32 v25, v1 offset:4544
	ds_read_b32 v12, v23
	ds_read_b32 v23, v21
	ds_read_b128 v[0:3], v26 offset:128
	ds_read2_b32 v[10:11], v24 offset1:33
	ds_read_b32 v24, v13
	ds_read_b32 v14, v14 offset:4544
	ds_read_b32 v17, v17
	ds_read_b32 v15, v15 offset:4544
	;; [unrolled: 2-line block ×3, first 2 shown]
	ds_read_b32 v13, v22
	s_waitcnt lgkmcnt(9)
	v_fma_f32 v22, v23, v25, 0
	s_waitcnt lgkmcnt(5)
	v_fmac_f32_e32 v22, v24, v14
	s_waitcnt lgkmcnt(3)
	v_fmac_f32_e32 v22, v17, v15
	;; [unrolled: 2-line block ×3, first 2 shown]
	s_waitcnt lgkmcnt(0)
	s_barrier
	ds_write_b32 v21, v22
	s_waitcnt lgkmcnt(0)
	s_barrier
	s_and_saveexec_b64 s[6:7], s[4:5]
	s_cbranch_execz .LBB135_69
; %bb.68:
	ds_read2_b32 v[14:15], v19 offset1:1
	ds_read2_b32 v[22:23], v19 offset0:2 offset1:3
	ds_read2_b32 v[24:25], v19 offset0:4 offset1:5
	;; [unrolled: 1-line block ×3, first 2 shown]
	s_waitcnt lgkmcnt(3)
	v_add_f32_e32 v14, v54, v14
	v_add_f32_e32 v14, v14, v15
	s_waitcnt lgkmcnt(2)
	v_add_f32_e32 v14, v14, v22
	v_add_f32_e32 v14, v14, v23
	;; [unrolled: 3-line block ×4, first 2 shown]
.LBB135_69:
	s_or_b64 exec, exec, s[6:7]
	v_fma_f32 v0, v12, v0, 0
	v_fmac_f32_e32 v0, v10, v1
	v_fmac_f32_e32 v0, v11, v2
	v_fmac_f32_e32 v0, v13, v3
	s_barrier
	ds_write_b32 v21, v0
	s_waitcnt lgkmcnt(0)
	s_barrier
	s_and_saveexec_b64 s[4:5], s[12:13]
	s_cbranch_execz .LBB135_71
; %bb.70:
	ds_read2_b32 v[0:1], v19 offset1:1
	ds_read2_b32 v[2:3], v19 offset0:2 offset1:3
	ds_read2_b32 v[10:11], v19 offset0:4 offset1:5
	;; [unrolled: 1-line block ×3, first 2 shown]
	s_waitcnt lgkmcnt(3)
	v_add_f32_e32 v0, v54, v0
	v_add_f32_e32 v0, v0, v1
	s_waitcnt lgkmcnt(2)
	v_add_f32_e32 v0, v0, v2
	v_add_f32_e32 v0, v0, v3
	;; [unrolled: 3-line block ×4, first 2 shown]
.LBB135_71:
	s_or_b64 exec, exec, s[4:5]
	s_mul_hi_u32 s4, s33, s26
	s_mul_i32 s38, s38, s26
	s_add_i32 s4, s4, s38
	s_mul_i32 s6, s33, s26
	s_mul_i32 s4, s4, s3
	s_mul_hi_u32 s5, s6, s3
	s_add_i32 s5, s5, s4
	s_mul_i32 s4, s6, s3
	s_lshl_b64 s[4:5], s[4:5], 2
	s_add_u32 s6, s28, s4
	s_addc_u32 s7, s29, s5
	s_mul_hi_i32 s5, s33, s2
	s_mul_i32 s4, s33, s2
	s_lshl_b64 s[4:5], s[4:5], 2
	s_add_u32 s8, s6, s4
	s_addc_u32 s9, s7, s5
	s_add_i32 s4, s2, 1
	s_cmp_ge_u32 s4, s3
	v_lshlrev_b32_e32 v0, 2, v52
	s_barrier
	s_cbranch_scc1 .LBB135_128
; %bb.72:
	s_mul_i32 s4, s24, s17
	s_mul_hi_u32 s5, s24, s16
	s_add_i32 s4, s5, s4
	s_mul_i32 s5, s25, s16
	s_add_i32 s5, s4, s5
	s_mul_i32 s4, s24, s16
	v_lshlrev_b32_e32 v55, 2, v53
	s_lshl_b64 s[4:5], s[4:5], 2
	v_mov_b32_e32 v1, s5
	v_subrev_co_u32_e32 v2, vcc, s4, v6
	v_mad_u64_u32 v[10:11], s[4:5], v55, s22, 0
	v_mov_b32_e32 v12, v11
	v_mad_u64_u32 v[12:13], s[4:5], v55, s23, v[12:13]
	v_and_b32_e32 v46, 48, v52
	v_subb_co_u32_e32 v3, vcc, v7, v1, vcc
	v_and_b32_e32 v44, 15, v52
	v_lshlrev_b32_e32 v1, 2, v46
	s_movk_i32 s4, 0x10c
	v_lshl_add_u64 v[6:7], s[30:31], 2, v[36:37]
	v_lshlrev_b64 v[8:9], 2, v[8:9]
	v_mad_u32_u24 v58, v44, s4, v1
	v_or_b32_e32 v1, 60, v0
	v_sub_co_u32_e32 v6, vcc, v6, v8
	v_mad_u32_u24 v59, v44, s4, v1
	v_and_b32_e32 v1, 0x1fff0, v16
	v_lshlrev_b32_e32 v42, 4, v53
	v_subb_co_u32_e32 v7, vcc, v7, v9, vcc
	v_mov_b32_e32 v11, v12
	v_mad_u32_u24 v60, v44, s4, v1
	s_movk_i32 s4, 0x430
	v_add_u32_e32 v1, 0x8c, v42
	v_lshl_add_u64 v[6:7], v[10:11], 2, v[6:7]
	v_mad_u32_u24 v65, v53, s4, v0
	v_mad_u64_u32 v[10:11], s[4:5], s22, v1, 0
	v_mov_b32_e32 v12, v11
	v_mad_u64_u32 v[12:13], s[4:5], s23, v1, v[12:13]
	v_mov_b32_e32 v1, v12
	v_sub_co_u32_e32 v10, vcc, v10, v8
	v_lshrrev_b32_e32 v45, 4, v16
	s_nop 0
	v_subb_co_u32_e32 v11, vcc, v1, v9, vcc
	v_add_u32_e32 v1, 0x88, v42
	v_mad_u64_u32 v[12:13], s[4:5], s22, v1, 0
	v_mov_b32_e32 v14, v13
	v_mad_u64_u32 v[14:15], s[4:5], s23, v1, v[14:15]
	v_mov_b32_e32 v1, v14
	v_sub_co_u32_e32 v12, vcc, v12, v8
	v_cmp_gt_u32_e64 s[6:7], 64, v16
	s_nop 0
	v_subb_co_u32_e32 v13, vcc, v1, v9, vcc
	v_add_u32_e32 v1, 0x84, v42
	v_mad_u64_u32 v[14:15], s[4:5], s22, v1, 0
	v_mov_b32_e32 v16, v15
	v_mad_u64_u32 v[16:17], s[4:5], s23, v1, v[16:17]
	v_mov_b32_e32 v1, v16
	v_sub_co_u32_e32 v14, vcc, v14, v8
	v_add_u32_e32 v64, 0x10c0, v42
	s_nop 0
	v_subb_co_u32_e32 v15, vcc, v1, v9, vcc
	v_add_u32_e32 v1, 0xcc, v42
	v_mad_u64_u32 v[16:17], s[4:5], s22, v1, 0
	v_mov_b32_e32 v18, v17
	v_mad_u64_u32 v[18:19], s[4:5], s23, v1, v[18:19]
	v_mov_b32_e32 v1, v18
	v_sub_co_u32_e32 v16, vcc, v16, v8
	s_add_i32 s19, s3, -2
	s_nop 0
	v_subb_co_u32_e32 v17, vcc, v1, v9, vcc
	v_add_u32_e32 v1, 0xc8, v42
	v_mad_u64_u32 v[18:19], s[4:5], s22, v1, 0
	v_mov_b32_e32 v20, v19
	v_mad_u64_u32 v[20:21], s[4:5], s23, v1, v[20:21]
	v_mov_b32_e32 v1, v20
	v_sub_co_u32_e32 v18, vcc, v18, v8
	v_add_u32_e32 v56, 0x10c0, v0
	s_nop 0
	v_subb_co_u32_e32 v19, vcc, v1, v9, vcc
	v_add_u32_e32 v1, 0xc4, v42
	v_mad_u64_u32 v[20:21], s[4:5], s22, v1, 0
	v_mov_b32_e32 v22, v21
	v_mad_u64_u32 v[22:23], s[4:5], s23, v1, v[22:23]
	v_mov_b32_e32 v1, v22
	v_sub_co_u32_e32 v20, vcc, v20, v8
	v_add_u32_e32 v57, 0x11c0, v0
	s_nop 0
	v_subb_co_u32_e32 v21, vcc, v1, v9, vcc
	v_add_u32_e32 v1, 0xc0, v42
	v_mad_u64_u32 v[22:23], s[4:5], s22, v1, 0
	v_mov_b32_e32 v24, v23
	v_mad_u64_u32 v[24:25], s[4:5], s23, v1, v[24:25]
	v_mov_b32_e32 v1, v24
	v_sub_co_u32_e32 v22, vcc, v22, v8
	v_or_b32_e32 v61, 1, v55
	s_nop 0
	v_subb_co_u32_e32 v23, vcc, v1, v9, vcc
	v_add_u32_e32 v1, 0x10c, v42
	v_mad_u64_u32 v[24:25], s[4:5], s22, v1, 0
	v_mov_b32_e32 v26, v25
	v_mad_u64_u32 v[26:27], s[4:5], s23, v1, v[26:27]
	v_mov_b32_e32 v1, v26
	v_sub_co_u32_e32 v24, vcc, v24, v8
	v_or_b32_e32 v62, 2, v55
	;; [unrolled: 9-line block ×3, first 2 shown]
	s_nop 0
	v_subb_co_u32_e32 v27, vcc, v1, v9, vcc
	v_add_u32_e32 v1, 0x104, v42
	v_mad_u64_u32 v[28:29], s[4:5], s22, v1, 0
	v_mov_b32_e32 v30, v29
	v_mad_u64_u32 v[30:31], s[4:5], s23, v1, v[30:31]
	v_mov_b32_e32 v1, v30
	v_sub_co_u32_e32 v28, vcc, v28, v8
	v_add_u32_e32 v66, 16, v55
	s_nop 0
	v_subb_co_u32_e32 v29, vcc, v1, v9, vcc
	v_add_u32_e32 v1, 0x100, v42
	v_mad_u64_u32 v[30:31], s[4:5], s22, v1, 0
	v_mov_b32_e32 v32, v31
	v_mad_u64_u32 v[32:33], s[4:5], s23, v1, v[32:33]
	v_mov_b32_e32 v1, v32
	v_sub_co_u32_e32 v30, vcc, v30, v8
	v_add_u32_e32 v67, 17, v55
	;; [unrolled: 9-line block ×6, first 2 shown]
	s_nop 0
	v_subb_co_u32_e32 v41, vcc, v1, v9, vcc
	v_lshl_add_u64 v[8:9], v[36:37], 0, v[10:11]
	v_lshl_add_u64 v[10:11], v[36:37], 0, v[12:13]
	;; [unrolled: 1-line block ×14, first 2 shown]
	v_mul_i32_i24_e32 v38, -12, v45
	v_lshl_add_u64 v[36:37], v[36:37], 0, v[40:41]
	v_add_u32_e32 v72, 34, v55
	v_add_u32_e32 v73, 35, v55
	v_or_b32_e32 v74, v46, v44
	v_add_u32_e32 v75, 48, v55
	s_add_i32 s24, s24, 64
	v_mov_b32_e32 v1, 0
	s_lshl_b64 s[10:11], s[22:23], 8
	v_add_u32_e32 v76, v60, v38
	v_add_u32_e32 v77, 49, v55
	;; [unrolled: 1-line block ×4, first 2 shown]
	s_cmp_eq_u32 s19, s2
	s_cselect_b32 s22, s27, 0
	s_and_saveexec_b64 s[4:5], s[0:1]
	s_cbranch_execz .LBB135_76
.LBB135_73:
	s_cmp_eq_u32 s22, 0
	s_cselect_b64 s[12:13], -1, 0
	v_cmp_gt_i32_e32 vcc, s22, v52
	s_or_b64 s[14:15], s[12:13], vcc
	v_mov_b32_e32 v38, 0
	s_and_saveexec_b64 s[12:13], s[14:15]
	s_cbranch_execz .LBB135_75
; %bb.74:
	s_ashr_i32 s14, s24, 31
	s_mul_i32 s15, s24, s17
	s_mul_hi_u32 s23, s24, s16
	s_add_i32 s15, s23, s15
	s_mul_i32 s14, s14, s16
	s_add_i32 s15, s15, s14
	s_mul_i32 s14, s24, s16
	v_lshl_add_u64 v[38:39], s[14:15], 2, v[2:3]
	flat_load_dword v38, v[38:39]
.LBB135_75:
	s_or_b64 exec, exec, s[12:13]
	s_waitcnt vmcnt(0) lgkmcnt(0)
	ds_write_b32 v56, v38
.LBB135_76:                             ; =>This Inner Loop Header: Depth=1
	s_or_b64 exec, exec, s[4:5]
	s_cmp_eq_u32 s22, 0
	s_cselect_b64 s[12:13], -1, 0
	s_cmp_lg_u32 s22, 0
	s_cselect_b64 s[14:15], -1, 0
	v_lshl_add_u64 v[38:39], v[6:7], 0, v[0:1]
	s_and_b64 vcc, exec, s[14:15]
	s_waitcnt lgkmcnt(0)
	s_barrier
	s_cbranch_vccz .LBB135_124
; %bb.77:                               ;   in Loop: Header=BB135_76 Depth=1
	v_cmp_gt_i32_e32 vcc, s22, v55
	v_mov_b32_e32 v80, 0
	v_mov_b32_e32 v81, 0
	s_and_saveexec_b64 s[4:5], vcc
	s_cbranch_execz .LBB135_79
; %bb.78:                               ;   in Loop: Header=BB135_76 Depth=1
	flat_load_dword v81, v[38:39]
.LBB135_79:                             ;   in Loop: Header=BB135_76 Depth=1
	s_or_b64 exec, exec, s[4:5]
	v_cmp_gt_i32_e32 vcc, s22, v61
	s_and_saveexec_b64 s[4:5], vcc
	s_cbranch_execz .LBB135_81
; %bb.80:                               ;   in Loop: Header=BB135_76 Depth=1
	v_lshl_add_u64 v[40:41], v[12:13], 0, v[0:1]
	flat_load_dword v80, v[40:41]
.LBB135_81:                             ;   in Loop: Header=BB135_76 Depth=1
	s_or_b64 exec, exec, s[4:5]
	v_cmp_gt_i32_e32 vcc, s22, v62
	v_mov_b32_e32 v82, 0
	v_mov_b32_e32 v83, 0
	s_and_saveexec_b64 s[4:5], vcc
	s_cbranch_execz .LBB135_83
; %bb.82:                               ;   in Loop: Header=BB135_76 Depth=1
	v_lshl_add_u64 v[40:41], v[10:11], 0, v[0:1]
	flat_load_dword v83, v[40:41]
.LBB135_83:                             ;   in Loop: Header=BB135_76 Depth=1
	s_or_b64 exec, exec, s[4:5]
	v_cmp_gt_i32_e32 vcc, s22, v63
	s_and_saveexec_b64 s[4:5], vcc
	s_cbranch_execz .LBB135_85
; %bb.84:                               ;   in Loop: Header=BB135_76 Depth=1
	v_lshl_add_u64 v[40:41], v[8:9], 0, v[0:1]
	flat_load_dword v82, v[40:41]
.LBB135_85:                             ;   in Loop: Header=BB135_76 Depth=1
	s_or_b64 exec, exec, s[4:5]
	s_branch .LBB135_87
.LBB135_86:                             ;   in Loop: Header=BB135_76 Depth=1
	s_waitcnt vmcnt(0) lgkmcnt(0)
	flat_load_dword v81, v[38:39]
	v_lshl_add_u64 v[38:39], v[12:13], 0, v[0:1]
	flat_load_dword v80, v[38:39]
	v_lshl_add_u64 v[38:39], v[10:11], 0, v[0:1]
	;; [unrolled: 2-line block ×3, first 2 shown]
	flat_load_dword v82, v[38:39]
.LBB135_87:                             ;   in Loop: Header=BB135_76 Depth=1
	ds_read_b32 v38, v57
	ds_read_b32 v84, v64
	v_cndmask_b32_e64 v42, 0, 1, s[14:15]
	v_cmp_ne_u32_e64 s[4:5], 1, v42
	s_andn2_b64 vcc, exec, s[14:15]
	s_waitcnt vmcnt(0) lgkmcnt(0)
	v_mul_f32_e32 v39, v81, v38
	v_mul_f32_e32 v40, v80, v38
	ds_write_b32 v65, v39
	v_mul_f32_e32 v41, v83, v38
	ds_read_b32 v85, v64 offset:4
	ds_write_b32 v65, v40 offset:268
	ds_read_b32 v86, v64 offset:8
	ds_write_b32 v65, v41 offset:536
	v_mul_f32_e32 v38, v82, v38
	ds_read_b32 v87, v64 offset:12
	ds_write_b32 v65, v38 offset:804
	s_waitcnt lgkmcnt(0)
	s_barrier
	ds_read2_b32 v[40:41], v60 offset1:1
	ds_read2_b32 v[38:39], v60 offset0:2 offset1:3
	v_lshl_add_u64 v[42:43], v[20:21], 0, v[0:1]
	s_waitcnt lgkmcnt(0)
	s_barrier
	s_cbranch_vccnz .LBB135_125
; %bb.88:                               ;   in Loop: Header=BB135_76 Depth=1
	v_cmp_gt_i32_e32 vcc, s22, v66
	v_mov_b32_e32 v88, 0
	v_mov_b32_e32 v89, 0
	s_and_saveexec_b64 s[14:15], vcc
	s_cbranch_execz .LBB135_90
; %bb.89:                               ;   in Loop: Header=BB135_76 Depth=1
	flat_load_dword v89, v[42:43]
.LBB135_90:                             ;   in Loop: Header=BB135_76 Depth=1
	s_or_b64 exec, exec, s[14:15]
	v_cmp_gt_i32_e32 vcc, s22, v67
	s_and_saveexec_b64 s[14:15], vcc
	s_cbranch_execz .LBB135_92
; %bb.91:                               ;   in Loop: Header=BB135_76 Depth=1
	v_lshl_add_u64 v[44:45], v[18:19], 0, v[0:1]
	flat_load_dword v88, v[44:45]
.LBB135_92:                             ;   in Loop: Header=BB135_76 Depth=1
	s_or_b64 exec, exec, s[14:15]
	v_cmp_gt_i32_e32 vcc, s22, v68
	v_mov_b32_e32 v90, 0
	v_mov_b32_e32 v91, 0
	s_and_saveexec_b64 s[14:15], vcc
	s_cbranch_execz .LBB135_94
; %bb.93:                               ;   in Loop: Header=BB135_76 Depth=1
	v_lshl_add_u64 v[44:45], v[16:17], 0, v[0:1]
	flat_load_dword v91, v[44:45]
.LBB135_94:                             ;   in Loop: Header=BB135_76 Depth=1
	s_or_b64 exec, exec, s[14:15]
	v_cmp_gt_i32_e32 vcc, s22, v69
	s_and_saveexec_b64 s[14:15], vcc
	s_cbranch_execz .LBB135_96
; %bb.95:                               ;   in Loop: Header=BB135_76 Depth=1
	v_lshl_add_u64 v[44:45], v[14:15], 0, v[0:1]
	flat_load_dword v90, v[44:45]
.LBB135_96:                             ;   in Loop: Header=BB135_76 Depth=1
	s_or_b64 exec, exec, s[14:15]
	s_branch .LBB135_98
.LBB135_97:                             ;   in Loop: Header=BB135_76 Depth=1
	s_waitcnt vmcnt(0) lgkmcnt(0)
	flat_load_dword v89, v[42:43]
	v_lshl_add_u64 v[42:43], v[18:19], 0, v[0:1]
	flat_load_dword v88, v[42:43]
	v_lshl_add_u64 v[42:43], v[16:17], 0, v[0:1]
	;; [unrolled: 2-line block ×3, first 2 shown]
	flat_load_dword v90, v[42:43]
.LBB135_98:                             ;   in Loop: Header=BB135_76 Depth=1
	ds_read_b32 v42, v57
	ds_read_b32 v92, v64 offset:64
	s_and_b64 vcc, exec, s[4:5]
	v_lshl_add_u64 v[46:47], v[28:29], 0, v[0:1]
	s_waitcnt vmcnt(0) lgkmcnt(0)
	v_mul_f32_e32 v43, v89, v42
	v_mul_f32_e32 v44, v88, v42
	ds_write_b32 v65, v43
	v_mul_f32_e32 v45, v91, v42
	ds_read_b32 v93, v64 offset:68
	ds_write_b32 v65, v44 offset:268
	ds_read_b32 v94, v64 offset:72
	ds_write_b32 v65, v45 offset:536
	v_mul_f32_e32 v42, v90, v42
	ds_read_b32 v95, v64 offset:76
	ds_write_b32 v65, v42 offset:804
	s_waitcnt lgkmcnt(0)
	s_barrier
	ds_read2_b32 v[44:45], v60 offset1:1
	ds_read2_b32 v[42:43], v60 offset0:2 offset1:3
	s_waitcnt lgkmcnt(0)
	s_barrier
	s_cbranch_vccnz .LBB135_126
; %bb.99:                               ;   in Loop: Header=BB135_76 Depth=1
	v_cmp_gt_i32_e32 vcc, s22, v70
	v_mov_b32_e32 v96, 0
	v_mov_b32_e32 v97, 0
	s_and_saveexec_b64 s[14:15], vcc
	s_cbranch_execz .LBB135_101
; %bb.100:                              ;   in Loop: Header=BB135_76 Depth=1
	flat_load_dword v97, v[46:47]
.LBB135_101:                            ;   in Loop: Header=BB135_76 Depth=1
	s_or_b64 exec, exec, s[14:15]
	v_cmp_gt_i32_e32 vcc, s22, v71
	s_and_saveexec_b64 s[14:15], vcc
	s_cbranch_execz .LBB135_103
; %bb.102:                              ;   in Loop: Header=BB135_76 Depth=1
	v_lshl_add_u64 v[48:49], v[26:27], 0, v[0:1]
	flat_load_dword v96, v[48:49]
.LBB135_103:                            ;   in Loop: Header=BB135_76 Depth=1
	s_or_b64 exec, exec, s[14:15]
	v_cmp_gt_i32_e32 vcc, s22, v72
	v_mov_b32_e32 v98, 0
	v_mov_b32_e32 v99, 0
	s_and_saveexec_b64 s[14:15], vcc
	s_cbranch_execz .LBB135_105
; %bb.104:                              ;   in Loop: Header=BB135_76 Depth=1
	v_lshl_add_u64 v[48:49], v[24:25], 0, v[0:1]
	flat_load_dword v99, v[48:49]
.LBB135_105:                            ;   in Loop: Header=BB135_76 Depth=1
	s_or_b64 exec, exec, s[14:15]
	v_cmp_gt_i32_e32 vcc, s22, v73
	s_and_saveexec_b64 s[14:15], vcc
	s_cbranch_execz .LBB135_107
; %bb.106:                              ;   in Loop: Header=BB135_76 Depth=1
	v_lshl_add_u64 v[48:49], v[22:23], 0, v[0:1]
	flat_load_dword v98, v[48:49]
.LBB135_107:                            ;   in Loop: Header=BB135_76 Depth=1
	s_or_b64 exec, exec, s[14:15]
	s_branch .LBB135_109
.LBB135_108:                            ;   in Loop: Header=BB135_76 Depth=1
	s_waitcnt vmcnt(0) lgkmcnt(0)
	flat_load_dword v97, v[46:47]
	v_lshl_add_u64 v[46:47], v[26:27], 0, v[0:1]
	flat_load_dword v96, v[46:47]
	v_lshl_add_u64 v[46:47], v[24:25], 0, v[0:1]
	;; [unrolled: 2-line block ×3, first 2 shown]
	flat_load_dword v98, v[46:47]
.LBB135_109:                            ;   in Loop: Header=BB135_76 Depth=1
	ds_read_b32 v46, v57
	ds_read_b32 v100, v64 offset:128
	s_and_b64 vcc, exec, s[4:5]
	v_lshl_add_u64 v[50:51], v[36:37], 0, v[0:1]
	s_waitcnt vmcnt(0) lgkmcnt(0)
	v_mul_f32_e32 v47, v97, v46
	v_mul_f32_e32 v48, v96, v46
	ds_write_b32 v65, v47
	v_mul_f32_e32 v49, v99, v46
	ds_read_b32 v101, v64 offset:132
	ds_write_b32 v65, v48 offset:268
	ds_read_b32 v102, v64 offset:136
	ds_write_b32 v65, v49 offset:536
	v_mul_f32_e32 v46, v98, v46
	ds_read_b32 v103, v64 offset:140
	ds_write_b32 v65, v46 offset:804
	s_waitcnt lgkmcnt(0)
	s_barrier
	ds_read2_b32 v[48:49], v60 offset1:1
	ds_read2_b32 v[46:47], v60 offset0:2 offset1:3
	s_waitcnt lgkmcnt(0)
	s_barrier
	s_cbranch_vccnz .LBB135_127
; %bb.110:                              ;   in Loop: Header=BB135_76 Depth=1
	v_cmp_gt_i32_e32 vcc, s22, v75
	v_mov_b32_e32 v104, 0
	v_mov_b32_e32 v105, 0
	s_and_saveexec_b64 s[4:5], vcc
	s_cbranch_execz .LBB135_112
; %bb.111:                              ;   in Loop: Header=BB135_76 Depth=1
	flat_load_dword v105, v[50:51]
.LBB135_112:                            ;   in Loop: Header=BB135_76 Depth=1
	s_or_b64 exec, exec, s[4:5]
	v_cmp_gt_i32_e32 vcc, s22, v77
	s_and_saveexec_b64 s[4:5], vcc
	s_cbranch_execz .LBB135_114
; %bb.113:                              ;   in Loop: Header=BB135_76 Depth=1
	v_lshl_add_u64 v[106:107], v[34:35], 0, v[0:1]
	flat_load_dword v104, v[106:107]
.LBB135_114:                            ;   in Loop: Header=BB135_76 Depth=1
	s_or_b64 exec, exec, s[4:5]
	v_cmp_gt_i32_e32 vcc, s22, v78
	v_mov_b32_e32 v106, 0
	v_mov_b32_e32 v107, 0
	s_and_saveexec_b64 s[4:5], vcc
	s_cbranch_execz .LBB135_116
; %bb.115:                              ;   in Loop: Header=BB135_76 Depth=1
	v_lshl_add_u64 v[108:109], v[32:33], 0, v[0:1]
	flat_load_dword v107, v[108:109]
.LBB135_116:                            ;   in Loop: Header=BB135_76 Depth=1
	s_or_b64 exec, exec, s[4:5]
	v_cmp_gt_i32_e32 vcc, s22, v79
	s_and_saveexec_b64 s[4:5], vcc
	s_cbranch_execz .LBB135_118
; %bb.117:                              ;   in Loop: Header=BB135_76 Depth=1
	v_lshl_add_u64 v[108:109], v[30:31], 0, v[0:1]
	flat_load_dword v106, v[108:109]
.LBB135_118:                            ;   in Loop: Header=BB135_76 Depth=1
	s_or_b64 exec, exec, s[4:5]
	s_branch .LBB135_120
.LBB135_119:                            ;   in Loop: Header=BB135_76 Depth=1
	s_waitcnt vmcnt(0) lgkmcnt(0)
	flat_load_dword v105, v[50:51]
	v_lshl_add_u64 v[50:51], v[34:35], 0, v[0:1]
	flat_load_dword v104, v[50:51]
	v_lshl_add_u64 v[50:51], v[32:33], 0, v[0:1]
	;; [unrolled: 2-line block ×3, first 2 shown]
	flat_load_dword v106, v[50:51]
.LBB135_120:                            ;   in Loop: Header=BB135_76 Depth=1
	v_add_f32_e32 v44, 0, v44
	v_add_f32_e32 v44, v44, v45
	ds_read_b32 v45, v57
	v_add_f32_e32 v48, 0, v48
	v_add_f32_e32 v48, v48, v49
	v_add_f32_e32 v42, v44, v42
	v_add_f32_e32 v46, v48, v46
	v_add_f32_e32 v51, v42, v43
	v_add_f32_e32 v48, 0, v40
	ds_read_b32 v40, v64 offset:192
	s_waitcnt vmcnt(0) lgkmcnt(0)
	v_mul_f32_e32 v42, v105, v45
	ds_write_b32 v65, v42
	v_mul_f32_e32 v43, v104, v45
	ds_read_b32 v42, v64 offset:196
	ds_write_b32 v65, v43 offset:268
	v_mul_f32_e32 v44, v107, v45
	ds_read_b32 v43, v64 offset:200
	ds_write_b32 v65, v44 offset:536
	v_mul_f32_e32 v45, v106, v45
	v_add_f32_e32 v50, v46, v47
	ds_read_b32 v44, v64 offset:204
	ds_write_b32 v65, v45 offset:804
	s_waitcnt lgkmcnt(0)
	s_barrier
	ds_read2_b32 v[46:47], v60 offset1:1
	v_add_f32_e32 v41, v48, v41
	ds_read2_b32 v[48:49], v60 offset0:2 offset1:3
	v_add_f32_e32 v38, v41, v38
	v_add_f32_e32 v38, v38, v39
	s_waitcnt lgkmcnt(1)
	v_add_f32_e32 v39, 0, v46
	v_cmp_gt_i32_e32 vcc, s22, v52
	v_add_f32_e32 v39, v39, v47
	s_or_b64 s[4:5], s[12:13], vcc
	s_waitcnt lgkmcnt(0)
	v_add_f32_e32 v39, v39, v48
	s_and_b64 s[12:13], s[6:7], s[4:5]
	v_add_f32_e32 v39, v39, v49
	s_barrier
	ds_write2_b32 v76, v38, v51 offset1:16
	ds_write2_b32 v76, v50, v39 offset0:32 offset1:48
	s_waitcnt lgkmcnt(0)
	s_barrier
	s_and_saveexec_b64 s[4:5], s[12:13]
	s_cbranch_execz .LBB135_122
; %bb.121:                              ;   in Loop: Header=BB135_76 Depth=1
	ds_read2_b32 v[38:39], v58 offset1:1
	ds_read2_b32 v[46:47], v58 offset0:2 offset1:3
	ds_read2_b32 v[48:49], v58 offset0:4 offset1:5
	;; [unrolled: 1-line block ×3, first 2 shown]
	s_waitcnt lgkmcnt(3)
	v_add_f32_e32 v38, v38, v39
	s_waitcnt lgkmcnt(2)
	v_add_f32_e32 v38, v38, v46
	v_add_f32_e32 v38, v38, v47
	s_waitcnt lgkmcnt(1)
	v_add_f32_e32 v38, v38, v48
	;; [unrolled: 3-line block ×3, first 2 shown]
	ds_read2_b32 v[38:39], v58 offset0:8 offset1:9
	v_add_f32_e32 v41, v41, v51
	ds_read2_b32 v[46:47], v58 offset0:10 offset1:11
	ds_read2_b32 v[48:49], v58 offset0:12 offset1:13
	ds_read_b32 v45, v58 offset:56
	s_waitcnt lgkmcnt(3)
	v_add_f32_e32 v38, v41, v38
	v_add_f32_e32 v38, v38, v39
	s_waitcnt lgkmcnt(2)
	v_add_f32_e32 v38, v38, v46
	ds_read_b32 v39, v59
	v_add_f32_e32 v38, v38, v47
	s_waitcnt lgkmcnt(2)
	v_add_f32_e32 v38, v38, v48
	v_add_f32_e32 v38, v38, v49
	s_waitcnt lgkmcnt(1)
	v_add_f32_e32 v38, v38, v45
	s_waitcnt lgkmcnt(0)
	v_add_f32_e32 v41, v38, v39
	v_add_u32_e32 v38, s24, v74
	v_ashrrev_i32_e32 v39, 31, v38
	v_lshl_add_u64 v[38:39], v[38:39], 2, s[8:9]
	global_store_dword v[38:39], v41, off
.LBB135_122:                            ;   in Loop: Header=BB135_76 Depth=1
	s_or_b64 exec, exec, s[4:5]
	v_fmac_f32_e32 v54, v81, v84
	v_fmac_f32_e32 v54, v80, v85
	;; [unrolled: 1-line block ×15, first 2 shown]
	s_add_i32 s4, s2, 1
	s_add_i32 s24, s24, 64
	;; [unrolled: 1-line block ×3, first 2 shown]
	v_fmac_f32_e32 v54, v106, v44
	v_lshl_add_u64 v[8:9], v[8:9], 0, s[10:11]
	v_lshl_add_u64 v[10:11], v[10:11], 0, s[10:11]
	;; [unrolled: 1-line block ×15, first 2 shown]
	s_cmp_ge_u32 s2, s3
	v_lshl_add_u64 v[36:37], v[36:37], 0, s[10:11]
	s_barrier
	s_cbranch_scc1 .LBB135_128
; %bb.123:                              ;   in Loop: Header=BB135_76 Depth=1
	s_mov_b32 s2, s4
	s_cmp_eq_u32 s19, s2
	s_cselect_b32 s22, s27, 0
	s_and_saveexec_b64 s[4:5], s[0:1]
	s_cbranch_execnz .LBB135_73
	s_branch .LBB135_76
.LBB135_124:                            ;   in Loop: Header=BB135_76 Depth=1
                                        ; implicit-def: $vgpr82
                                        ; implicit-def: $vgpr83
                                        ; implicit-def: $vgpr80
                                        ; implicit-def: $vgpr81
	s_cbranch_execnz .LBB135_86
	s_branch .LBB135_87
.LBB135_125:                            ;   in Loop: Header=BB135_76 Depth=1
                                        ; implicit-def: $vgpr90
                                        ; implicit-def: $vgpr91
                                        ; implicit-def: $vgpr88
                                        ; implicit-def: $vgpr89
	s_cbranch_execnz .LBB135_97
	s_branch .LBB135_98
.LBB135_126:                            ;   in Loop: Header=BB135_76 Depth=1
                                        ; implicit-def: $vgpr98
                                        ; implicit-def: $vgpr99
                                        ; implicit-def: $vgpr96
                                        ; implicit-def: $vgpr97
	s_cbranch_execnz .LBB135_108
	s_branch .LBB135_109
.LBB135_127:                            ;   in Loop: Header=BB135_76 Depth=1
                                        ; implicit-def: $vgpr106
                                        ; implicit-def: $vgpr107
                                        ; implicit-def: $vgpr104
                                        ; implicit-def: $vgpr105
	s_cbranch_execnz .LBB135_119
	s_branch .LBB135_120
.LBB135_128:
	s_movk_i32 s2, 0x10c
	v_cmp_gt_i32_e32 vcc, s18, v52
	v_mad_u32_u24 v1, v53, s2, v0
	s_or_b64 s[2:3], s[20:21], vcc
	s_and_b64 s[0:1], s[0:1], s[2:3]
	ds_write_b32 v1, v54
	s_waitcnt lgkmcnt(0)
	s_barrier
	s_and_saveexec_b64 s[2:3], s[0:1]
	s_cbranch_execz .LBB135_130
; %bb.129:
	ds_read2_b32 v[2:3], v0 offset1:67
	ds_read2_b32 v[0:1], v0 offset0:134 offset1:201
	s_waitcnt lgkmcnt(1)
	v_add_f32_e32 v2, v2, v3
	s_waitcnt lgkmcnt(0)
	v_add_f32_e32 v0, v2, v0
	v_add_f32_e32 v2, v0, v1
	v_lshl_add_u64 v[0:1], v[4:5], 2, s[8:9]
	global_store_dword v[0:1], v2, off
.LBB135_130:
	s_endpgm
	.section	.rodata,"a",@progbits
	.p2align	6, 0x0
	.amdhsa_kernel _ZL26rocblas_hemvn_kernel_upperILb0ELi64ELi4ELi33ELi32ELi16ElPKfPKS1_PfEviT6_lT7_lT5_lS6_lS7_lS5_lT8_i
		.amdhsa_group_segment_fixed_size 4800
		.amdhsa_private_segment_fixed_size 0
		.amdhsa_kernarg_size 376
		.amdhsa_user_sgpr_count 2
		.amdhsa_user_sgpr_dispatch_ptr 0
		.amdhsa_user_sgpr_queue_ptr 0
		.amdhsa_user_sgpr_kernarg_segment_ptr 1
		.amdhsa_user_sgpr_dispatch_id 0
		.amdhsa_user_sgpr_kernarg_preload_length 0
		.amdhsa_user_sgpr_kernarg_preload_offset 0
		.amdhsa_user_sgpr_private_segment_size 0
		.amdhsa_uses_dynamic_stack 0
		.amdhsa_enable_private_segment 0
		.amdhsa_system_sgpr_workgroup_id_x 1
		.amdhsa_system_sgpr_workgroup_id_y 0
		.amdhsa_system_sgpr_workgroup_id_z 1
		.amdhsa_system_sgpr_workgroup_info 0
		.amdhsa_system_vgpr_workitem_id 1
		.amdhsa_next_free_vgpr 110
		.amdhsa_next_free_sgpr 41
		.amdhsa_accum_offset 112
		.amdhsa_reserve_vcc 1
		.amdhsa_float_round_mode_32 0
		.amdhsa_float_round_mode_16_64 0
		.amdhsa_float_denorm_mode_32 3
		.amdhsa_float_denorm_mode_16_64 3
		.amdhsa_dx10_clamp 1
		.amdhsa_ieee_mode 1
		.amdhsa_fp16_overflow 0
		.amdhsa_tg_split 0
		.amdhsa_exception_fp_ieee_invalid_op 0
		.amdhsa_exception_fp_denorm_src 0
		.amdhsa_exception_fp_ieee_div_zero 0
		.amdhsa_exception_fp_ieee_overflow 0
		.amdhsa_exception_fp_ieee_underflow 0
		.amdhsa_exception_fp_ieee_inexact 0
		.amdhsa_exception_int_div_zero 0
	.end_amdhsa_kernel
	.section	.text._ZL26rocblas_hemvn_kernel_upperILb0ELi64ELi4ELi33ELi32ELi16ElPKfPKS1_PfEviT6_lT7_lT5_lS6_lS7_lS5_lT8_i,"axG",@progbits,_ZL26rocblas_hemvn_kernel_upperILb0ELi64ELi4ELi33ELi32ELi16ElPKfPKS1_PfEviT6_lT7_lT5_lS6_lS7_lS5_lT8_i,comdat
.Lfunc_end135:
	.size	_ZL26rocblas_hemvn_kernel_upperILb0ELi64ELi4ELi33ELi32ELi16ElPKfPKS1_PfEviT6_lT7_lT5_lS6_lS7_lS5_lT8_i, .Lfunc_end135-_ZL26rocblas_hemvn_kernel_upperILb0ELi64ELi4ELi33ELi32ELi16ElPKfPKS1_PfEviT6_lT7_lT5_lS6_lS7_lS5_lT8_i
                                        ; -- End function
	.section	.AMDGPU.csdata,"",@progbits
; Kernel info:
; codeLenInByte = 6876
; NumSgprs: 47
; NumVgprs: 110
; NumAgprs: 0
; TotalNumVgprs: 110
; ScratchSize: 0
; MemoryBound: 0
; FloatMode: 240
; IeeeMode: 1
; LDSByteSize: 4800 bytes/workgroup (compile time only)
; SGPRBlocks: 5
; VGPRBlocks: 13
; NumSGPRsForWavesPerEU: 47
; NumVGPRsForWavesPerEU: 110
; AccumOffset: 112
; Occupancy: 4
; WaveLimiterHint : 1
; COMPUTE_PGM_RSRC2:SCRATCH_EN: 0
; COMPUTE_PGM_RSRC2:USER_SGPR: 2
; COMPUTE_PGM_RSRC2:TRAP_HANDLER: 0
; COMPUTE_PGM_RSRC2:TGID_X_EN: 1
; COMPUTE_PGM_RSRC2:TGID_Y_EN: 0
; COMPUTE_PGM_RSRC2:TGID_Z_EN: 1
; COMPUTE_PGM_RSRC2:TIDIG_COMP_CNT: 1
; COMPUTE_PGM_RSRC3_GFX90A:ACCUM_OFFSET: 27
; COMPUTE_PGM_RSRC3_GFX90A:TG_SPLIT: 0
	.section	.text._ZL36rocblas_hemvn_kernel_upper_block_sumILi64ElPKfPKPffEviT1_lS5_lT2_lT0_lPT3_i,"axG",@progbits,_ZL36rocblas_hemvn_kernel_upper_block_sumILi64ElPKfPKPffEviT1_lS5_lT2_lT0_lPT3_i,comdat
	.globl	_ZL36rocblas_hemvn_kernel_upper_block_sumILi64ElPKfPKPffEviT1_lS5_lT2_lT0_lPT3_i ; -- Begin function _ZL36rocblas_hemvn_kernel_upper_block_sumILi64ElPKfPKPffEviT1_lS5_lT2_lT0_lPT3_i
	.p2align	8
	.type	_ZL36rocblas_hemvn_kernel_upper_block_sumILi64ElPKfPKPffEviT1_lS5_lT2_lT0_lPT3_i,@function
_ZL36rocblas_hemvn_kernel_upper_block_sumILi64ElPKfPKPffEviT1_lS5_lT2_lT0_lPT3_i: ; @_ZL36rocblas_hemvn_kernel_upper_block_sumILi64ElPKfPKPffEviT1_lS5_lT2_lT0_lPT3_i
; %bb.0:
	s_load_dwordx8 s[4:11], s[0:1], 0x8
	s_mov_b32 s12, s3
	s_waitcnt lgkmcnt(0)
	s_mul_i32 s3, s3, s7
	s_mul_hi_u32 s7, s12, s6
	s_add_i32 s7, s7, s3
	s_mul_i32 s6, s12, s6
	s_lshl_b64 s[6:7], s[6:7], 2
	s_add_u32 s4, s4, s6
	s_addc_u32 s5, s5, s7
	s_load_dword s3, s[4:5], 0x0
	s_mul_i32 s4, s12, s11
	s_mul_hi_u32 s5, s12, s10
	s_add_i32 s5, s5, s4
	s_mul_i32 s4, s12, s10
	s_lshl_b64 s[4:5], s[4:5], 2
	s_add_u32 s4, s8, s4
	s_addc_u32 s5, s9, s5
	s_load_dword s20, s[4:5], 0x0
	s_waitcnt lgkmcnt(0)
	v_cmp_eq_f32_e64 s[4:5], s3, 0
	v_cmp_eq_f32_e64 s[6:7], s20, 1.0
	s_and_b64 s[4:5], s[4:5], s[6:7]
	s_and_b64 vcc, exec, s[4:5]
	s_cbranch_vccnz .LBB136_19
; %bb.1:
	s_load_dwordx2 s[8:9], s[0:1], 0x28
	s_mov_b32 s13, 0
	s_lshl_b64 s[10:11], s[12:13], 3
	s_load_dword s14, s[0:1], 0x0
	s_load_dwordx4 s[4:7], s[0:1], 0x30
	v_lshl_or_b32 v0, s2, 6, v0
	s_waitcnt lgkmcnt(0)
	s_add_u32 s8, s8, s10
	s_addc_u32 s9, s9, s11
	s_load_dwordx2 s[8:9], s[8:9], 0x0
	s_lshl_b64 s[4:5], s[4:5], 2
	v_cmp_neq_f32_e64 s[10:11], s3, 0
	s_waitcnt lgkmcnt(0)
	s_add_u32 s8, s8, s4
	s_addc_u32 s9, s9, s5
	s_and_b64 vcc, exec, s[10:11]
	v_cmp_gt_i32_e64 s[4:5], s14, v0
	s_cbranch_vccnz .LBB136_6
; %bb.2:
	s_mov_b64 s[16:17], 0
	s_mov_b64 s[10:11], 0
                                        ; implicit-def: $vgpr1
                                        ; implicit-def: $vgpr2_vgpr3
	s_and_saveexec_b64 s[18:19], s[4:5]
	s_cbranch_execz .LBB136_7
; %bb.3:
	v_ashrrev_i32_e32 v2, 31, v0
	v_cmp_eq_f32_e64 s[4:5], s20, 0
	v_mul_lo_u32 v4, v0, s7
	v_mul_lo_u32 v5, v2, s6
	v_mad_u64_u32 v[2:3], s[10:11], v0, s6, 0
	v_mov_b32_e32 v1, 0
	v_add3_u32 v3, v3, v4, v5
	s_and_b64 vcc, exec, s[4:5]
	s_cbranch_vccnz .LBB136_5
; %bb.4:
	v_lshl_add_u64 v[4:5], v[2:3], 2, s[8:9]
	global_load_dword v1, v[4:5], off
	s_waitcnt vmcnt(0)
	v_mul_f32_e32 v1, s20, v1
.LBB136_5:
	s_mov_b64 s[10:11], exec
	s_or_b64 exec, exec, s[18:19]
	s_and_b64 vcc, exec, s[16:17]
	s_cbranch_vccnz .LBB136_8
	s_branch .LBB136_17
.LBB136_6:
	s_mov_b64 s[10:11], 0
                                        ; implicit-def: $vgpr1
                                        ; implicit-def: $vgpr2_vgpr3
	s_cbranch_execnz .LBB136_8
	s_branch .LBB136_17
.LBB136_7:
	s_or_b64 exec, exec, s[18:19]
	s_and_b64 vcc, exec, s[16:17]
	s_cbranch_vccz .LBB136_17
.LBB136_8:
	v_cmp_gt_i32_e32 vcc, s14, v0
                                        ; implicit-def: $vgpr1
                                        ; implicit-def: $vgpr2_vgpr3
	s_and_saveexec_b64 s[4:5], vcc
	s_cbranch_execz .LBB136_16
; %bb.9:
	v_ashrrev_i32_e32 v1, 31, v0
	s_cmp_lt_i32 s2, 0
	v_mov_b32_e32 v4, 0
	s_cbranch_scc1 .LBB136_12
; %bb.10:
	s_load_dwordx2 s[16:17], s[0:1], 0x48
	s_load_dword s13, s[0:1], 0x58
	s_ashr_i32 s15, s14, 31
	s_mul_hi_u32 s0, s14, s12
	s_mul_i32 s1, s15, s12
	s_add_i32 s0, s0, s1
	s_mul_i32 s12, s14, s12
	s_waitcnt lgkmcnt(0)
	s_mul_i32 s0, s0, s13
	s_mul_hi_u32 s1, s12, s13
	s_add_i32 s1, s1, s0
	s_mul_i32 s0, s12, s13
	s_lshl_b64 s[0:1], s[0:1], 2
	s_add_u32 s0, s16, s0
	s_addc_u32 s1, s17, s1
	v_lshl_add_u64 v[2:3], v[0:1], 2, s[0:1]
	s_add_i32 s2, s2, 1
	s_lshl_b64 s[0:1], s[14:15], 2
	v_mov_b32_e32 v4, 0
.LBB136_11:                             ; =>This Inner Loop Header: Depth=1
	global_load_dword v5, v[2:3], off
	s_add_i32 s2, s2, -1
	v_lshl_add_u64 v[2:3], v[2:3], 0, s[0:1]
	s_cmp_eq_u32 s2, 0
	s_waitcnt vmcnt(0)
	v_add_f32_e32 v4, v4, v5
	s_cbranch_scc0 .LBB136_11
.LBB136_12:
	v_cmp_eq_f32_e64 s[0:1], s20, 0
	s_and_b64 vcc, exec, s[0:1]
	v_mul_lo_u32 v5, v1, s6
	v_mul_lo_u32 v6, v0, s7
	s_cbranch_vccz .LBB136_20
; %bb.13:
	v_mad_u64_u32 v[2:3], s[0:1], v0, s6, 0
	v_mul_f32_e32 v1, s3, v4
	v_add3_u32 v3, v3, v6, v5
	s_cbranch_execnz .LBB136_15
.LBB136_14:
	v_mad_u64_u32 v[2:3], s[0:1], v0, s6, 0
	v_add3_u32 v3, v3, v6, v5
	v_lshl_add_u64 v[0:1], v[2:3], 2, s[8:9]
	global_load_dword v0, v[0:1], off
	s_waitcnt vmcnt(0)
	v_mul_f32_e32 v1, s20, v0
	v_fmac_f32_e32 v1, s3, v4
.LBB136_15:
	s_or_b64 s[10:11], s[10:11], exec
.LBB136_16:
	s_or_b64 exec, exec, s[4:5]
.LBB136_17:
	s_and_saveexec_b64 s[0:1], s[10:11]
	s_cbranch_execz .LBB136_19
; %bb.18:
	v_lshl_add_u64 v[2:3], v[2:3], 2, s[8:9]
	global_store_dword v[2:3], v1, off
.LBB136_19:
	s_endpgm
.LBB136_20:
                                        ; implicit-def: $vgpr1
                                        ; implicit-def: $vgpr2_vgpr3
	s_branch .LBB136_14
	.section	.rodata,"a",@progbits
	.p2align	6, 0x0
	.amdhsa_kernel _ZL36rocblas_hemvn_kernel_upper_block_sumILi64ElPKfPKPffEviT1_lS5_lT2_lT0_lPT3_i
		.amdhsa_group_segment_fixed_size 0
		.amdhsa_private_segment_fixed_size 0
		.amdhsa_kernarg_size 344
		.amdhsa_user_sgpr_count 2
		.amdhsa_user_sgpr_dispatch_ptr 0
		.amdhsa_user_sgpr_queue_ptr 0
		.amdhsa_user_sgpr_kernarg_segment_ptr 1
		.amdhsa_user_sgpr_dispatch_id 0
		.amdhsa_user_sgpr_kernarg_preload_length 0
		.amdhsa_user_sgpr_kernarg_preload_offset 0
		.amdhsa_user_sgpr_private_segment_size 0
		.amdhsa_uses_dynamic_stack 0
		.amdhsa_enable_private_segment 0
		.amdhsa_system_sgpr_workgroup_id_x 1
		.amdhsa_system_sgpr_workgroup_id_y 0
		.amdhsa_system_sgpr_workgroup_id_z 1
		.amdhsa_system_sgpr_workgroup_info 0
		.amdhsa_system_vgpr_workitem_id 0
		.amdhsa_next_free_vgpr 7
		.amdhsa_next_free_sgpr 21
		.amdhsa_accum_offset 8
		.amdhsa_reserve_vcc 1
		.amdhsa_float_round_mode_32 0
		.amdhsa_float_round_mode_16_64 0
		.amdhsa_float_denorm_mode_32 3
		.amdhsa_float_denorm_mode_16_64 3
		.amdhsa_dx10_clamp 1
		.amdhsa_ieee_mode 1
		.amdhsa_fp16_overflow 0
		.amdhsa_tg_split 0
		.amdhsa_exception_fp_ieee_invalid_op 0
		.amdhsa_exception_fp_denorm_src 0
		.amdhsa_exception_fp_ieee_div_zero 0
		.amdhsa_exception_fp_ieee_overflow 0
		.amdhsa_exception_fp_ieee_underflow 0
		.amdhsa_exception_fp_ieee_inexact 0
		.amdhsa_exception_int_div_zero 0
	.end_amdhsa_kernel
	.section	.text._ZL36rocblas_hemvn_kernel_upper_block_sumILi64ElPKfPKPffEviT1_lS5_lT2_lT0_lPT3_i,"axG",@progbits,_ZL36rocblas_hemvn_kernel_upper_block_sumILi64ElPKfPKPffEviT1_lS5_lT2_lT0_lPT3_i,comdat
.Lfunc_end136:
	.size	_ZL36rocblas_hemvn_kernel_upper_block_sumILi64ElPKfPKPffEviT1_lS5_lT2_lT0_lPT3_i, .Lfunc_end136-_ZL36rocblas_hemvn_kernel_upper_block_sumILi64ElPKfPKPffEviT1_lS5_lT2_lT0_lPT3_i
                                        ; -- End function
	.section	.AMDGPU.csdata,"",@progbits
; Kernel info:
; codeLenInByte = 652
; NumSgprs: 27
; NumVgprs: 7
; NumAgprs: 0
; TotalNumVgprs: 7
; ScratchSize: 0
; MemoryBound: 0
; FloatMode: 240
; IeeeMode: 1
; LDSByteSize: 0 bytes/workgroup (compile time only)
; SGPRBlocks: 3
; VGPRBlocks: 0
; NumSGPRsForWavesPerEU: 27
; NumVGPRsForWavesPerEU: 7
; AccumOffset: 8
; Occupancy: 8
; WaveLimiterHint : 1
; COMPUTE_PGM_RSRC2:SCRATCH_EN: 0
; COMPUTE_PGM_RSRC2:USER_SGPR: 2
; COMPUTE_PGM_RSRC2:TRAP_HANDLER: 0
; COMPUTE_PGM_RSRC2:TGID_X_EN: 1
; COMPUTE_PGM_RSRC2:TGID_Y_EN: 0
; COMPUTE_PGM_RSRC2:TGID_Z_EN: 1
; COMPUTE_PGM_RSRC2:TIDIG_COMP_CNT: 0
; COMPUTE_PGM_RSRC3_GFX90A:ACCUM_OFFSET: 1
; COMPUTE_PGM_RSRC3_GFX90A:TG_SPLIT: 0
	.section	.text._ZL26rocblas_hemvn_kernel_upperILb0ELi64ELi4ELi33ELi32ELi16EiPKfPKS1_PfEviT6_lT7_lT5_lS6_lS7_lS5_lT8_i,"axG",@progbits,_ZL26rocblas_hemvn_kernel_upperILb0ELi64ELi4ELi33ELi32ELi16EiPKfPKS1_PfEviT6_lT7_lT5_lS6_lS7_lS5_lT8_i,comdat
	.globl	_ZL26rocblas_hemvn_kernel_upperILb0ELi64ELi4ELi33ELi32ELi16EiPKfPKS1_PfEviT6_lT7_lT5_lS6_lS7_lS5_lT8_i ; -- Begin function _ZL26rocblas_hemvn_kernel_upperILb0ELi64ELi4ELi33ELi32ELi16EiPKfPKS1_PfEviT6_lT7_lT5_lS6_lS7_lS5_lT8_i
	.p2align	8
	.type	_ZL26rocblas_hemvn_kernel_upperILb0ELi64ELi4ELi33ELi32ELi16EiPKfPKS1_PfEviT6_lT7_lT5_lS6_lS7_lS5_lT8_i,@function
_ZL26rocblas_hemvn_kernel_upperILb0ELi64ELi4ELi33ELi32ELi16EiPKfPKS1_PfEviT6_lT7_lT5_lS6_lS7_lS5_lT8_i: ; @_ZL26rocblas_hemvn_kernel_upperILb0ELi64ELi4ELi33ELi32ELi16EiPKfPKS1_PfEviT6_lT7_lT5_lS6_lS7_lS5_lT8_i
; %bb.0:
	s_load_dwordx2 s[4:5], s[0:1], 0x84
	s_add_u32 s12, s0, 0x78
	s_mov_b32 s22, s3
	s_addc_u32 s13, s1, 0
	s_waitcnt lgkmcnt(0)
	s_and_b32 s3, s5, 0xffff
	s_lshr_b32 s5, s4, 16
	s_and_b32 s4, s4, 0xffff
	s_mul_i32 s4, s5, s4
	s_mul_i32 s4, s4, s3
	s_cmpk_lg_i32 s4, 0x100
	s_cbranch_scc1 .LBB137_130
; %bb.1:
	s_load_dwordx8 s[4:11], s[0:1], 0x8
	s_load_dwordx4 s[16:19], s[0:1], 0x58
	s_waitcnt lgkmcnt(0)
	s_mul_i32 s3, s22, s7
	s_mul_hi_u32 s7, s22, s6
	s_mul_i32 s6, s22, s6
	s_add_i32 s7, s7, s3
	s_lshl_b64 s[6:7], s[6:7], 2
	s_add_u32 s4, s4, s6
	s_addc_u32 s5, s5, s7
	s_mul_i32 s14, s22, s19
	s_load_dword s3, s[4:5], 0x0
	s_mul_hi_u32 s4, s22, s18
	s_add_i32 s5, s4, s14
	s_mul_i32 s4, s22, s18
	s_lshl_b64 s[4:5], s[4:5], 2
	s_add_u32 s4, s16, s4
	s_addc_u32 s5, s17, s5
	s_load_dword s6, s[4:5], 0x0
	s_waitcnt lgkmcnt(0)
	v_cmp_eq_f32_e64 s[4:5], s3, 0
	v_cmp_eq_f32_e64 s[6:7], s6, 1.0
	s_and_b64 s[6:7], s[4:5], s[6:7]
	s_and_b64 vcc, exec, s[6:7]
	s_cbranch_vccnz .LBB137_130
; %bb.2:
	s_mov_b32 s23, 0
	v_cmp_neq_f32_e64 s[16:17], s3, 0
	s_mov_b64 s[14:15], 0
	s_and_b64 vcc, exec, s[4:5]
	s_mov_b64 s[6:7], 0
	s_cbranch_vccnz .LBB137_4
; %bb.3:
	s_lshl_b64 s[4:5], s[22:23], 3
	s_add_u32 s4, s8, s4
	s_addc_u32 s5, s9, s5
	s_load_dwordx2 s[4:5], s[4:5], 0x0
	s_lshl_b64 s[6:7], s[10:11], 2
	s_waitcnt lgkmcnt(0)
	s_add_u32 s6, s4, s6
	s_addc_u32 s7, s5, s7
.LBB137_4:
	v_cndmask_b32_e64 v1, 0, 1, s[16:17]
	v_cmp_ne_u32_e64 s[4:5], 1, v1
	s_andn2_b64 vcc, exec, s[16:17]
	s_cbranch_vccnz .LBB137_6
; %bb.5:
	s_load_dwordx4 s[8:11], s[0:1], 0x38
	s_lshl_b64 s[14:15], s[22:23], 3
	s_waitcnt lgkmcnt(0)
	s_add_u32 s8, s8, s14
	s_addc_u32 s9, s9, s15
	s_load_dwordx2 s[8:9], s[8:9], 0x0
	s_lshl_b64 s[10:11], s[10:11], 2
	s_waitcnt lgkmcnt(0)
	s_add_u32 s14, s8, s10
	s_addc_u32 s15, s9, s11
.LBB137_6:
	s_and_b64 vcc, exec, s[4:5]
	s_cbranch_vccnz .LBB137_130
; %bb.7:
	s_load_dword s3, s[12:13], 0x0
	s_load_dword s23, s[0:1], 0x0
	s_load_dwordx2 s[26:27], s[0:1], 0x68
	s_load_dword s36, s[0:1], 0x48
	v_and_b32_e32 v6, 0x3ff, v0
	s_lshl_b32 s24, s2, 6
	s_waitcnt lgkmcnt(0)
	s_ashr_i32 s37, s23, 31
	s_lshr_b32 s5, s37, 26
	s_add_i32 s5, s23, s5
	s_andn2_b32 s5, s5, 63
	v_add_u32_e32 v4, s24, v6
	v_bfe_u32 v5, v0, 10, 10
	s_add_i32 s4, s3, -1
	s_sub_i32 s33, s23, s5
	v_mul_lo_u32 v0, v4, s36
	s_cmp_eq_u32 s2, s4
	v_ashrrev_i32_e32 v1, 31, v0
	s_cselect_b32 s16, s33, 0
	v_lshl_add_u64 v[10:11], v[0:1], 2, s[14:15]
	v_cmp_eq_u32_e64 s[12:13], 0, v5
	s_and_saveexec_b64 s[4:5], s[12:13]
	s_cbranch_execz .LBB137_11
; %bb.8:
	s_cmp_eq_u32 s16, 0
	s_cselect_b64 s[8:9], -1, 0
	v_cmp_gt_i32_e32 vcc, s16, v6
	s_or_b64 s[10:11], s[8:9], vcc
	v_mov_b32_e32 v0, 0
	s_and_saveexec_b64 s[8:9], s[10:11]
	s_cbranch_execz .LBB137_10
; %bb.9:
	flat_load_dword v0, v[10:11]
.LBB137_10:
	s_or_b64 exec, exec, s[8:9]
	v_lshlrev_b32_e32 v1, 2, v6
	s_waitcnt vmcnt(0) lgkmcnt(0)
	ds_write_b32 v1, v0 offset:4544
.LBB137_11:
	s_or_b64 exec, exec, s[4:5]
	s_load_dword s20, s[0:1], 0x28
	s_ashr_i32 s25, s24, 31
	v_lshl_add_u32 v18, v5, 6, v6
	s_lshl_b64 s[0:1], s[24:25], 2
	v_and_b32_e32 v0, 31, v6
	v_lshrrev_b32_e32 v1, 5, v18
	s_add_u32 s4, s6, s0
	s_addc_u32 s5, s7, s1
	s_waitcnt lgkmcnt(0)
	v_mad_u64_u32 v[8:9], s[0:1], v1, s20, v[0:1]
	s_mul_i32 s0, s24, s20
	s_ashr_i32 s1, s0, 31
	s_lshl_b64 s[0:1], s[0:1], 2
	s_add_u32 s0, s0, s4
	s_addc_u32 s1, s1, s5
	s_cmp_eq_u32 s16, 0
	s_cselect_b64 s[18:19], -1, 0
	s_cmp_lg_u32 s16, 0
	v_ashrrev_i32_e32 v9, 31, v8
	s_cselect_b64 s[30:31], -1, 0
	v_lshl_add_u64 v[12:13], v[8:9], 2, s[0:1]
	s_and_b64 vcc, exec, s[30:31]
	v_cmp_gt_i32_e64 s[0:1], s16, v0
	v_lshlrev_b32_e32 v2, 2, v0
	s_cbranch_vccz .LBB137_21
; %bb.12:
	v_sub_co_u32_e32 v14, vcc, v12, v2
	s_ashr_i32 s17, s16, 31
	s_nop 0
	v_subbrev_co_u32_e32 v15, vcc, 0, v13, vcc
	v_lshl_add_u64 v[14:15], s[16:17], 2, v[14:15]
	v_lshl_add_u64 v[14:15], v[14:15], 0, -4
	v_cndmask_b32_e64 v15, v15, v13, s[0:1]
	v_cndmask_b32_e64 v14, v14, v12, s[0:1]
	v_cmp_gt_i32_e32 vcc, s16, v1
	v_mov_b32_e32 v7, 0
	v_mov_b32_e32 v16, 0
	s_and_saveexec_b64 s[4:5], vcc
	s_cbranch_execz .LBB137_14
; %bb.13:
	flat_load_dword v16, v[14:15]
.LBB137_14:
	s_or_b64 exec, exec, s[4:5]
	v_mul_u32_u24_e32 v3, 33, v1
	v_add_lshl_u32 v3, v3, v0, 2
	s_waitcnt vmcnt(0) lgkmcnt(0)
	ds_write_b32 v3, v16
	v_add_u32_e32 v16, 8, v1
	v_cmp_gt_i32_e32 vcc, s16, v16
	s_and_saveexec_b64 s[4:5], vcc
	s_cbranch_execz .LBB137_16
; %bb.15:
	s_lshl_b32 s6, s20, 3
	s_ashr_i32 s7, s6, 31
	v_lshl_add_u64 v[16:17], s[6:7], 2, v[14:15]
	flat_load_dword v7, v[16:17]
.LBB137_16:
	s_or_b64 exec, exec, s[4:5]
	s_waitcnt vmcnt(0) lgkmcnt(0)
	ds_write_b32 v3, v7 offset:1056
	v_add_u32_e32 v7, 16, v1
	v_cmp_gt_i32_e32 vcc, s16, v7
	v_mov_b32_e32 v7, 0
	v_mov_b32_e32 v16, 0
	s_and_saveexec_b64 s[4:5], vcc
	s_cbranch_execz .LBB137_18
; %bb.17:
	s_lshl_b32 s6, s20, 4
	s_ashr_i32 s7, s6, 31
	v_lshl_add_u64 v[16:17], s[6:7], 2, v[14:15]
	flat_load_dword v16, v[16:17]
.LBB137_18:
	s_or_b64 exec, exec, s[4:5]
	s_waitcnt vmcnt(0) lgkmcnt(0)
	ds_write_b32 v3, v16 offset:2112
	v_add_u32_e32 v16, 24, v1
	v_cmp_gt_i32_e32 vcc, s16, v16
	s_and_saveexec_b64 s[4:5], vcc
	s_cbranch_execz .LBB137_20
; %bb.19:
	s_mul_i32 s6, s20, 24
	s_ashr_i32 s7, s6, 31
	v_lshl_add_u64 v[16:17], s[6:7], 2, v[14:15]
	flat_load_dword v7, v[16:17]
.LBB137_20:
	s_or_b64 exec, exec, s[4:5]
	s_waitcnt vmcnt(0) lgkmcnt(0)
	ds_write_b32 v3, v7 offset:3168
	v_mov_b32_e32 v3, 0
	v_lshl_add_u64 v[14:15], v[14:15], 0, v[2:3]
	s_lshl_b64 s[4:5], s[16:17], 2
	v_mov_b32_e32 v3, s5
	v_subrev_co_u32_e32 v14, vcc, s4, v14
	s_nop 1
	v_subb_co_u32_e32 v15, vcc, v15, v3, vcc
	v_lshl_add_u64 v[14:15], v[14:15], 0, 4
	v_cndmask_b32_e64 v15, v15, v13, s[0:1]
	v_cndmask_b32_e64 v14, v14, v12, s[0:1]
	v_mul_u32_u24_e32 v22, 33, v1
	s_branch .LBB137_23
.LBB137_21:
                                        ; implicit-def: $vgpr14_vgpr15
	v_mul_u32_u24_e32 v22, 33, v1
	s_cbranch_execz .LBB137_23
; %bb.22:
	flat_load_dword v3, v[12:13]
	s_lshl_b32 s0, s20, 3
	v_add_lshl_u32 v7, v22, v0, 2
	s_ashr_i32 s1, s0, 31
	v_lshl_add_u64 v[14:15], s[0:1], 2, v[12:13]
	s_ashr_i32 s21, s20, 31
	s_lshl_b64 s[0:1], s[20:21], 5
	s_waitcnt vmcnt(0) lgkmcnt(0)
	ds_write_b32 v7, v3
	flat_load_dword v3, v[14:15]
	v_lshl_add_u64 v[14:15], v[14:15], 0, s[0:1]
	s_waitcnt vmcnt(0) lgkmcnt(0)
	ds_write_b32 v7, v3 offset:1056
	flat_load_dword v3, v[14:15]
	v_lshl_add_u64 v[14:15], v[14:15], 0, s[0:1]
	s_waitcnt vmcnt(0) lgkmcnt(0)
	ds_write_b32 v7, v3 offset:2112
	flat_load_dword v3, v[14:15]
	v_mov_b64_e32 v[14:15], v[12:13]
	s_waitcnt vmcnt(0) lgkmcnt(0)
	ds_write_b32 v7, v3 offset:3168
.LBB137_23:
	v_lshlrev_b32_e32 v19, 2, v1
	v_mul_u32_u24_e32 v20, 33, v0
	v_cmp_gt_u32_e64 s[4:5], v19, v0
	v_add_lshl_u32 v27, v19, v20, 2
	s_waitcnt lgkmcnt(0)
	s_barrier
	s_and_saveexec_b64 s[0:1], s[4:5]
	s_cbranch_execz .LBB137_25
; %bb.24:
	v_mul_u32_u24_e32 v3, 0x84, v1
	v_add_lshl_u32 v3, v3, v0, 2
	ds_read_b32 v3, v3
	s_waitcnt lgkmcnt(0)
	ds_write_b32 v27, v3
.LBB137_25:
	s_or_b64 exec, exec, s[0:1]
	v_cmp_ge_u32_e64 s[6:7], v19, v0
	s_and_saveexec_b64 s[0:1], s[6:7]
	s_cbranch_execz .LBB137_27
; %bb.26:
	v_or_b32_e32 v3, 1, v19
	v_mul_u32_u24_e32 v3, 33, v3
	v_add_lshl_u32 v3, v3, v0, 2
	ds_read_b32 v3, v3
	s_waitcnt lgkmcnt(0)
	ds_write_b32 v27, v3 offset:4
.LBB137_27:
	s_or_b64 exec, exec, s[0:1]
	v_or_b32_e32 v3, 2, v19
	v_cmp_gt_u32_e64 s[8:9], v3, v0
	s_and_saveexec_b64 s[0:1], s[8:9]
	s_cbranch_execz .LBB137_29
; %bb.28:
	v_mul_u32_u24_e32 v3, 33, v3
	v_add_lshl_u32 v3, v3, v0, 2
	ds_read_b32 v3, v3
	s_waitcnt lgkmcnt(0)
	ds_write_b32 v27, v3 offset:8
.LBB137_29:
	s_or_b64 exec, exec, s[0:1]
	v_or_b32_e32 v3, 3, v19
	v_cmp_gt_u32_e64 s[10:11], v3, v0
	v_mad_u32_u24 v3, v3, 33, v0
	v_lshlrev_b32_e32 v24, 2, v3
	s_and_saveexec_b64 s[0:1], s[10:11]
	s_cbranch_execz .LBB137_31
; %bb.30:
	ds_read_b32 v3, v24
	s_waitcnt lgkmcnt(0)
	ds_write_b32 v27, v3 offset:12
.LBB137_31:
	s_or_b64 exec, exec, s[0:1]
	v_mul_u32_u24_e32 v3, 0x84, v1
	v_add_u32_e32 v26, 0xfffffef8, v24
	s_waitcnt lgkmcnt(0)
	s_barrier
	v_add_lshl_u32 v25, v3, v0, 2
	v_lshlrev_b32_e32 v28, 2, v19
	ds_read2_b32 v[12:13], v26 offset1:33
	ds_read_b32 v16, v25
	ds_read_b128 v[30:33], v28 offset:4544
	ds_read_b32 v35, v24
	v_add_lshl_u32 v23, v1, v20, 2
	s_waitcnt lgkmcnt(3)
	v_mov_b32_e32 v17, v12
	v_mov_b32_e32 v34, v13
	s_waitcnt lgkmcnt(1)
	v_pk_mul_f32 v[16:17], v[16:17], v[30:31]
	s_waitcnt lgkmcnt(0)
	v_pk_mul_f32 v[12:13], v[34:35], v[32:33]
	v_add_f32_e32 v3, 0, v16
	v_add_f32_e32 v3, v3, v17
	;; [unrolled: 1-line block ×4, first 2 shown]
	v_cmp_gt_u32_e64 s[0:1], 32, v18
	v_mov_b32_e32 v7, 0
	v_lshlrev_b32_e32 v21, 2, v20
	s_barrier
	ds_write_b32 v23, v3
	s_waitcnt lgkmcnt(0)
	s_barrier
	s_and_saveexec_b64 s[14:15], s[0:1]
	s_cbranch_execz .LBB137_33
; %bb.32:
	ds_read2_b32 v[12:13], v21 offset1:1
	ds_read2_b32 v[16:17], v21 offset0:2 offset1:3
	ds_read2_b32 v[30:31], v21 offset0:4 offset1:5
	;; [unrolled: 1-line block ×3, first 2 shown]
	s_waitcnt lgkmcnt(3)
	v_add_f32_e32 v3, v12, v13
	s_waitcnt lgkmcnt(2)
	v_add_f32_e32 v3, v3, v16
	v_add_f32_e32 v3, v3, v17
	s_waitcnt lgkmcnt(1)
	v_add_f32_e32 v3, v3, v30
	v_add_f32_e32 v3, v3, v31
	s_waitcnt lgkmcnt(0)
	v_add_f32_e32 v3, v3, v32
	v_add_f32_e32 v7, v3, v33
.LBB137_33:
	s_or_b64 exec, exec, s[14:15]
	s_lshl_b32 s28, s20, 5
	s_ashr_i32 s29, s28, 31
	v_lshl_add_u64 v[14:15], s[28:29], 2, v[14:15]
	s_mov_b64 s[14:15], 0x80
	v_lshl_add_u64 v[12:13], v[14:15], 0, s[14:15]
	s_and_b64 vcc, exec, s[30:31]
	s_barrier
	s_cbranch_vccz .LBB137_43
; %bb.34:
	v_or_b32_e32 v3, 32, v0
	v_lshlrev_b32_e32 v16, 2, v3
	v_sub_co_u32_e32 v16, vcc, v12, v16
	s_ashr_i32 s17, s16, 31
	s_nop 0
	v_subbrev_co_u32_e32 v17, vcc, 0, v13, vcc
	v_lshl_add_u64 v[16:17], s[16:17], 2, v[16:17]
	v_lshl_add_u64 v[16:17], v[16:17], 0, -4
	v_cmp_gt_i32_e32 vcc, s16, v3
	s_sub_i32 s21, s16, 32
	v_mov_b32_e32 v29, 0
	v_cndmask_b32_e32 v17, v17, v13, vcc
	v_cndmask_b32_e32 v16, v16, v12, vcc
	v_cmp_gt_i32_e64 s[14:15], s21, v1
	v_mov_b32_e32 v30, 0
	s_and_saveexec_b64 s[34:35], s[14:15]
	s_cbranch_execz .LBB137_36
; %bb.35:
	flat_load_dword v30, v[16:17]
.LBB137_36:
	s_or_b64 exec, exec, s[34:35]
	v_add_lshl_u32 v3, v22, v0, 2
	s_waitcnt vmcnt(0) lgkmcnt(0)
	ds_write_b32 v3, v30
	v_add_u32_e32 v30, 8, v1
	v_cmp_gt_i32_e64 s[14:15], s21, v30
	s_and_saveexec_b64 s[34:35], s[14:15]
	s_cbranch_execz .LBB137_38
; %bb.37:
	s_lshl_b32 s14, s20, 3
	s_ashr_i32 s15, s14, 31
	v_lshl_add_u64 v[30:31], s[14:15], 2, v[16:17]
	flat_load_dword v29, v[30:31]
.LBB137_38:
	s_or_b64 exec, exec, s[34:35]
	s_waitcnt vmcnt(0) lgkmcnt(0)
	ds_write_b32 v3, v29 offset:1056
	v_add_u32_e32 v29, 16, v1
	v_cmp_gt_i32_e64 s[14:15], s21, v29
	v_mov_b32_e32 v29, 0
	v_mov_b32_e32 v30, 0
	s_and_saveexec_b64 s[34:35], s[14:15]
	s_cbranch_execz .LBB137_40
; %bb.39:
	s_lshl_b32 s14, s20, 4
	s_ashr_i32 s15, s14, 31
	v_lshl_add_u64 v[30:31], s[14:15], 2, v[16:17]
	flat_load_dword v30, v[30:31]
.LBB137_40:
	s_or_b64 exec, exec, s[34:35]
	s_waitcnt vmcnt(0) lgkmcnt(0)
	ds_write_b32 v3, v30 offset:2112
	v_add_u32_e32 v30, 24, v1
	v_cmp_gt_i32_e64 s[14:15], s21, v30
	s_and_saveexec_b64 s[34:35], s[14:15]
	s_cbranch_execz .LBB137_42
; %bb.41:
	s_mul_i32 s14, s20, 24
	s_ashr_i32 s15, s14, 31
	v_lshl_add_u64 v[30:31], s[14:15], 2, v[16:17]
	flat_load_dword v29, v[30:31]
.LBB137_42:
	s_or_b64 exec, exec, s[34:35]
	s_waitcnt vmcnt(0) lgkmcnt(0)
	ds_write_b32 v3, v29 offset:3168
	v_mov_b32_e32 v3, 0
	v_lshl_add_u64 v[16:17], v[16:17], 0, v[2:3]
	s_lshl_b64 s[14:15], s[16:17], 2
	v_mov_b32_e32 v3, s15
	v_subrev_co_u32_e64 v16, s[14:15], s14, v16
	s_nop 1
	v_subb_co_u32_e64 v17, s[14:15], v17, v3, s[14:15]
	s_mov_b64 s[14:15], 0x84
	s_nop 0
	v_lshl_add_u64 v[16:17], v[16:17], 0, s[14:15]
	v_cndmask_b32_e32 v17, v17, v13, vcc
	v_cndmask_b32_e32 v16, v16, v12, vcc
	s_branch .LBB137_45
.LBB137_43:
                                        ; implicit-def: $vgpr16_vgpr17
	s_cbranch_execz .LBB137_45
; %bb.44:
	flat_load_dword v3, v[14:15] offset:128
	s_lshl_b32 s14, s20, 3
	v_add_lshl_u32 v16, v22, v0, 2
	s_ashr_i32 s15, s14, 31
	v_lshl_add_u64 v[14:15], s[14:15], 2, v[14:15]
	s_ashr_i32 s21, s20, 31
	s_lshl_b64 s[14:15], s[20:21], 5
	s_waitcnt vmcnt(0) lgkmcnt(0)
	ds_write_b32 v16, v3
	flat_load_dword v3, v[14:15] offset:128
	v_lshl_add_u64 v[14:15], v[14:15], 0, s[14:15]
	s_waitcnt vmcnt(0) lgkmcnt(0)
	ds_write_b32 v16, v3 offset:1056
	flat_load_dword v3, v[14:15] offset:128
	v_lshl_add_u64 v[14:15], v[14:15], 0, s[14:15]
	s_waitcnt vmcnt(0) lgkmcnt(0)
	ds_write_b32 v16, v3 offset:2112
	flat_load_dword v3, v[14:15] offset:128
	s_waitcnt vmcnt(0) lgkmcnt(0)
	ds_write_b32 v16, v3 offset:3168
	v_mov_b64_e32 v[16:17], v[12:13]
.LBB137_45:
	s_waitcnt lgkmcnt(0)
	s_barrier
	s_and_saveexec_b64 s[14:15], s[4:5]
	s_cbranch_execnz .LBB137_62
; %bb.46:
	s_or_b64 exec, exec, s[14:15]
	s_and_saveexec_b64 s[4:5], s[6:7]
	s_cbranch_execnz .LBB137_63
.LBB137_47:
	s_or_b64 exec, exec, s[4:5]
	s_and_saveexec_b64 s[4:5], s[8:9]
	s_cbranch_execnz .LBB137_64
.LBB137_48:
	s_or_b64 exec, exec, s[4:5]
	v_add_u32_e32 v28, 0x11c0, v28
	s_and_saveexec_b64 s[4:5], s[10:11]
	s_cbranch_execz .LBB137_50
.LBB137_49:
	ds_read_b32 v3, v24
	s_waitcnt lgkmcnt(0)
	ds_write_b32 v27, v3 offset:12
.LBB137_50:
	s_or_b64 exec, exec, s[4:5]
	s_waitcnt lgkmcnt(0)
	s_barrier
	ds_read_b32 v3, v25
	ds_read_b128 v[12:15], v28 offset:128
	ds_read2_b32 v[30:31], v26 offset1:33
	ds_read_b32 v27, v24
	v_cmp_eq_u32_e64 s[4:5], 1, v1
	s_waitcnt lgkmcnt(0)
	v_fma_f32 v3, v3, v12, 0
	v_fmac_f32_e32 v3, v30, v13
	v_fmac_f32_e32 v3, v31, v14
	v_fmac_f32_e32 v3, v27, v15
	s_barrier
	ds_write_b32 v23, v3
	s_waitcnt lgkmcnt(0)
	s_barrier
	s_and_saveexec_b64 s[6:7], s[4:5]
	s_cbranch_execz .LBB137_52
; %bb.51:
	ds_read2_b32 v[12:13], v21 offset1:1
	ds_read2_b32 v[14:15], v21 offset0:2 offset1:3
	ds_read2_b32 v[30:31], v21 offset0:4 offset1:5
	;; [unrolled: 1-line block ×3, first 2 shown]
	s_waitcnt lgkmcnt(3)
	v_add_f32_e32 v3, v12, v13
	s_waitcnt lgkmcnt(2)
	v_add_f32_e32 v3, v3, v14
	v_add_f32_e32 v3, v3, v15
	s_waitcnt lgkmcnt(1)
	v_add_f32_e32 v3, v3, v30
	;; [unrolled: 3-line block ×3, first 2 shown]
	v_add_f32_e32 v7, v3, v33
.LBB137_52:
	s_or_b64 exec, exec, s[6:7]
	s_movk_i32 s6, 0xff80
	s_mov_b32 s7, -1
	v_lshl_add_u64 v[12:13], v[16:17], 0, s[6:7]
	s_and_b64 vcc, exec, s[30:31]
	s_barrier
	s_cbranch_vccz .LBB137_65
; %bb.53:
	v_sub_co_u32_e32 v14, vcc, v12, v2
	s_ashr_i32 s17, s16, 31
	s_nop 0
	v_subbrev_co_u32_e32 v15, vcc, 0, v13, vcc
	v_lshl_add_u64 v[14:15], s[16:17], 2, v[14:15]
	v_lshl_add_u64 v[14:15], v[14:15], 0, -4
	v_cmp_gt_i32_e32 vcc, s16, v0
	s_sub_i32 s10, s16, 32
	v_cmp_gt_i32_e64 s[6:7], s10, v1
	v_cndmask_b32_e32 v15, v15, v13, vcc
	v_cndmask_b32_e32 v14, v14, v12, vcc
	v_mov_b32_e32 v17, 0
	v_mov_b32_e32 v16, 0
	s_and_saveexec_b64 s[8:9], s[6:7]
	s_cbranch_execz .LBB137_55
; %bb.54:
	flat_load_dword v16, v[14:15]
.LBB137_55:
	s_or_b64 exec, exec, s[8:9]
	v_add_lshl_u32 v3, v22, v0, 2
	s_waitcnt vmcnt(0) lgkmcnt(0)
	ds_write_b32 v3, v16
	v_add_u32_e32 v16, 8, v1
	v_cmp_gt_i32_e64 s[6:7], s10, v16
	s_and_saveexec_b64 s[8:9], s[6:7]
	s_cbranch_execz .LBB137_57
; %bb.56:
	s_lshl_b32 s6, s20, 3
	s_ashr_i32 s7, s6, 31
	v_lshl_add_u64 v[30:31], s[6:7], 2, v[14:15]
	flat_load_dword v17, v[30:31]
.LBB137_57:
	s_or_b64 exec, exec, s[8:9]
	s_waitcnt vmcnt(0) lgkmcnt(0)
	ds_write_b32 v3, v17 offset:1056
	v_add_u32_e32 v17, 16, v1
	v_cmp_gt_i32_e64 s[6:7], s10, v17
	v_mov_b32_e32 v29, 0
	v_mov_b32_e32 v27, 0
	s_and_saveexec_b64 s[8:9], s[6:7]
	s_cbranch_execz .LBB137_59
; %bb.58:
	s_lshl_b32 s6, s20, 4
	s_ashr_i32 s7, s6, 31
	v_lshl_add_u64 v[30:31], s[6:7], 2, v[14:15]
	flat_load_dword v27, v[30:31]
.LBB137_59:
	s_or_b64 exec, exec, s[8:9]
	s_waitcnt vmcnt(0) lgkmcnt(0)
	ds_write_b32 v3, v27 offset:2112
	v_add_u32_e32 v27, 24, v1
	v_cmp_gt_i32_e64 s[6:7], s10, v27
	s_and_saveexec_b64 s[8:9], s[6:7]
	s_cbranch_execz .LBB137_61
; %bb.60:
	s_mul_i32 s6, s20, 24
	s_ashr_i32 s7, s6, 31
	v_lshl_add_u64 v[30:31], s[6:7], 2, v[14:15]
	flat_load_dword v29, v[30:31]
.LBB137_61:
	s_or_b64 exec, exec, s[8:9]
	s_waitcnt vmcnt(0) lgkmcnt(0)
	ds_write_b32 v3, v29 offset:3168
	v_mov_b32_e32 v3, 0
	v_lshl_add_u64 v[2:3], v[14:15], 0, v[2:3]
	s_lshl_b64 s[6:7], s[16:17], 2
	v_mov_b32_e32 v14, s7
	v_subrev_co_u32_e64 v2, s[6:7], s6, v2
	s_nop 1
	v_subb_co_u32_e64 v3, s[6:7], v3, v14, s[6:7]
	v_lshl_add_u64 v[2:3], v[2:3], 0, 4
	v_cndmask_b32_e32 v59, v3, v13, vcc
	v_cndmask_b32_e32 v58, v2, v12, vcc
	s_branch .LBB137_67
.LBB137_62:
	ds_read_b32 v3, v25
	s_waitcnt lgkmcnt(0)
	ds_write_b32 v27, v3
	s_or_b64 exec, exec, s[14:15]
	s_and_saveexec_b64 s[4:5], s[6:7]
	s_cbranch_execz .LBB137_47
.LBB137_63:
	ds_read_b32 v3, v26
	s_waitcnt lgkmcnt(0)
	ds_write_b32 v27, v3 offset:4
	s_or_b64 exec, exec, s[4:5]
	s_and_saveexec_b64 s[4:5], s[8:9]
	s_cbranch_execz .LBB137_48
.LBB137_64:
	ds_read_b32 v3, v26 offset:132
	s_waitcnt lgkmcnt(0)
	ds_write_b32 v27, v3 offset:8
	s_or_b64 exec, exec, s[4:5]
	v_add_u32_e32 v28, 0x11c0, v28
	s_and_saveexec_b64 s[4:5], s[10:11]
	s_cbranch_execnz .LBB137_49
	s_branch .LBB137_50
.LBB137_65:
                                        ; implicit-def: $vgpr58_vgpr59
                                        ; implicit-def: $vgpr16
                                        ; implicit-def: $vgpr17
                                        ; implicit-def: $vgpr27
	s_cbranch_execz .LBB137_67
; %bb.66:
	flat_load_dword v14, v[12:13]
	s_lshl_b32 s6, s20, 3
	v_add_lshl_u32 v0, v22, v0, 2
	s_ashr_i32 s7, s6, 31
	v_lshl_add_u64 v[2:3], s[6:7], 2, v[12:13]
	s_ashr_i32 s21, s20, 31
	s_lshl_b64 s[6:7], s[20:21], 5
	v_add_u32_e32 v16, 8, v1
	v_add_u32_e32 v17, 16, v1
	;; [unrolled: 1-line block ×3, first 2 shown]
	v_mov_b64_e32 v[58:59], v[12:13]
	s_waitcnt vmcnt(0) lgkmcnt(0)
	ds_write_b32 v0, v14
	flat_load_dword v14, v[2:3]
	v_lshl_add_u64 v[2:3], v[2:3], 0, s[6:7]
	s_waitcnt vmcnt(0) lgkmcnt(0)
	ds_write_b32 v0, v14 offset:1056
	flat_load_dword v14, v[2:3]
	v_lshl_add_u64 v[2:3], v[2:3], 0, s[6:7]
	s_waitcnt vmcnt(0) lgkmcnt(0)
	ds_write_b32 v0, v14 offset:2112
	flat_load_dword v2, v[2:3]
	s_waitcnt vmcnt(0) lgkmcnt(0)
	ds_write_b32 v0, v2 offset:3168
.LBB137_67:
	v_add_lshl_u32 v15, v16, v20, 2
	v_lshlrev_b32_e32 v16, 2, v16
	v_add_lshl_u32 v22, v17, v20, 2
	v_lshlrev_b32_e32 v17, 2, v17
	;; [unrolled: 2-line block ×3, first 2 shown]
	s_waitcnt lgkmcnt(0)
	s_barrier
	ds_read_b32 v19, v19 offset:4544
	ds_read_b32 v14, v25
	ds_read_b32 v25, v23
	ds_read_b128 v[0:3], v28 offset:128
	ds_read2_b32 v[12:13], v26 offset1:33
	ds_read_b32 v26, v15
	ds_read_b32 v16, v16 offset:4544
	ds_read_b32 v22, v22
	ds_read_b32 v17, v17 offset:4544
	ds_read_b32 v20, v20
	ds_read_b32 v27, v27 offset:4544
	ds_read_b32 v15, v24
	s_waitcnt lgkmcnt(9)
	v_fma_f32 v19, v25, v19, 0
	s_waitcnt lgkmcnt(5)
	v_fmac_f32_e32 v19, v26, v16
	s_waitcnt lgkmcnt(3)
	v_fmac_f32_e32 v19, v22, v17
	;; [unrolled: 2-line block ×3, first 2 shown]
	s_waitcnt lgkmcnt(0)
	s_barrier
	ds_write_b32 v23, v19
	s_waitcnt lgkmcnt(0)
	s_barrier
	s_and_saveexec_b64 s[6:7], s[4:5]
	s_cbranch_execz .LBB137_69
; %bb.68:
	ds_read2_b32 v[16:17], v21 offset1:1
	ds_read2_b32 v[24:25], v21 offset0:2 offset1:3
	ds_read2_b32 v[26:27], v21 offset0:4 offset1:5
	;; [unrolled: 1-line block ×3, first 2 shown]
	s_waitcnt lgkmcnt(3)
	v_add_f32_e32 v7, v7, v16
	v_add_f32_e32 v7, v7, v17
	s_waitcnt lgkmcnt(2)
	v_add_f32_e32 v7, v7, v24
	v_add_f32_e32 v7, v7, v25
	;; [unrolled: 3-line block ×4, first 2 shown]
.LBB137_69:
	s_or_b64 exec, exec, s[6:7]
	v_fma_f32 v0, v14, v0, 0
	v_fmac_f32_e32 v0, v12, v1
	v_fmac_f32_e32 v0, v13, v2
	;; [unrolled: 1-line block ×3, first 2 shown]
	s_barrier
	ds_write_b32 v23, v0
	s_waitcnt lgkmcnt(0)
	s_barrier
	s_and_saveexec_b64 s[4:5], s[0:1]
	s_cbranch_execz .LBB137_71
; %bb.70:
	ds_read2_b32 v[0:1], v21 offset1:1
	ds_read2_b32 v[2:3], v21 offset0:2 offset1:3
	ds_read2_b32 v[12:13], v21 offset0:4 offset1:5
	;; [unrolled: 1-line block ×3, first 2 shown]
	s_waitcnt lgkmcnt(3)
	v_add_f32_e32 v0, v7, v0
	v_add_f32_e32 v0, v0, v1
	s_waitcnt lgkmcnt(2)
	v_add_f32_e32 v0, v0, v2
	v_add_f32_e32 v0, v0, v3
	;; [unrolled: 3-line block ×4, first 2 shown]
.LBB137_71:
	s_or_b64 exec, exec, s[4:5]
	s_mul_hi_u32 s0, s23, s22
	s_mul_i32 s37, s37, s22
	s_add_i32 s0, s0, s37
	s_mul_i32 s4, s23, s22
	s_mul_i32 s0, s0, s3
	s_mul_hi_u32 s1, s4, s3
	s_add_i32 s1, s1, s0
	s_mul_i32 s0, s4, s3
	s_lshl_b64 s[0:1], s[0:1], 2
	s_add_u32 s4, s26, s0
	s_addc_u32 s5, s27, s1
	s_mul_hi_i32 s1, s23, s2
	s_mul_i32 s0, s23, s2
	s_lshl_b64 s[0:1], s[0:1], 2
	s_add_u32 s6, s4, s0
	s_addc_u32 s7, s5, s1
	s_add_i32 s8, s2, 1
	s_cmp_ge_u32 s8, s3
	v_lshlrev_b32_e32 v74, 2, v6
	s_barrier
	s_cbranch_scc1 .LBB137_128
; %bb.72:
	s_mul_i32 s0, s24, s36
	s_ashr_i32 s1, s0, 31
	s_lshl_b64 s[0:1], s[0:1], 2
	v_and_b32_e32 v12, 48, v6
	v_lshlrev_b32_e32 v75, 2, v5
	v_subrev_co_u32_e32 v0, vcc, s0, v10
	v_and_b32_e32 v10, 15, v6
	v_lshlrev_b32_e32 v13, 2, v12
	s_movk_i32 s9, 0x10c
	v_mov_b32_e32 v1, s1
	v_mad_u64_u32 v[26:27], s[0:1], v75, s20, v[6:7]
	v_mad_u32_u24 v76, v10, s9, v13
	v_or_b32_e32 v13, 60, v74
	v_ashrrev_i32_e32 v27, 31, v26
	v_mad_u32_u24 v77, v10, s9, v13
	v_and_b32_e32 v13, 0x1fff0, v18
	s_lshl_b32 s25, s36, 6
	s_lshl_b32 s4, s20, 4
	v_mad_u32_u24 v78, v10, s9, v13
	s_ashr_i32 s21, s20, 31
	s_lshl_b32 s26, s20, 1
	s_mul_i32 s30, s20, 3
	v_mov_b32_e32 v13, 0x10c0
	s_mul_i32 s36, s36, s8
	v_add_u32_e32 v12, s24, v12
	v_lshlrev_b64 v[16:17], 2, v[26:27]
	s_lshl_b64 s[14:15], s[28:29], 2
	s_add_i32 s17, s3, -2
	s_ashr_i32 s5, s4, 31
	s_ashr_i32 s27, s26, 31
	;; [unrolled: 1-line block ×3, first 2 shown]
	v_lshl_add_u32 v79, v5, 4, v13
	s_lshl_b64 s[22:23], s[20:21], 2
	s_lshl_b32 s8, s36, 6
	v_add3_u32 v10, v12, v10, 64
	v_lshlrev_b64 v[12:13], 2, v[8:9]
	s_lshl_b64 s[34:35], s[20:21], 3
	v_mad_i64_i32 v[8:9], s[38:39], v8, -4, v[16:17]
	v_lshl_add_u64 v[16:17], s[28:29], 0, v[26:27]
	s_add_u32 s36, s34, s14
	v_lshlrev_b64 v[44:45], 2, v[16:17]
	s_addc_u32 s37, s35, s15
	s_lshl_b64 s[10:11], s[4:5], 4
	v_mad_i64_i32 v[16:17], s[38:39], s20, 12, v[44:45]
	s_add_u32 s38, s22, s14
	s_addc_u32 s39, s23, s15
	s_lshl_b64 s[26:27], s[26:27], 2
	s_add_u32 s40, s14, s26
	s_addc_u32 s41, s15, s27
	s_lshl_b64 s[30:31], s[30:31], 2
	v_lshl_add_u64 v[20:21], v[58:59], 0, s[40:41]
	s_add_u32 s40, s14, s30
	s_addc_u32 s41, s15, s31
	v_lshl_add_u64 v[22:23], v[58:59], 0, s[40:41]
	s_lshl_b64 s[40:41], s[4:5], 2
	s_add_u32 s42, s36, s40
	s_addc_u32 s43, s37, s41
	s_add_u32 s28, s28, s4
	s_addc_u32 s29, s29, s5
	v_lshl_add_u64 v[26:27], s[28:29], 0, v[26:27]
	v_lshlrev_b64 v[26:27], 2, v[26:27]
	v_mad_i64_i32 v[26:27], s[28:29], s20, 12, v[26:27]
	s_add_u32 s28, s38, s40
	s_addc_u32 s29, s39, s41
	v_lshl_add_u64 v[28:29], v[58:59], 0, s[28:29]
	s_add_u32 s28, s14, s40
	s_addc_u32 s29, s15, s41
	v_subb_co_u32_e32 v1, vcc, v11, v1, vcc
	v_lshrrev_b32_e32 v11, 4, v18
	v_cmp_gt_u32_e64 s[0:1], 64, v18
	v_lshl_add_u64 v[18:19], v[58:59], 0, s[38:39]
	s_add_u32 s38, s28, s26
	s_addc_u32 s39, s29, s27
	v_lshl_add_u64 v[30:31], v[58:59], 0, s[28:29]
	s_add_u32 s28, s28, s30
	s_addc_u32 s29, s29, s31
	v_lshl_add_u64 v[34:35], v[58:59], 0, s[28:29]
	s_lshl_b64 s[28:29], s[4:5], 3
	v_lshl_add_u64 v[14:15], v[58:59], 0, s[36:37]
	s_add_u32 s36, s36, s28
	s_mul_i32 s44, s20, 12
	s_addc_u32 s37, s37, s29
	s_mul_hi_i32 s24, s20, 12
	v_lshl_add_u64 v[36:37], v[58:59], 0, s[36:37]
	s_add_u32 s36, s44, s28
	s_addc_u32 s37, s24, s29
	v_lshl_add_u64 v[2:3], v[58:59], 0, s[14:15]
	s_add_u32 s14, s28, s14
	s_addc_u32 s15, s29, s15
	s_add_u32 s28, s14, s22
	s_addc_u32 s29, s15, s23
	v_lshl_add_u64 v[38:39], s[36:37], 0, v[44:45]
	s_add_u32 s36, s14, s26
	s_addc_u32 s37, s15, s27
	v_lshl_add_u64 v[32:33], v[58:59], 0, s[38:39]
	s_add_u32 s38, s14, s30
	s_addc_u32 s39, s15, s31
	s_mul_i32 s24, s20, 0xc0
	s_mul_hi_i32 s40, s4, 12
	s_add_u32 s34, s24, s34
	s_addc_u32 s35, s40, s35
	s_add_u32 s20, s20, s4
	s_addc_u32 s5, s21, s5
	v_mad_u64_u32 v[42:43], s[20:21], s20, 12, v[44:45]
	v_mov_b32_e32 v46, v43
	v_mad_u64_u32 v[46:47], s[20:21], s5, 12, v[46:47]
	v_mad_i64_i32 v[50:51], s[4:5], s4, 12, v[44:45]
	s_movk_i32 s9, 0x430
	v_mul_i32_i24_e32 v11, -12, v11
	v_sub_co_u32_e32 v12, vcc, 0, v12
	v_lshl_add_u64 v[40:41], s[34:35], 0, v[44:45]
	v_mov_b32_e32 v43, v46
	v_lshl_add_u64 v[44:45], v[50:51], 0, s[22:23]
	v_lshl_add_u64 v[46:47], v[58:59], 0, v[50:51]
	;; [unrolled: 1-line block ×4, first 2 shown]
	v_subb_co_u32_e32 v13, vcc, 0, v13, vcc
	v_lshl_add_u64 v[16:17], v[58:59], 0, v[16:17]
	v_lshl_add_u64 v[24:25], v[58:59], 0, s[42:43]
	;; [unrolled: 1-line block ×13, first 2 shown]
	v_add_u32_e32 v80, v78, v11
	v_add_u32_e32 v81, 0x10c0, v74
	;; [unrolled: 1-line block ×3, first 2 shown]
	v_or_b32_e32 v83, 1, v75
	v_or_b32_e32 v84, 2, v75
	;; [unrolled: 1-line block ×3, first 2 shown]
	v_mad_u32_u24 v86, v5, s9, v74
	v_add_u32_e32 v87, 16, v75
	v_add_u32_e32 v88, 17, v75
	;; [unrolled: 1-line block ×12, first 2 shown]
	s_cmp_eq_u32 s17, s2
	s_cselect_b32 s22, s33, 0
	s_and_saveexec_b64 s[4:5], s[12:13]
	s_cbranch_execz .LBB137_76
.LBB137_73:
	s_cmp_eq_u32 s22, 0
	s_cselect_b64 s[14:15], -1, 0
	v_cmp_gt_i32_e32 vcc, s22, v6
	s_or_b64 s[20:21], s[14:15], vcc
	v_mov_b32_e32 v11, 0
	s_and_saveexec_b64 s[14:15], s[20:21]
	s_cbranch_execz .LBB137_75
; %bb.74:
	s_ashr_i32 s9, s8, 31
	v_lshl_add_u64 v[60:61], s[8:9], 2, v[0:1]
	flat_load_dword v11, v[60:61]
.LBB137_75:
	s_or_b64 exec, exec, s[14:15]
	s_waitcnt vmcnt(0) lgkmcnt(0)
	ds_write_b32 v81, v11
.LBB137_76:                             ; =>This Inner Loop Header: Depth=1
	s_or_b64 exec, exec, s[4:5]
	s_cmp_eq_u32 s22, 0
	s_cselect_b64 s[14:15], -1, 0
	s_cmp_lg_u32 s22, 0
	s_cselect_b64 s[20:21], -1, 0
	v_lshl_add_u64 v[60:61], v[2:3], 0, v[8:9]
	s_and_b64 vcc, exec, s[20:21]
	s_waitcnt lgkmcnt(0)
	s_barrier
	s_cbranch_vccz .LBB137_124
; %bb.77:                               ;   in Loop: Header=BB137_76 Depth=1
	v_cmp_gt_i32_e32 vcc, s22, v75
	v_mov_b32_e32 v99, 0
	v_mov_b32_e32 v100, 0
	s_and_saveexec_b64 s[4:5], vcc
	s_cbranch_execz .LBB137_79
; %bb.78:                               ;   in Loop: Header=BB137_76 Depth=1
	flat_load_dword v100, v[60:61]
.LBB137_79:                             ;   in Loop: Header=BB137_76 Depth=1
	s_or_b64 exec, exec, s[4:5]
	v_cmp_gt_i32_e32 vcc, s22, v83
	s_and_saveexec_b64 s[4:5], vcc
	s_cbranch_execz .LBB137_81
; %bb.80:                               ;   in Loop: Header=BB137_76 Depth=1
	v_lshl_add_u64 v[62:63], v[18:19], 0, v[8:9]
	flat_load_dword v99, v[62:63]
.LBB137_81:                             ;   in Loop: Header=BB137_76 Depth=1
	s_or_b64 exec, exec, s[4:5]
	v_cmp_gt_i32_e32 vcc, s22, v84
	v_mov_b32_e32 v101, 0
	v_mov_b32_e32 v102, 0
	s_and_saveexec_b64 s[4:5], vcc
	s_cbranch_execz .LBB137_83
; %bb.82:                               ;   in Loop: Header=BB137_76 Depth=1
	v_lshl_add_u64 v[62:63], v[20:21], 0, v[8:9]
	flat_load_dword v102, v[62:63]
.LBB137_83:                             ;   in Loop: Header=BB137_76 Depth=1
	s_or_b64 exec, exec, s[4:5]
	v_cmp_gt_i32_e32 vcc, s22, v85
	s_and_saveexec_b64 s[4:5], vcc
	s_cbranch_execz .LBB137_85
; %bb.84:                               ;   in Loop: Header=BB137_76 Depth=1
	v_lshl_add_u64 v[62:63], v[22:23], 0, v[8:9]
	flat_load_dword v101, v[62:63]
.LBB137_85:                             ;   in Loop: Header=BB137_76 Depth=1
	s_or_b64 exec, exec, s[4:5]
	s_branch .LBB137_87
.LBB137_86:                             ;   in Loop: Header=BB137_76 Depth=1
	s_waitcnt vmcnt(0) lgkmcnt(0)
	flat_load_dword v100, v[60:61]
	v_lshl_add_u64 v[60:61], v[18:19], 0, v[8:9]
	flat_load_dword v99, v[60:61]
	v_lshl_add_u64 v[60:61], v[14:15], 0, v[8:9]
	;; [unrolled: 2-line block ×3, first 2 shown]
	flat_load_dword v101, v[60:61]
.LBB137_87:                             ;   in Loop: Header=BB137_76 Depth=1
	ds_read_b32 v11, v82
	ds_read_b32 v103, v79
	s_andn2_b64 vcc, exec, s[20:21]
	v_lshl_add_u64 v[64:65], v[30:31], 0, v[8:9]
	s_waitcnt vmcnt(0) lgkmcnt(0)
	v_mul_f32_e32 v60, v100, v11
	v_mul_f32_e32 v61, v99, v11
	ds_write_b32 v86, v60
	v_mul_f32_e32 v62, v102, v11
	ds_read_b32 v104, v79 offset:4
	ds_write_b32 v86, v61 offset:268
	ds_read_b32 v105, v79 offset:8
	ds_write_b32 v86, v62 offset:536
	v_mul_f32_e32 v11, v101, v11
	ds_read_b32 v106, v79 offset:12
	ds_write_b32 v86, v11 offset:804
	s_waitcnt lgkmcnt(0)
	s_barrier
	ds_read2_b32 v[62:63], v78 offset1:1
	ds_read2_b32 v[60:61], v78 offset0:2 offset1:3
	v_cndmask_b32_e64 v11, 0, 1, s[20:21]
	v_cmp_ne_u32_e64 s[4:5], 1, v11
	s_waitcnt lgkmcnt(0)
	s_barrier
	s_cbranch_vccnz .LBB137_125
; %bb.88:                               ;   in Loop: Header=BB137_76 Depth=1
	v_cmp_gt_i32_e32 vcc, s22, v87
	v_mov_b32_e32 v107, 0
	v_mov_b32_e32 v108, 0
	s_and_saveexec_b64 s[20:21], vcc
	s_cbranch_execz .LBB137_90
; %bb.89:                               ;   in Loop: Header=BB137_76 Depth=1
	flat_load_dword v108, v[64:65]
.LBB137_90:                             ;   in Loop: Header=BB137_76 Depth=1
	s_or_b64 exec, exec, s[20:21]
	v_cmp_gt_i32_e32 vcc, s22, v88
	s_and_saveexec_b64 s[20:21], vcc
	s_cbranch_execz .LBB137_92
; %bb.91:                               ;   in Loop: Header=BB137_76 Depth=1
	v_lshl_add_u64 v[66:67], v[28:29], 0, v[8:9]
	flat_load_dword v107, v[66:67]
.LBB137_92:                             ;   in Loop: Header=BB137_76 Depth=1
	s_or_b64 exec, exec, s[20:21]
	v_cmp_gt_i32_e32 vcc, s22, v89
	v_mov_b32_e32 v109, 0
	v_mov_b32_e32 v110, 0
	s_and_saveexec_b64 s[20:21], vcc
	s_cbranch_execz .LBB137_94
; %bb.93:                               ;   in Loop: Header=BB137_76 Depth=1
	v_lshl_add_u64 v[66:67], v[32:33], 0, v[8:9]
	flat_load_dword v110, v[66:67]
.LBB137_94:                             ;   in Loop: Header=BB137_76 Depth=1
	s_or_b64 exec, exec, s[20:21]
	v_cmp_gt_i32_e32 vcc, s22, v90
	s_and_saveexec_b64 s[20:21], vcc
	s_cbranch_execz .LBB137_96
; %bb.95:                               ;   in Loop: Header=BB137_76 Depth=1
	v_lshl_add_u64 v[66:67], v[34:35], 0, v[8:9]
	flat_load_dword v109, v[66:67]
.LBB137_96:                             ;   in Loop: Header=BB137_76 Depth=1
	s_or_b64 exec, exec, s[20:21]
	s_branch .LBB137_98
.LBB137_97:                             ;   in Loop: Header=BB137_76 Depth=1
	s_waitcnt vmcnt(0) lgkmcnt(0)
	flat_load_dword v108, v[64:65]
	v_lshl_add_u64 v[64:65], v[28:29], 0, v[8:9]
	flat_load_dword v107, v[64:65]
	v_lshl_add_u64 v[64:65], v[24:25], 0, v[8:9]
	;; [unrolled: 2-line block ×3, first 2 shown]
	flat_load_dword v109, v[64:65]
.LBB137_98:                             ;   in Loop: Header=BB137_76 Depth=1
	ds_read_b32 v11, v82
	ds_read_b32 v111, v79 offset:64
	s_and_b64 vcc, exec, s[4:5]
	v_lshl_add_u64 v[68:69], v[54:55], 0, v[8:9]
	s_waitcnt vmcnt(0) lgkmcnt(0)
	v_mul_f32_e32 v64, v108, v11
	v_mul_f32_e32 v65, v107, v11
	ds_write_b32 v86, v64
	v_mul_f32_e32 v66, v110, v11
	ds_read_b32 v112, v79 offset:68
	ds_write_b32 v86, v65 offset:268
	ds_read_b32 v113, v79 offset:72
	ds_write_b32 v86, v66 offset:536
	v_mul_f32_e32 v11, v109, v11
	ds_read_b32 v114, v79 offset:76
	ds_write_b32 v86, v11 offset:804
	s_waitcnt lgkmcnt(0)
	s_barrier
	ds_read2_b32 v[66:67], v78 offset1:1
	ds_read2_b32 v[64:65], v78 offset0:2 offset1:3
	s_waitcnt lgkmcnt(0)
	s_barrier
	s_cbranch_vccnz .LBB137_126
; %bb.99:                               ;   in Loop: Header=BB137_76 Depth=1
	v_cmp_gt_i32_e32 vcc, s22, v91
	v_mov_b32_e32 v115, 0
	v_mov_b32_e32 v116, 0
	s_and_saveexec_b64 s[20:21], vcc
	s_cbranch_execz .LBB137_101
; %bb.100:                              ;   in Loop: Header=BB137_76 Depth=1
	flat_load_dword v116, v[68:69]
.LBB137_101:                            ;   in Loop: Header=BB137_76 Depth=1
	s_or_b64 exec, exec, s[20:21]
	v_cmp_gt_i32_e32 vcc, s22, v92
	s_and_saveexec_b64 s[20:21], vcc
	s_cbranch_execz .LBB137_103
; %bb.102:                              ;   in Loop: Header=BB137_76 Depth=1
	v_lshl_add_u64 v[70:71], v[52:53], 0, v[8:9]
	flat_load_dword v115, v[70:71]
.LBB137_103:                            ;   in Loop: Header=BB137_76 Depth=1
	s_or_b64 exec, exec, s[20:21]
	v_cmp_gt_i32_e32 vcc, s22, v93
	v_mov_b32_e32 v117, 0
	v_mov_b32_e32 v118, 0
	s_and_saveexec_b64 s[20:21], vcc
	s_cbranch_execz .LBB137_105
; %bb.104:                              ;   in Loop: Header=BB137_76 Depth=1
	v_lshl_add_u64 v[70:71], v[56:57], 0, v[8:9]
	flat_load_dword v118, v[70:71]
.LBB137_105:                            ;   in Loop: Header=BB137_76 Depth=1
	s_or_b64 exec, exec, s[20:21]
	v_cmp_gt_i32_e32 vcc, s22, v94
	s_and_saveexec_b64 s[20:21], vcc
	s_cbranch_execz .LBB137_107
; %bb.106:                              ;   in Loop: Header=BB137_76 Depth=1
	v_lshl_add_u64 v[70:71], v[58:59], 0, v[8:9]
	flat_load_dword v117, v[70:71]
.LBB137_107:                            ;   in Loop: Header=BB137_76 Depth=1
	s_or_b64 exec, exec, s[20:21]
	s_branch .LBB137_109
.LBB137_108:                            ;   in Loop: Header=BB137_76 Depth=1
	s_waitcnt vmcnt(0) lgkmcnt(0)
	flat_load_dword v116, v[68:69]
	v_lshl_add_u64 v[68:69], v[52:53], 0, v[8:9]
	flat_load_dword v115, v[68:69]
	v_lshl_add_u64 v[68:69], v[36:37], 0, v[8:9]
	;; [unrolled: 2-line block ×3, first 2 shown]
	flat_load_dword v117, v[68:69]
.LBB137_109:                            ;   in Loop: Header=BB137_76 Depth=1
	ds_read_b32 v11, v82
	ds_read_b32 v119, v79 offset:128
	s_and_b64 vcc, exec, s[4:5]
	v_lshl_add_u64 v[72:73], v[46:47], 0, v[12:13]
	s_waitcnt vmcnt(0) lgkmcnt(0)
	v_mul_f32_e32 v68, v116, v11
	v_mul_f32_e32 v69, v115, v11
	ds_write_b32 v86, v68
	v_mul_f32_e32 v70, v118, v11
	ds_read_b32 v120, v79 offset:132
	ds_write_b32 v86, v69 offset:268
	ds_read_b32 v121, v79 offset:136
	ds_write_b32 v86, v70 offset:536
	v_mul_f32_e32 v11, v117, v11
	ds_read_b32 v122, v79 offset:140
	ds_write_b32 v86, v11 offset:804
	s_waitcnt lgkmcnt(0)
	s_barrier
	ds_read2_b32 v[70:71], v78 offset1:1
	ds_read2_b32 v[68:69], v78 offset0:2 offset1:3
	s_waitcnt lgkmcnt(0)
	s_barrier
	s_cbranch_vccnz .LBB137_127
; %bb.110:                              ;   in Loop: Header=BB137_76 Depth=1
	v_cmp_gt_i32_e32 vcc, s22, v95
	v_mov_b32_e32 v123, 0
	v_mov_b32_e32 v124, 0
	s_and_saveexec_b64 s[4:5], vcc
	s_cbranch_execz .LBB137_112
; %bb.111:                              ;   in Loop: Header=BB137_76 Depth=1
	flat_load_dword v124, v[72:73]
.LBB137_112:                            ;   in Loop: Header=BB137_76 Depth=1
	s_or_b64 exec, exec, s[4:5]
	v_cmp_gt_i32_e32 vcc, s22, v96
	s_and_saveexec_b64 s[4:5], vcc
	s_cbranch_execz .LBB137_114
; %bb.113:                              ;   in Loop: Header=BB137_76 Depth=1
	v_lshl_add_u64 v[126:127], v[44:45], 0, v[12:13]
	flat_load_dword v123, v[126:127]
.LBB137_114:                            ;   in Loop: Header=BB137_76 Depth=1
	s_or_b64 exec, exec, s[4:5]
	v_cmp_gt_i32_e32 vcc, s22, v97
	v_mov_b32_e32 v125, 0
	v_mov_b32_e32 v126, 0
	s_and_saveexec_b64 s[4:5], vcc
	s_cbranch_execz .LBB137_116
; %bb.115:                              ;   in Loop: Header=BB137_76 Depth=1
	v_lshl_add_u64 v[126:127], v[48:49], 0, v[12:13]
	flat_load_dword v126, v[126:127]
.LBB137_116:                            ;   in Loop: Header=BB137_76 Depth=1
	s_or_b64 exec, exec, s[4:5]
	v_cmp_gt_i32_e32 vcc, s22, v98
	s_and_saveexec_b64 s[4:5], vcc
	s_cbranch_execz .LBB137_118
; %bb.117:                              ;   in Loop: Header=BB137_76 Depth=1
	v_lshl_add_u64 v[128:129], v[50:51], 0, v[12:13]
	flat_load_dword v125, v[128:129]
.LBB137_118:                            ;   in Loop: Header=BB137_76 Depth=1
	s_or_b64 exec, exec, s[4:5]
	s_branch .LBB137_120
.LBB137_119:                            ;   in Loop: Header=BB137_76 Depth=1
	s_waitcnt vmcnt(0) lgkmcnt(0)
	flat_load_dword v124, v[72:73]
	v_lshl_add_u64 v[72:73], v[44:45], 0, v[12:13]
	flat_load_dword v123, v[72:73]
	v_lshl_add_u64 v[72:73], v[40:41], 0, v[12:13]
	;; [unrolled: 2-line block ×3, first 2 shown]
	flat_load_dword v125, v[72:73]
.LBB137_120:                            ;   in Loop: Header=BB137_76 Depth=1
	v_add_f32_e32 v66, 0, v66
	v_add_f32_e32 v66, v66, v67
	ds_read_b32 v67, v82
	v_add_f32_e32 v64, v66, v64
	v_add_f32_e32 v11, 0, v70
	;; [unrolled: 1-line block ×4, first 2 shown]
	ds_read_b32 v62, v79 offset:192
	s_waitcnt vmcnt(0) lgkmcnt(0)
	v_mul_f32_e32 v64, v124, v67
	ds_write_b32 v86, v64
	v_mul_f32_e32 v65, v123, v67
	v_add_f32_e32 v11, v11, v71
	ds_read_b32 v64, v79 offset:196
	ds_write_b32 v86, v65 offset:268
	v_mul_f32_e32 v66, v126, v67
	v_add_f32_e32 v11, v11, v68
	ds_read_b32 v65, v79 offset:200
	ds_write_b32 v86, v66 offset:536
	;; [unrolled: 4-line block ×3, first 2 shown]
	s_waitcnt lgkmcnt(0)
	s_barrier
	ds_read2_b32 v[68:69], v78 offset1:1
	v_add_f32_e32 v63, v70, v63
	ds_read2_b32 v[70:71], v78 offset0:2 offset1:3
	v_add_f32_e32 v60, v63, v60
	v_add_f32_e32 v60, v60, v61
	s_waitcnt lgkmcnt(1)
	v_add_f32_e32 v61, 0, v68
	v_cmp_gt_i32_e32 vcc, s22, v6
	v_add_f32_e32 v61, v61, v69
	s_or_b64 s[4:5], s[14:15], vcc
	s_waitcnt lgkmcnt(0)
	v_add_f32_e32 v61, v61, v70
	s_and_b64 s[14:15], s[0:1], s[4:5]
	v_add_f32_e32 v61, v61, v71
	s_barrier
	ds_write2_b32 v80, v60, v72 offset1:16
	ds_write2_b32 v80, v11, v61 offset0:32 offset1:48
	s_waitcnt lgkmcnt(0)
	s_barrier
	s_and_saveexec_b64 s[4:5], s[14:15]
	s_cbranch_execz .LBB137_122
; %bb.121:                              ;   in Loop: Header=BB137_76 Depth=1
	ds_read2_b32 v[60:61], v76 offset1:1
	ds_read2_b32 v[68:69], v76 offset0:2 offset1:3
	ds_read2_b32 v[70:71], v76 offset0:4 offset1:5
	;; [unrolled: 1-line block ×3, first 2 shown]
	s_waitcnt lgkmcnt(3)
	v_add_f32_e32 v11, v60, v61
	s_waitcnt lgkmcnt(2)
	v_add_f32_e32 v11, v11, v68
	v_add_f32_e32 v11, v11, v69
	ds_read2_b32 v[60:61], v76 offset0:8 offset1:9
	s_waitcnt lgkmcnt(2)
	v_add_f32_e32 v11, v11, v70
	v_add_f32_e32 v11, v11, v71
	s_waitcnt lgkmcnt(1)
	v_add_f32_e32 v11, v11, v72
	v_add_f32_e32 v11, v11, v73
	ds_read2_b32 v[68:69], v76 offset0:10 offset1:11
	ds_read2_b32 v[70:71], v76 offset0:12 offset1:13
	ds_read_b32 v63, v76 offset:56
	s_waitcnt lgkmcnt(3)
	v_add_f32_e32 v11, v11, v60
	v_add_f32_e32 v11, v11, v61
	s_waitcnt lgkmcnt(2)
	v_add_f32_e32 v11, v11, v68
	ds_read_b32 v60, v77
	v_add_f32_e32 v11, v11, v69
	s_waitcnt lgkmcnt(2)
	v_add_f32_e32 v11, v11, v70
	v_add_f32_e32 v11, v11, v71
	s_waitcnt lgkmcnt(1)
	v_add_f32_e32 v11, v11, v63
	s_waitcnt lgkmcnt(0)
	v_add_f32_e32 v63, v11, v60
	v_ashrrev_i32_e32 v11, 31, v10
	v_lshl_add_u64 v[60:61], v[10:11], 2, s[6:7]
	global_store_dword v[60:61], v63, off
.LBB137_122:                            ;   in Loop: Header=BB137_76 Depth=1
	s_or_b64 exec, exec, s[4:5]
	v_fmac_f32_e32 v7, v100, v103
	v_fmac_f32_e32 v7, v99, v104
	;; [unrolled: 1-line block ×15, first 2 shown]
	s_add_i32 s4, s2, 1
	s_add_i32 s8, s8, s25
	;; [unrolled: 1-line block ×3, first 2 shown]
	v_fmac_f32_e32 v7, v125, v66
	v_add_u32_e32 v10, 64, v10
	v_lshl_add_u64 v[14:15], v[14:15], 0, s[10:11]
	v_lshl_add_u64 v[16:17], v[16:17], 0, s[10:11]
	;; [unrolled: 1-line block ×23, first 2 shown]
	s_cmp_ge_u32 s2, s3
	v_lshl_add_u64 v[50:51], v[50:51], 0, s[10:11]
	s_barrier
	s_cbranch_scc1 .LBB137_128
; %bb.123:                              ;   in Loop: Header=BB137_76 Depth=1
	s_mov_b32 s2, s4
	s_cmp_eq_u32 s17, s2
	s_cselect_b32 s22, s33, 0
	s_and_saveexec_b64 s[4:5], s[12:13]
	s_cbranch_execnz .LBB137_73
	s_branch .LBB137_76
.LBB137_124:                            ;   in Loop: Header=BB137_76 Depth=1
                                        ; implicit-def: $vgpr101
                                        ; implicit-def: $vgpr102
                                        ; implicit-def: $vgpr99
                                        ; implicit-def: $vgpr100
	s_cbranch_execnz .LBB137_86
	s_branch .LBB137_87
.LBB137_125:                            ;   in Loop: Header=BB137_76 Depth=1
                                        ; implicit-def: $vgpr109
                                        ; implicit-def: $vgpr110
                                        ; implicit-def: $vgpr107
                                        ; implicit-def: $vgpr108
	s_cbranch_execnz .LBB137_97
	s_branch .LBB137_98
.LBB137_126:                            ;   in Loop: Header=BB137_76 Depth=1
                                        ; implicit-def: $vgpr117
                                        ; implicit-def: $vgpr118
                                        ; implicit-def: $vgpr115
                                        ; implicit-def: $vgpr116
	s_cbranch_execnz .LBB137_108
	s_branch .LBB137_109
.LBB137_127:                            ;   in Loop: Header=BB137_76 Depth=1
                                        ; implicit-def: $vgpr125
                                        ; implicit-def: $vgpr126
                                        ; implicit-def: $vgpr123
                                        ; implicit-def: $vgpr124
	s_cbranch_execnz .LBB137_119
	s_branch .LBB137_120
.LBB137_128:
	s_movk_i32 s0, 0x10c
	v_cmp_gt_i32_e32 vcc, s16, v6
	v_mad_u32_u24 v0, v5, s0, v74
	s_or_b64 s[0:1], s[18:19], vcc
	s_and_b64 s[0:1], s[12:13], s[0:1]
	ds_write_b32 v0, v7
	s_waitcnt lgkmcnt(0)
	s_barrier
	s_and_saveexec_b64 s[2:3], s[0:1]
	s_cbranch_execz .LBB137_130
; %bb.129:
	ds_read2_b32 v[0:1], v74 offset1:67
	ds_read2_b32 v[2:3], v74 offset0:134 offset1:201
	v_ashrrev_i32_e32 v5, 31, v4
	s_waitcnt lgkmcnt(1)
	v_add_f32_e32 v0, v0, v1
	s_waitcnt lgkmcnt(0)
	v_add_f32_e32 v0, v0, v2
	v_add_f32_e32 v2, v0, v3
	v_lshl_add_u64 v[0:1], v[4:5], 2, s[6:7]
	global_store_dword v[0:1], v2, off
.LBB137_130:
	s_endpgm
	.section	.rodata,"a",@progbits
	.p2align	6, 0x0
	.amdhsa_kernel _ZL26rocblas_hemvn_kernel_upperILb0ELi64ELi4ELi33ELi32ELi16EiPKfPKS1_PfEviT6_lT7_lT5_lS6_lS7_lS5_lT8_i
		.amdhsa_group_segment_fixed_size 4800
		.amdhsa_private_segment_fixed_size 0
		.amdhsa_kernarg_size 376
		.amdhsa_user_sgpr_count 2
		.amdhsa_user_sgpr_dispatch_ptr 0
		.amdhsa_user_sgpr_queue_ptr 0
		.amdhsa_user_sgpr_kernarg_segment_ptr 1
		.amdhsa_user_sgpr_dispatch_id 0
		.amdhsa_user_sgpr_kernarg_preload_length 0
		.amdhsa_user_sgpr_kernarg_preload_offset 0
		.amdhsa_user_sgpr_private_segment_size 0
		.amdhsa_uses_dynamic_stack 0
		.amdhsa_enable_private_segment 0
		.amdhsa_system_sgpr_workgroup_id_x 1
		.amdhsa_system_sgpr_workgroup_id_y 0
		.amdhsa_system_sgpr_workgroup_id_z 1
		.amdhsa_system_sgpr_workgroup_info 0
		.amdhsa_system_vgpr_workitem_id 1
		.amdhsa_next_free_vgpr 130
		.amdhsa_next_free_sgpr 45
		.amdhsa_accum_offset 132
		.amdhsa_reserve_vcc 1
		.amdhsa_float_round_mode_32 0
		.amdhsa_float_round_mode_16_64 0
		.amdhsa_float_denorm_mode_32 3
		.amdhsa_float_denorm_mode_16_64 3
		.amdhsa_dx10_clamp 1
		.amdhsa_ieee_mode 1
		.amdhsa_fp16_overflow 0
		.amdhsa_tg_split 0
		.amdhsa_exception_fp_ieee_invalid_op 0
		.amdhsa_exception_fp_denorm_src 0
		.amdhsa_exception_fp_ieee_div_zero 0
		.amdhsa_exception_fp_ieee_overflow 0
		.amdhsa_exception_fp_ieee_underflow 0
		.amdhsa_exception_fp_ieee_inexact 0
		.amdhsa_exception_int_div_zero 0
	.end_amdhsa_kernel
	.section	.text._ZL26rocblas_hemvn_kernel_upperILb0ELi64ELi4ELi33ELi32ELi16EiPKfPKS1_PfEviT6_lT7_lT5_lS6_lS7_lS5_lT8_i,"axG",@progbits,_ZL26rocblas_hemvn_kernel_upperILb0ELi64ELi4ELi33ELi32ELi16EiPKfPKS1_PfEviT6_lT7_lT5_lS6_lS7_lS5_lT8_i,comdat
.Lfunc_end137:
	.size	_ZL26rocblas_hemvn_kernel_upperILb0ELi64ELi4ELi33ELi32ELi16EiPKfPKS1_PfEviT6_lT7_lT5_lS6_lS7_lS5_lT8_i, .Lfunc_end137-_ZL26rocblas_hemvn_kernel_upperILb0ELi64ELi4ELi33ELi32ELi16EiPKfPKS1_PfEviT6_lT7_lT5_lS6_lS7_lS5_lT8_i
                                        ; -- End function
	.section	.AMDGPU.csdata,"",@progbits
; Kernel info:
; codeLenInByte = 6632
; NumSgprs: 51
; NumVgprs: 130
; NumAgprs: 0
; TotalNumVgprs: 130
; ScratchSize: 0
; MemoryBound: 0
; FloatMode: 240
; IeeeMode: 1
; LDSByteSize: 4800 bytes/workgroup (compile time only)
; SGPRBlocks: 6
; VGPRBlocks: 16
; NumSGPRsForWavesPerEU: 51
; NumVGPRsForWavesPerEU: 130
; AccumOffset: 132
; Occupancy: 3
; WaveLimiterHint : 1
; COMPUTE_PGM_RSRC2:SCRATCH_EN: 0
; COMPUTE_PGM_RSRC2:USER_SGPR: 2
; COMPUTE_PGM_RSRC2:TRAP_HANDLER: 0
; COMPUTE_PGM_RSRC2:TGID_X_EN: 1
; COMPUTE_PGM_RSRC2:TGID_Y_EN: 0
; COMPUTE_PGM_RSRC2:TGID_Z_EN: 1
; COMPUTE_PGM_RSRC2:TIDIG_COMP_CNT: 1
; COMPUTE_PGM_RSRC3_GFX90A:ACCUM_OFFSET: 32
; COMPUTE_PGM_RSRC3_GFX90A:TG_SPLIT: 0
	.section	.text._ZL36rocblas_hemvn_kernel_upper_block_sumILi64EiPKfPKPffEviT1_lS5_lT2_lT0_lPT3_i,"axG",@progbits,_ZL36rocblas_hemvn_kernel_upper_block_sumILi64EiPKfPKPffEviT1_lS5_lT2_lT0_lPT3_i,comdat
	.globl	_ZL36rocblas_hemvn_kernel_upper_block_sumILi64EiPKfPKPffEviT1_lS5_lT2_lT0_lPT3_i ; -- Begin function _ZL36rocblas_hemvn_kernel_upper_block_sumILi64EiPKfPKPffEviT1_lS5_lT2_lT0_lPT3_i
	.p2align	8
	.type	_ZL36rocblas_hemvn_kernel_upper_block_sumILi64EiPKfPKPffEviT1_lS5_lT2_lT0_lPT3_i,@function
_ZL36rocblas_hemvn_kernel_upper_block_sumILi64EiPKfPKPffEviT1_lS5_lT2_lT0_lPT3_i: ; @_ZL36rocblas_hemvn_kernel_upper_block_sumILi64EiPKfPKPffEviT1_lS5_lT2_lT0_lPT3_i
; %bb.0:
	s_load_dwordx8 s[12:19], s[0:1], 0x8
	s_mov_b32 s10, s3
	s_waitcnt lgkmcnt(0)
	s_mul_i32 s3, s3, s15
	s_mul_hi_u32 s4, s10, s14
	s_add_i32 s5, s4, s3
	s_mul_i32 s4, s10, s14
	s_lshl_b64 s[4:5], s[4:5], 2
	s_add_u32 s4, s12, s4
	s_addc_u32 s5, s13, s5
	s_load_dword s3, s[4:5], 0x0
	s_mul_i32 s4, s10, s19
	s_mul_hi_u32 s5, s10, s18
	s_add_i32 s5, s5, s4
	s_mul_i32 s4, s10, s18
	s_lshl_b64 s[4:5], s[4:5], 2
	s_add_u32 s4, s16, s4
	s_addc_u32 s5, s17, s5
	s_load_dword s18, s[4:5], 0x0
	s_waitcnt lgkmcnt(0)
	v_cmp_eq_f32_e64 s[4:5], s3, 0
	v_cmp_eq_f32_e64 s[6:7], s18, 1.0
	s_and_b64 s[4:5], s[4:5], s[6:7]
	s_and_b64 vcc, exec, s[4:5]
	s_cbranch_vccnz .LBB138_19
; %bb.1:
	s_load_dwordx4 s[4:7], s[0:1], 0x28
	s_mov_b32 s11, 0
	s_lshl_b64 s[8:9], s[10:11], 3
	s_load_dword s19, s[0:1], 0x38
	s_load_dword s12, s[0:1], 0x0
	v_lshl_or_b32 v0, s2, 6, v0
	s_waitcnt lgkmcnt(0)
	s_add_u32 s4, s4, s8
	s_addc_u32 s5, s5, s9
	s_load_dwordx2 s[4:5], s[4:5], 0x0
	s_lshl_b64 s[6:7], s[6:7], 2
	v_cmp_neq_f32_e64 s[8:9], s3, 0
	s_waitcnt lgkmcnt(0)
	s_add_u32 s6, s4, s6
	s_addc_u32 s7, s5, s7
	s_and_b64 vcc, exec, s[8:9]
	v_cmp_gt_i32_e64 s[4:5], s12, v0
	s_cbranch_vccnz .LBB138_6
; %bb.2:
	s_mov_b64 s[14:15], 0
	s_mov_b64 s[8:9], 0
                                        ; implicit-def: $vgpr4
                                        ; implicit-def: $vgpr2_vgpr3
	s_and_saveexec_b64 s[16:17], s[4:5]
	s_cbranch_execz .LBB138_7
; %bb.3:
	v_cmp_eq_f32_e64 s[4:5], s18, 0
	v_mul_lo_u32 v2, v0, s19
	v_mov_b32_e32 v4, 0
	v_ashrrev_i32_e32 v3, 31, v2
	s_and_b64 vcc, exec, s[4:5]
	s_cbranch_vccnz .LBB138_5
; %bb.4:
	v_lshl_add_u64 v[4:5], v[2:3], 2, s[6:7]
	global_load_dword v1, v[4:5], off
	s_waitcnt vmcnt(0)
	v_mul_f32_e32 v4, s18, v1
.LBB138_5:
	s_mov_b64 s[8:9], exec
	s_or_b64 exec, exec, s[16:17]
	s_and_b64 vcc, exec, s[14:15]
	s_cbranch_vccnz .LBB138_8
	s_branch .LBB138_17
.LBB138_6:
	s_mov_b64 s[8:9], 0
                                        ; implicit-def: $vgpr4
                                        ; implicit-def: $vgpr2_vgpr3
	s_cbranch_execnz .LBB138_8
	s_branch .LBB138_17
.LBB138_7:
	s_or_b64 exec, exec, s[16:17]
	s_and_b64 vcc, exec, s[14:15]
	s_cbranch_vccz .LBB138_17
.LBB138_8:
	v_cmp_gt_i32_e32 vcc, s12, v0
                                        ; implicit-def: $vgpr4
                                        ; implicit-def: $vgpr2_vgpr3
	s_and_saveexec_b64 s[4:5], vcc
	s_cbranch_execz .LBB138_16
; %bb.9:
	s_cmp_lt_i32 s2, 0
	v_mov_b32_e32 v1, 0
	s_cbranch_scc1 .LBB138_12
; %bb.10:
	s_load_dwordx2 s[14:15], s[0:1], 0x48
	s_load_dword s11, s[0:1], 0x58
	s_ashr_i32 s13, s12, 31
	s_mul_hi_u32 s0, s12, s10
	s_mul_i32 s1, s13, s10
	s_add_i32 s0, s0, s1
	s_mul_i32 s10, s12, s10
	s_waitcnt lgkmcnt(0)
	s_mul_i32 s0, s0, s11
	s_mul_hi_u32 s1, s10, s11
	s_add_i32 s1, s1, s0
	s_mul_i32 s0, s10, s11
	s_lshl_b64 s[0:1], s[0:1], 2
	s_add_u32 s0, s14, s0
	s_addc_u32 s1, s15, s1
	v_mov_b32_e32 v1, 0
	v_lshl_add_u64 v[2:3], v[0:1], 2, s[0:1]
	s_add_i32 s2, s2, 1
	s_lshl_b64 s[0:1], s[12:13], 2
.LBB138_11:                             ; =>This Inner Loop Header: Depth=1
	global_load_dword v4, v[2:3], off
	s_add_i32 s2, s2, -1
	v_lshl_add_u64 v[2:3], v[2:3], 0, s[0:1]
	s_cmp_eq_u32 s2, 0
	s_waitcnt vmcnt(0)
	v_add_f32_e32 v1, v1, v4
	s_cbranch_scc0 .LBB138_11
.LBB138_12:
	v_cmp_eq_f32_e64 s[0:1], s18, 0
	v_mul_lo_u32 v2, v0, s19
	s_and_b64 vcc, exec, s[0:1]
	v_ashrrev_i32_e32 v3, 31, v2
	s_cbranch_vccz .LBB138_20
; %bb.13:
	v_mul_f32_e32 v4, s3, v1
	s_cbranch_execnz .LBB138_15
.LBB138_14:
	v_lshl_add_u64 v[4:5], v[2:3], 2, s[6:7]
	global_load_dword v0, v[4:5], off
	s_waitcnt vmcnt(0)
	v_mul_f32_e32 v4, s18, v0
	v_fmac_f32_e32 v4, s3, v1
.LBB138_15:
	s_or_b64 s[8:9], s[8:9], exec
.LBB138_16:
	s_or_b64 exec, exec, s[4:5]
.LBB138_17:
	s_and_saveexec_b64 s[0:1], s[8:9]
	s_cbranch_execz .LBB138_19
; %bb.18:
	v_lshl_add_u64 v[0:1], v[2:3], 2, s[6:7]
	global_store_dword v[0:1], v4, off
.LBB138_19:
	s_endpgm
.LBB138_20:
                                        ; implicit-def: $vgpr4
	s_branch .LBB138_14
	.section	.rodata,"a",@progbits
	.p2align	6, 0x0
	.amdhsa_kernel _ZL36rocblas_hemvn_kernel_upper_block_sumILi64EiPKfPKPffEviT1_lS5_lT2_lT0_lPT3_i
		.amdhsa_group_segment_fixed_size 0
		.amdhsa_private_segment_fixed_size 0
		.amdhsa_kernarg_size 344
		.amdhsa_user_sgpr_count 2
		.amdhsa_user_sgpr_dispatch_ptr 0
		.amdhsa_user_sgpr_queue_ptr 0
		.amdhsa_user_sgpr_kernarg_segment_ptr 1
		.amdhsa_user_sgpr_dispatch_id 0
		.amdhsa_user_sgpr_kernarg_preload_length 0
		.amdhsa_user_sgpr_kernarg_preload_offset 0
		.amdhsa_user_sgpr_private_segment_size 0
		.amdhsa_uses_dynamic_stack 0
		.amdhsa_enable_private_segment 0
		.amdhsa_system_sgpr_workgroup_id_x 1
		.amdhsa_system_sgpr_workgroup_id_y 0
		.amdhsa_system_sgpr_workgroup_id_z 1
		.amdhsa_system_sgpr_workgroup_info 0
		.amdhsa_system_vgpr_workitem_id 0
		.amdhsa_next_free_vgpr 6
		.amdhsa_next_free_sgpr 20
		.amdhsa_accum_offset 8
		.amdhsa_reserve_vcc 1
		.amdhsa_float_round_mode_32 0
		.amdhsa_float_round_mode_16_64 0
		.amdhsa_float_denorm_mode_32 3
		.amdhsa_float_denorm_mode_16_64 3
		.amdhsa_dx10_clamp 1
		.amdhsa_ieee_mode 1
		.amdhsa_fp16_overflow 0
		.amdhsa_tg_split 0
		.amdhsa_exception_fp_ieee_invalid_op 0
		.amdhsa_exception_fp_denorm_src 0
		.amdhsa_exception_fp_ieee_div_zero 0
		.amdhsa_exception_fp_ieee_overflow 0
		.amdhsa_exception_fp_ieee_underflow 0
		.amdhsa_exception_fp_ieee_inexact 0
		.amdhsa_exception_int_div_zero 0
	.end_amdhsa_kernel
	.section	.text._ZL36rocblas_hemvn_kernel_upper_block_sumILi64EiPKfPKPffEviT1_lS5_lT2_lT0_lPT3_i,"axG",@progbits,_ZL36rocblas_hemvn_kernel_upper_block_sumILi64EiPKfPKPffEviT1_lS5_lT2_lT0_lPT3_i,comdat
.Lfunc_end138:
	.size	_ZL36rocblas_hemvn_kernel_upper_block_sumILi64EiPKfPKPffEviT1_lS5_lT2_lT0_lPT3_i, .Lfunc_end138-_ZL36rocblas_hemvn_kernel_upper_block_sumILi64EiPKfPKPffEviT1_lS5_lT2_lT0_lPT3_i
                                        ; -- End function
	.section	.AMDGPU.csdata,"",@progbits
; Kernel info:
; codeLenInByte = 588
; NumSgprs: 26
; NumVgprs: 6
; NumAgprs: 0
; TotalNumVgprs: 6
; ScratchSize: 0
; MemoryBound: 0
; FloatMode: 240
; IeeeMode: 1
; LDSByteSize: 0 bytes/workgroup (compile time only)
; SGPRBlocks: 3
; VGPRBlocks: 0
; NumSGPRsForWavesPerEU: 26
; NumVGPRsForWavesPerEU: 6
; AccumOffset: 8
; Occupancy: 8
; WaveLimiterHint : 1
; COMPUTE_PGM_RSRC2:SCRATCH_EN: 0
; COMPUTE_PGM_RSRC2:USER_SGPR: 2
; COMPUTE_PGM_RSRC2:TRAP_HANDLER: 0
; COMPUTE_PGM_RSRC2:TGID_X_EN: 1
; COMPUTE_PGM_RSRC2:TGID_Y_EN: 0
; COMPUTE_PGM_RSRC2:TGID_Z_EN: 1
; COMPUTE_PGM_RSRC2:TIDIG_COMP_CNT: 0
; COMPUTE_PGM_RSRC3_GFX90A:ACCUM_OFFSET: 1
; COMPUTE_PGM_RSRC3_GFX90A:TG_SPLIT: 0
	.section	.text._ZL26rocblas_hemvn_kernel_upperILb0ELi64ELi4ELi33ELi32ELi16ElfPKPKfPfEviT6_lT7_lT5_lS6_lS7_lS5_lT8_i,"axG",@progbits,_ZL26rocblas_hemvn_kernel_upperILb0ELi64ELi4ELi33ELi32ELi16ElfPKPKfPfEviT6_lT7_lT5_lS6_lS7_lS5_lT8_i,comdat
	.globl	_ZL26rocblas_hemvn_kernel_upperILb0ELi64ELi4ELi33ELi32ELi16ElfPKPKfPfEviT6_lT7_lT5_lS6_lS7_lS5_lT8_i ; -- Begin function _ZL26rocblas_hemvn_kernel_upperILb0ELi64ELi4ELi33ELi32ELi16ElfPKPKfPfEviT6_lT7_lT5_lS6_lS7_lS5_lT8_i
	.p2align	8
	.type	_ZL26rocblas_hemvn_kernel_upperILb0ELi64ELi4ELi33ELi32ELi16ElfPKPKfPfEviT6_lT7_lT5_lS6_lS7_lS5_lT8_i,@function
_ZL26rocblas_hemvn_kernel_upperILb0ELi64ELi4ELi33ELi32ELi16ElfPKPKfPfEviT6_lT7_lT5_lS6_lS7_lS5_lT8_i: ; @_ZL26rocblas_hemvn_kernel_upperILb0ELi64ELi4ELi33ELi32ELi16ElfPKPKfPfEviT6_lT7_lT5_lS6_lS7_lS5_lT8_i
; %bb.0:
	s_load_dwordx2 s[4:5], s[0:1], 0x7c
	s_add_u32 s14, s0, 0x70
	s_mov_b32 s28, s3
	s_addc_u32 s15, s1, 0
	s_waitcnt lgkmcnt(0)
	s_and_b32 s3, s5, 0xffff
	s_lshr_b32 s5, s4, 16
	s_and_b32 s4, s4, 0xffff
	s_mul_i32 s4, s5, s4
	s_mul_i32 s4, s4, s3
	s_cmpk_lg_i32 s4, 0x100
	s_cbranch_scc1 .LBB139_130
; %bb.1:
	s_load_dwordx2 s[30:31], s[0:1], 0x0
	s_load_dword s3, s[0:1], 0x50
	s_waitcnt lgkmcnt(0)
	v_cmp_eq_f32_e64 s[8:9], s31, 0
	v_cmp_eq_f32_e64 s[4:5], s3, 1.0
	s_and_b64 s[4:5], s[8:9], s[4:5]
	s_and_b64 vcc, exec, s[4:5]
	s_cbranch_vccnz .LBB139_130
; %bb.2:
	s_load_dwordx4 s[4:7], s[0:1], 0x10
	s_load_dwordx2 s[24:25], s[0:1], 0x20
	s_mov_b32 s29, 0
	v_cmp_neq_f32_e64 s[20:21], s31, 0
	s_mov_b64 s[16:17], 0
	s_and_b64 vcc, exec, s[8:9]
	s_mov_b64 s[12:13], 0
	s_cbranch_vccnz .LBB139_4
; %bb.3:
	s_lshl_b64 s[8:9], s[28:29], 3
	s_waitcnt lgkmcnt(0)
	s_add_u32 s4, s4, s8
	s_addc_u32 s5, s5, s9
	s_load_dwordx2 s[4:5], s[4:5], 0x0
	s_lshl_b64 s[6:7], s[6:7], 2
	s_waitcnt lgkmcnt(0)
	s_add_u32 s12, s4, s6
	s_addc_u32 s13, s5, s7
.LBB139_4:
	s_load_dwordx4 s[8:11], s[0:1], 0x30
	s_load_dwordx2 s[18:19], s[0:1], 0x40
	v_cndmask_b32_e64 v1, 0, 1, s[20:21]
	s_waitcnt lgkmcnt(0)
	v_cmp_ne_u32_e64 s[4:5], 1, v1
	s_andn2_b64 vcc, exec, s[20:21]
	s_cbranch_vccnz .LBB139_6
; %bb.5:
	s_lshl_b64 s[6:7], s[28:29], 3
	s_add_u32 s6, s8, s6
	s_addc_u32 s7, s9, s7
	s_load_dwordx2 s[6:7], s[6:7], 0x0
	s_lshl_b64 s[8:9], s[10:11], 2
	s_waitcnt lgkmcnt(0)
	s_add_u32 s16, s6, s8
	s_addc_u32 s17, s7, s9
.LBB139_6:
	s_and_b64 vcc, exec, s[4:5]
	s_cbranch_vccnz .LBB139_130
; %bb.7:
	s_load_dword s3, s[14:15], 0x0
	s_ashr_i32 s31, s30, 31
	s_lshr_b32 s5, s31, 26
	v_and_b32_e32 v52, 0x3ff, v0
	s_lshl_b32 s26, s2, 6
	s_add_i32 s5, s30, s5
	s_andn2_b32 s5, s5, 63
	v_add_u32_e32 v4, s26, v52
	s_waitcnt lgkmcnt(0)
	s_add_i32 s4, s3, -1
	s_sub_i32 s29, s30, s5
	v_ashrrev_i32_e32 v5, 31, v4
	v_bfe_u32 v53, v0, 10, 10
	s_cmp_eq_u32 s2, s4
	v_mul_lo_u32 v2, v5, s18
	v_mul_lo_u32 v3, v4, s19
	v_mad_u64_u32 v[0:1], s[4:5], v4, s18, 0
	v_add3_u32 v1, v1, v3, v2
	s_cselect_b32 s20, s29, 0
	v_lshl_add_u64 v[6:7], v[0:1], 2, s[16:17]
	v_cmp_eq_u32_e64 s[4:5], 0, v53
	s_and_saveexec_b64 s[6:7], s[4:5]
	s_cbranch_execz .LBB139_11
; %bb.8:
	s_cmp_eq_u32 s20, 0
	s_cselect_b64 s[8:9], -1, 0
	v_cmp_gt_i32_e32 vcc, s20, v52
	s_or_b64 s[10:11], s[8:9], vcc
	v_mov_b32_e32 v0, 0
	s_and_saveexec_b64 s[8:9], s[10:11]
	s_cbranch_execz .LBB139_10
; %bb.9:
	flat_load_dword v0, v[6:7]
.LBB139_10:
	s_or_b64 exec, exec, s[8:9]
	v_lshlrev_b32_e32 v1, 2, v52
	s_waitcnt vmcnt(0) lgkmcnt(0)
	ds_write_b32 v1, v0 offset:4544
.LBB139_11:
	s_or_b64 exec, exec, s[6:7]
	s_ashr_i32 s27, s26, 31
	v_lshl_add_u32 v16, v53, 6, v52
	s_lshl_b64 s[6:7], s[26:27], 2
	v_and_b32_e32 v0, 31, v52
	v_lshrrev_b32_e32 v17, 5, v16
	s_add_u32 s8, s12, s6
	v_mov_b32_e32 v1, 0
	s_addc_u32 s9, s13, s7
	v_mad_u64_u32 v[8:9], s[6:7], v17, s24, v[0:1]
	v_mov_b32_e32 v2, v9
	v_mad_u64_u32 v[2:3], s[6:7], v17, s25, v[2:3]
	s_mul_i32 s6, s26, s25
	s_mul_hi_u32 s7, s26, s24
	s_add_i32 s6, s7, s6
	s_mul_i32 s7, s27, s24
	s_add_i32 s7, s6, s7
	s_mul_i32 s6, s26, s24
	s_lshl_b64 s[6:7], s[6:7], 2
	s_add_u32 s6, s6, s8
	s_addc_u32 s7, s7, s9
	s_cmp_eq_u32 s20, 0
	s_cselect_b64 s[22:23], -1, 0
	s_cmp_lg_u32 s20, 0
	v_mov_b32_e32 v9, v2
	s_cselect_b64 s[36:37], -1, 0
	v_lshl_add_u64 v[12:13], v[8:9], 2, s[6:7]
	s_and_b64 vcc, exec, s[36:37]
	v_cmp_gt_i32_e64 s[6:7], s20, v0
	v_lshlrev_b32_e32 v2, 2, v0
	s_mul_i32 s33, s25, 0x60
	s_cbranch_vccz .LBB139_21
; %bb.12:
	v_sub_co_u32_e32 v10, vcc, v12, v2
	s_ashr_i32 s21, s20, 31
	s_nop 0
	v_subbrev_co_u32_e32 v11, vcc, 0, v13, vcc
	v_lshl_add_u64 v[10:11], s[20:21], 2, v[10:11]
	v_lshl_add_u64 v[10:11], v[10:11], 0, -4
	v_cndmask_b32_e64 v11, v11, v13, s[6:7]
	v_cndmask_b32_e64 v10, v10, v12, s[6:7]
	v_cmp_gt_i32_e32 vcc, s20, v17
	s_and_saveexec_b64 s[8:9], vcc
	s_cbranch_execz .LBB139_14
; %bb.13:
	flat_load_dword v1, v[10:11]
.LBB139_14:
	s_or_b64 exec, exec, s[8:9]
	v_mul_u32_u24_e32 v3, 33, v17
	v_add_lshl_u32 v14, v3, v0, 2
	s_waitcnt vmcnt(0) lgkmcnt(0)
	ds_write_b32 v14, v1
	v_add_u32_e32 v1, 8, v17
	v_cmp_gt_i32_e32 vcc, s20, v1
	v_mov_b32_e32 v1, 0
	v_mov_b32_e32 v3, 0
	s_and_saveexec_b64 s[8:9], vcc
	s_cbranch_execz .LBB139_16
; %bb.15:
	s_lshl_b64 s[10:11], s[24:25], 5
	v_lshl_add_u64 v[18:19], v[10:11], 0, s[10:11]
	flat_load_dword v3, v[18:19]
.LBB139_16:
	s_or_b64 exec, exec, s[8:9]
	s_waitcnt vmcnt(0) lgkmcnt(0)
	ds_write_b32 v14, v3 offset:1056
	v_add_u32_e32 v3, 16, v17
	v_cmp_gt_i32_e32 vcc, s20, v3
	s_and_saveexec_b64 s[8:9], vcc
	s_cbranch_execz .LBB139_18
; %bb.17:
	s_lshl_b64 s[10:11], s[24:25], 6
	v_lshl_add_u64 v[18:19], v[10:11], 0, s[10:11]
	flat_load_dword v1, v[18:19]
.LBB139_18:
	s_or_b64 exec, exec, s[8:9]
	s_waitcnt vmcnt(0) lgkmcnt(0)
	ds_write_b32 v14, v1 offset:2112
	v_add_u32_e32 v1, 24, v17
	v_cmp_gt_i32_e32 vcc, s20, v1
	v_mov_b32_e32 v3, 0
	v_mov_b32_e32 v1, 0
	s_and_saveexec_b64 s[8:9], vcc
	s_cbranch_execz .LBB139_20
; %bb.19:
	v_mov_b32_e32 v1, 0x60
	v_mad_u64_u32 v[18:19], s[10:11], s24, v1, v[10:11]
	v_add_u32_e32 v19, s33, v19
	flat_load_dword v1, v[18:19]
.LBB139_20:
	s_or_b64 exec, exec, s[8:9]
	v_lshl_add_u64 v[10:11], v[10:11], 0, v[2:3]
	s_lshl_b64 s[8:9], s[20:21], 2
	s_waitcnt vmcnt(0) lgkmcnt(0)
	ds_write_b32 v14, v1 offset:3168
	v_mov_b32_e32 v1, s9
	v_subrev_co_u32_e32 v10, vcc, s8, v10
	s_nop 1
	v_subb_co_u32_e32 v11, vcc, v11, v1, vcc
	v_lshl_add_u64 v[10:11], v[10:11], 0, 4
	v_cndmask_b32_e64 v11, v11, v13, s[6:7]
	v_cndmask_b32_e64 v10, v10, v12, s[6:7]
	v_mul_u32_u24_e32 v20, 33, v17
	s_branch .LBB139_23
.LBB139_21:
                                        ; implicit-def: $vgpr10_vgpr11
	v_mul_u32_u24_e32 v20, 33, v17
	s_cbranch_execz .LBB139_23
; %bb.22:
	flat_load_dword v1, v[12:13]
	v_add_lshl_u32 v3, v20, v0, 2
	s_lshl_b64 s[6:7], s[24:25], 5
	v_lshl_add_u64 v[10:11], v[12:13], 0, s[6:7]
	s_waitcnt vmcnt(0) lgkmcnt(0)
	ds_write_b32 v3, v1
	flat_load_dword v1, v[10:11]
	v_lshl_add_u64 v[10:11], v[10:11], 0, s[6:7]
	s_waitcnt vmcnt(0) lgkmcnt(0)
	ds_write_b32 v3, v1 offset:1056
	flat_load_dword v1, v[10:11]
	v_mov_b32_e32 v10, 0x60
	v_mad_u64_u32 v[10:11], s[6:7], s24, v10, v[12:13]
	v_add_u32_e32 v11, s33, v11
	s_waitcnt vmcnt(0) lgkmcnt(0)
	ds_write_b32 v3, v1 offset:2112
	flat_load_dword v1, v[10:11]
	v_mov_b64_e32 v[10:11], v[12:13]
	s_waitcnt vmcnt(0) lgkmcnt(0)
	ds_write_b32 v3, v1 offset:3168
.LBB139_23:
	v_lshlrev_b32_e32 v1, 2, v17
	v_mul_u32_u24_e32 v18, 33, v0
	v_cmp_gt_u32_e64 s[6:7], v1, v0
	v_add_lshl_u32 v25, v1, v18, 2
	s_waitcnt lgkmcnt(0)
	s_barrier
	s_and_saveexec_b64 s[8:9], s[6:7]
	s_cbranch_execz .LBB139_25
; %bb.24:
	v_mul_u32_u24_e32 v3, 0x84, v17
	v_add_lshl_u32 v3, v3, v0, 2
	ds_read_b32 v3, v3
	s_waitcnt lgkmcnt(0)
	ds_write_b32 v25, v3
.LBB139_25:
	s_or_b64 exec, exec, s[8:9]
	v_cmp_ge_u32_e64 s[8:9], v1, v0
	s_and_saveexec_b64 s[10:11], s[8:9]
	s_cbranch_execz .LBB139_27
; %bb.26:
	v_or_b32_e32 v3, 1, v1
	v_mul_u32_u24_e32 v3, 33, v3
	v_add_lshl_u32 v3, v3, v0, 2
	ds_read_b32 v3, v3
	s_waitcnt lgkmcnt(0)
	ds_write_b32 v25, v3 offset:4
.LBB139_27:
	s_or_b64 exec, exec, s[10:11]
	v_or_b32_e32 v3, 2, v1
	v_cmp_gt_u32_e64 s[10:11], v3, v0
	s_and_saveexec_b64 s[12:13], s[10:11]
	s_cbranch_execz .LBB139_29
; %bb.28:
	v_mul_u32_u24_e32 v3, 33, v3
	v_add_lshl_u32 v3, v3, v0, 2
	ds_read_b32 v3, v3
	s_waitcnt lgkmcnt(0)
	ds_write_b32 v25, v3 offset:8
.LBB139_29:
	s_or_b64 exec, exec, s[12:13]
	v_or_b32_e32 v3, 3, v1
	v_cmp_gt_u32_e64 s[12:13], v3, v0
	v_mad_u32_u24 v3, v3, 33, v0
	v_lshlrev_b32_e32 v22, 2, v3
	s_and_saveexec_b64 s[14:15], s[12:13]
	s_cbranch_execz .LBB139_31
; %bb.30:
	ds_read_b32 v3, v22
	s_waitcnt lgkmcnt(0)
	ds_write_b32 v25, v3 offset:12
.LBB139_31:
	s_or_b64 exec, exec, s[14:15]
	v_mul_u32_u24_e32 v3, 0x84, v17
	v_add_u32_e32 v24, 0xfffffef8, v22
	s_waitcnt lgkmcnt(0)
	s_barrier
	v_add_lshl_u32 v23, v3, v0, 2
	v_lshlrev_b32_e32 v26, 2, v1
	ds_read2_b32 v[28:29], v24 offset1:33
	ds_read_b32 v30, v23
	ds_read_b128 v[12:15], v26 offset:4544
	ds_read_b32 v33, v22
	v_add_lshl_u32 v21, v17, v18, 2
	s_waitcnt lgkmcnt(3)
	v_mov_b32_e32 v31, v28
	v_mov_b32_e32 v32, v29
	s_waitcnt lgkmcnt(1)
	v_pk_mul_f32 v[12:13], v[30:31], v[12:13]
	v_cmp_gt_u32_e64 s[14:15], 32, v16
	v_add_f32_e32 v3, 0, v12
	v_add_f32_e32 v3, v3, v13
	s_waitcnt lgkmcnt(0)
	v_pk_mul_f32 v[12:13], v[32:33], v[14:15]
	v_mov_b32_e32 v54, 0
	v_add_f32_e32 v3, v3, v12
	v_add_f32_e32 v3, v3, v13
	v_lshlrev_b32_e32 v19, 2, v18
	s_barrier
	ds_write_b32 v21, v3
	s_waitcnt lgkmcnt(0)
	s_barrier
	s_and_saveexec_b64 s[16:17], s[14:15]
	s_cbranch_execz .LBB139_33
; %bb.32:
	ds_read2_b32 v[12:13], v19 offset1:1
	ds_read2_b32 v[14:15], v19 offset0:2 offset1:3
	ds_read2_b32 v[28:29], v19 offset0:4 offset1:5
	ds_read2_b32 v[30:31], v19 offset0:6 offset1:7
	s_waitcnt lgkmcnt(3)
	v_add_f32_e32 v3, v12, v13
	s_waitcnt lgkmcnt(2)
	v_add_f32_e32 v3, v3, v14
	v_add_f32_e32 v3, v3, v15
	s_waitcnt lgkmcnt(1)
	v_add_f32_e32 v3, v3, v28
	v_add_f32_e32 v3, v3, v29
	s_waitcnt lgkmcnt(0)
	v_add_f32_e32 v3, v3, v30
	v_add_f32_e32 v54, v3, v31
.LBB139_33:
	s_or_b64 exec, exec, s[16:17]
	s_lshl_b64 s[16:17], s[24:25], 7
	v_lshl_add_u64 v[12:13], v[10:11], 0, s[16:17]
	s_mov_b64 s[16:17], 0x80
	s_lshl_b64 s[34:35], s[24:25], 5
	v_lshl_add_u64 v[10:11], v[12:13], 0, s[16:17]
	s_and_b64 vcc, exec, s[36:37]
	s_barrier
	s_cbranch_vccz .LBB139_43
; %bb.34:
	v_or_b32_e32 v3, 32, v0
	v_lshlrev_b32_e32 v14, 2, v3
	v_sub_co_u32_e32 v14, vcc, v10, v14
	s_ashr_i32 s21, s20, 31
	s_nop 0
	v_subbrev_co_u32_e32 v15, vcc, 0, v11, vcc
	v_lshl_add_u64 v[14:15], s[20:21], 2, v[14:15]
	v_lshl_add_u64 v[14:15], v[14:15], 0, -4
	v_cmp_gt_i32_e32 vcc, s20, v3
	s_sub_i32 s40, s20, 32
	v_mov_b32_e32 v27, 0
	v_cndmask_b32_e32 v15, v15, v11, vcc
	v_cndmask_b32_e32 v14, v14, v10, vcc
	v_cmp_gt_i32_e64 s[16:17], s40, v17
	v_mov_b32_e32 v28, 0
	s_and_saveexec_b64 s[38:39], s[16:17]
	s_cbranch_execz .LBB139_36
; %bb.35:
	flat_load_dword v28, v[14:15]
.LBB139_36:
	s_or_b64 exec, exec, s[38:39]
	v_add_lshl_u32 v3, v20, v0, 2
	s_waitcnt vmcnt(0) lgkmcnt(0)
	ds_write_b32 v3, v28
	v_add_u32_e32 v28, 8, v17
	v_cmp_gt_i32_e64 s[16:17], s40, v28
	s_and_saveexec_b64 s[38:39], s[16:17]
	s_cbranch_execz .LBB139_38
; %bb.37:
	v_lshl_add_u64 v[28:29], v[14:15], 0, s[34:35]
	flat_load_dword v27, v[28:29]
.LBB139_38:
	s_or_b64 exec, exec, s[38:39]
	s_waitcnt vmcnt(0) lgkmcnt(0)
	ds_write_b32 v3, v27 offset:1056
	v_add_u32_e32 v27, 16, v17
	v_cmp_gt_i32_e64 s[16:17], s40, v27
	v_mov_b32_e32 v27, 0
	v_mov_b32_e32 v28, 0
	s_and_saveexec_b64 s[38:39], s[16:17]
	s_cbranch_execz .LBB139_40
; %bb.39:
	s_lshl_b64 s[16:17], s[24:25], 6
	v_lshl_add_u64 v[28:29], v[14:15], 0, s[16:17]
	flat_load_dword v28, v[28:29]
.LBB139_40:
	s_or_b64 exec, exec, s[38:39]
	s_waitcnt vmcnt(0) lgkmcnt(0)
	ds_write_b32 v3, v28 offset:2112
	v_add_u32_e32 v28, 24, v17
	v_cmp_gt_i32_e64 s[16:17], s40, v28
	s_and_saveexec_b64 s[38:39], s[16:17]
	s_cbranch_execz .LBB139_42
; %bb.41:
	v_mov_b32_e32 v27, 0x60
	v_mad_u64_u32 v[28:29], s[16:17], s24, v27, v[14:15]
	v_add_u32_e32 v29, s33, v29
	flat_load_dword v27, v[28:29]
.LBB139_42:
	s_or_b64 exec, exec, s[38:39]
	s_waitcnt vmcnt(0) lgkmcnt(0)
	ds_write_b32 v3, v27 offset:3168
	v_mov_b32_e32 v3, 0
	v_lshl_add_u64 v[14:15], v[14:15], 0, v[2:3]
	s_lshl_b64 s[16:17], s[20:21], 2
	v_mov_b32_e32 v3, s17
	v_subrev_co_u32_e64 v14, s[16:17], s16, v14
	s_nop 1
	v_subb_co_u32_e64 v15, s[16:17], v15, v3, s[16:17]
	s_mov_b64 s[16:17], 0x84
	s_nop 0
	v_lshl_add_u64 v[14:15], v[14:15], 0, s[16:17]
	v_cndmask_b32_e32 v15, v15, v11, vcc
	v_cndmask_b32_e32 v14, v14, v10, vcc
	s_branch .LBB139_45
.LBB139_43:
                                        ; implicit-def: $vgpr14_vgpr15
	s_cbranch_execz .LBB139_45
; %bb.44:
	flat_load_dword v3, v[12:13] offset:128
	v_add_lshl_u32 v27, v20, v0, 2
	v_lshl_add_u64 v[14:15], v[12:13], 0, s[34:35]
	s_waitcnt vmcnt(0) lgkmcnt(0)
	ds_write_b32 v27, v3
	flat_load_dword v3, v[14:15] offset:128
	v_lshl_add_u64 v[14:15], v[14:15], 0, s[34:35]
	s_waitcnt vmcnt(0) lgkmcnt(0)
	ds_write_b32 v27, v3 offset:1056
	flat_load_dword v3, v[14:15] offset:128
	v_mov_b32_e32 v14, 0x60
	v_mad_u64_u32 v[12:13], s[16:17], s24, v14, v[12:13]
	v_add_u32_e32 v13, s33, v13
	v_mov_b64_e32 v[14:15], v[10:11]
	s_waitcnt vmcnt(0) lgkmcnt(0)
	ds_write_b32 v27, v3 offset:2112
	flat_load_dword v3, v[12:13] offset:128
	s_waitcnt vmcnt(0) lgkmcnt(0)
	ds_write_b32 v27, v3 offset:3168
.LBB139_45:
	s_waitcnt lgkmcnt(0)
	s_barrier
	s_and_saveexec_b64 s[16:17], s[6:7]
	s_cbranch_execnz .LBB139_62
; %bb.46:
	s_or_b64 exec, exec, s[16:17]
	s_and_saveexec_b64 s[6:7], s[8:9]
	s_cbranch_execnz .LBB139_63
.LBB139_47:
	s_or_b64 exec, exec, s[6:7]
	s_and_saveexec_b64 s[6:7], s[10:11]
	s_cbranch_execnz .LBB139_64
.LBB139_48:
	s_or_b64 exec, exec, s[6:7]
	v_add_u32_e32 v26, 0x11c0, v26
	s_and_saveexec_b64 s[6:7], s[12:13]
	s_cbranch_execz .LBB139_50
.LBB139_49:
	ds_read_b32 v3, v22
	s_waitcnt lgkmcnt(0)
	ds_write_b32 v25, v3 offset:12
.LBB139_50:
	s_or_b64 exec, exec, s[6:7]
	s_waitcnt lgkmcnt(0)
	s_barrier
	ds_read_b32 v3, v23
	ds_read_b128 v[10:13], v26 offset:128
	ds_read2_b32 v[28:29], v24 offset1:33
	ds_read_b32 v25, v22
	v_cmp_eq_u32_e64 s[6:7], 1, v17
	s_waitcnt lgkmcnt(0)
	v_fma_f32 v3, v3, v10, 0
	v_fmac_f32_e32 v3, v28, v11
	v_fmac_f32_e32 v3, v29, v12
	;; [unrolled: 1-line block ×3, first 2 shown]
	s_barrier
	ds_write_b32 v21, v3
	s_waitcnt lgkmcnt(0)
	s_barrier
	s_and_saveexec_b64 s[8:9], s[6:7]
	s_cbranch_execz .LBB139_52
; %bb.51:
	ds_read2_b32 v[10:11], v19 offset1:1
	ds_read2_b32 v[12:13], v19 offset0:2 offset1:3
	ds_read2_b32 v[28:29], v19 offset0:4 offset1:5
	;; [unrolled: 1-line block ×3, first 2 shown]
	s_waitcnt lgkmcnt(3)
	v_add_f32_e32 v3, v10, v11
	s_waitcnt lgkmcnt(2)
	v_add_f32_e32 v3, v3, v12
	v_add_f32_e32 v3, v3, v13
	s_waitcnt lgkmcnt(1)
	v_add_f32_e32 v3, v3, v28
	;; [unrolled: 3-line block ×3, first 2 shown]
	v_add_f32_e32 v54, v3, v31
.LBB139_52:
	s_or_b64 exec, exec, s[8:9]
	s_movk_i32 s8, 0xff80
	s_mov_b32 s9, -1
	v_lshl_add_u64 v[10:11], v[14:15], 0, s[8:9]
	s_and_b64 vcc, exec, s[36:37]
	s_barrier
	s_cbranch_vccz .LBB139_65
; %bb.53:
	v_sub_co_u32_e32 v12, vcc, v10, v2
	s_ashr_i32 s21, s20, 31
	s_nop 0
	v_subbrev_co_u32_e32 v13, vcc, 0, v11, vcc
	v_lshl_add_u64 v[12:13], s[20:21], 2, v[12:13]
	v_lshl_add_u64 v[12:13], v[12:13], 0, -4
	v_cmp_gt_i32_e32 vcc, s20, v0
	s_sub_i32 s12, s20, 32
	v_mov_b32_e32 v15, 0
	v_cndmask_b32_e32 v13, v13, v11, vcc
	v_cndmask_b32_e32 v12, v12, v10, vcc
	v_cmp_gt_i32_e64 s[8:9], s12, v17
	v_mov_b32_e32 v14, 0
	s_and_saveexec_b64 s[10:11], s[8:9]
	s_cbranch_execz .LBB139_55
; %bb.54:
	flat_load_dword v14, v[12:13]
.LBB139_55:
	s_or_b64 exec, exec, s[10:11]
	v_add_lshl_u32 v3, v20, v0, 2
	s_waitcnt vmcnt(0) lgkmcnt(0)
	ds_write_b32 v3, v14
	v_add_u32_e32 v14, 8, v17
	v_cmp_gt_i32_e64 s[8:9], s12, v14
	s_and_saveexec_b64 s[10:11], s[8:9]
	s_cbranch_execz .LBB139_57
; %bb.56:
	v_lshl_add_u64 v[28:29], v[12:13], 0, s[34:35]
	flat_load_dword v15, v[28:29]
.LBB139_57:
	s_or_b64 exec, exec, s[10:11]
	s_waitcnt vmcnt(0) lgkmcnt(0)
	ds_write_b32 v3, v15 offset:1056
	v_add_u32_e32 v15, 16, v17
	v_cmp_gt_i32_e64 s[8:9], s12, v15
	v_mov_b32_e32 v27, 0
	v_mov_b32_e32 v25, 0
	s_and_saveexec_b64 s[10:11], s[8:9]
	s_cbranch_execz .LBB139_59
; %bb.58:
	s_lshl_b64 s[8:9], s[24:25], 6
	v_lshl_add_u64 v[28:29], v[12:13], 0, s[8:9]
	flat_load_dword v25, v[28:29]
.LBB139_59:
	s_or_b64 exec, exec, s[10:11]
	s_waitcnt vmcnt(0) lgkmcnt(0)
	ds_write_b32 v3, v25 offset:2112
	v_add_u32_e32 v25, 24, v17
	v_cmp_gt_i32_e64 s[8:9], s12, v25
	s_and_saveexec_b64 s[10:11], s[8:9]
	s_cbranch_execz .LBB139_61
; %bb.60:
	v_mov_b32_e32 v27, 0x60
	v_mad_u64_u32 v[28:29], s[8:9], s24, v27, v[12:13]
	v_add_u32_e32 v29, s33, v29
	flat_load_dword v27, v[28:29]
.LBB139_61:
	s_or_b64 exec, exec, s[10:11]
	s_waitcnt vmcnt(0) lgkmcnt(0)
	ds_write_b32 v3, v27 offset:3168
	v_mov_b32_e32 v3, 0
	v_lshl_add_u64 v[2:3], v[12:13], 0, v[2:3]
	s_lshl_b64 s[8:9], s[20:21], 2
	v_mov_b32_e32 v12, s9
	v_subrev_co_u32_e64 v2, s[8:9], s8, v2
	s_nop 1
	v_subb_co_u32_e64 v3, s[8:9], v3, v12, s[8:9]
	v_lshl_add_u64 v[2:3], v[2:3], 0, 4
	v_cndmask_b32_e32 v37, v3, v11, vcc
	v_cndmask_b32_e32 v36, v2, v10, vcc
	s_branch .LBB139_67
.LBB139_62:
	ds_read_b32 v3, v23
	s_waitcnt lgkmcnt(0)
	ds_write_b32 v25, v3
	s_or_b64 exec, exec, s[16:17]
	s_and_saveexec_b64 s[6:7], s[8:9]
	s_cbranch_execz .LBB139_47
.LBB139_63:
	ds_read_b32 v3, v24
	s_waitcnt lgkmcnt(0)
	ds_write_b32 v25, v3 offset:4
	s_or_b64 exec, exec, s[6:7]
	s_and_saveexec_b64 s[6:7], s[10:11]
	s_cbranch_execz .LBB139_48
.LBB139_64:
	ds_read_b32 v3, v24 offset:132
	s_waitcnt lgkmcnt(0)
	ds_write_b32 v25, v3 offset:8
	s_or_b64 exec, exec, s[6:7]
	v_add_u32_e32 v26, 0x11c0, v26
	s_and_saveexec_b64 s[6:7], s[12:13]
	s_cbranch_execnz .LBB139_49
	s_branch .LBB139_50
.LBB139_65:
                                        ; implicit-def: $vgpr36_vgpr37
                                        ; implicit-def: $vgpr14
                                        ; implicit-def: $vgpr15
                                        ; implicit-def: $vgpr25
	s_cbranch_execz .LBB139_67
; %bb.66:
	flat_load_dword v12, v[10:11]
	v_add_lshl_u32 v0, v20, v0, 2
	v_lshl_add_u64 v[2:3], v[10:11], 0, s[34:35]
	v_add_u32_e32 v14, 8, v17
	v_add_u32_e32 v15, 16, v17
	;; [unrolled: 1-line block ×3, first 2 shown]
	v_mov_b64_e32 v[36:37], v[10:11]
	s_waitcnt vmcnt(0) lgkmcnt(0)
	ds_write_b32 v0, v12
	flat_load_dword v12, v[2:3]
	v_lshl_add_u64 v[2:3], v[2:3], 0, s[34:35]
	s_waitcnt vmcnt(0) lgkmcnt(0)
	ds_write_b32 v0, v12 offset:1056
	flat_load_dword v12, v[2:3]
	v_mov_b32_e32 v2, 0x60
	v_mad_u64_u32 v[2:3], s[8:9], s24, v2, v[10:11]
	v_add_u32_e32 v3, s33, v3
	s_waitcnt vmcnt(0) lgkmcnt(0)
	ds_write_b32 v0, v12 offset:2112
	flat_load_dword v2, v[2:3]
	s_waitcnt vmcnt(0) lgkmcnt(0)
	ds_write_b32 v0, v2 offset:3168
.LBB139_67:
	v_add_lshl_u32 v13, v14, v18, 2
	v_lshlrev_b32_e32 v14, 2, v14
	v_add_lshl_u32 v17, v15, v18, 2
	v_lshlrev_b32_e32 v15, 2, v15
	;; [unrolled: 2-line block ×3, first 2 shown]
	s_waitcnt lgkmcnt(0)
	s_barrier
	ds_read_b32 v25, v1 offset:4544
	ds_read_b32 v12, v23
	ds_read_b32 v23, v21
	ds_read_b128 v[0:3], v26 offset:128
	ds_read2_b32 v[10:11], v24 offset1:33
	ds_read_b32 v24, v13
	ds_read_b32 v14, v14 offset:4544
	ds_read_b32 v17, v17
	ds_read_b32 v15, v15 offset:4544
	;; [unrolled: 2-line block ×3, first 2 shown]
	ds_read_b32 v13, v22
	s_waitcnt lgkmcnt(9)
	v_fma_f32 v22, v23, v25, 0
	s_waitcnt lgkmcnt(5)
	v_fmac_f32_e32 v22, v24, v14
	s_waitcnt lgkmcnt(3)
	v_fmac_f32_e32 v22, v17, v15
	;; [unrolled: 2-line block ×3, first 2 shown]
	s_waitcnt lgkmcnt(0)
	s_barrier
	ds_write_b32 v21, v22
	s_waitcnt lgkmcnt(0)
	s_barrier
	s_and_saveexec_b64 s[8:9], s[6:7]
	s_cbranch_execz .LBB139_69
; %bb.68:
	ds_read2_b32 v[14:15], v19 offset1:1
	ds_read2_b32 v[22:23], v19 offset0:2 offset1:3
	ds_read2_b32 v[24:25], v19 offset0:4 offset1:5
	;; [unrolled: 1-line block ×3, first 2 shown]
	s_waitcnt lgkmcnt(3)
	v_add_f32_e32 v14, v54, v14
	v_add_f32_e32 v14, v14, v15
	s_waitcnt lgkmcnt(2)
	v_add_f32_e32 v14, v14, v22
	v_add_f32_e32 v14, v14, v23
	;; [unrolled: 3-line block ×4, first 2 shown]
.LBB139_69:
	s_or_b64 exec, exec, s[8:9]
	v_fma_f32 v0, v12, v0, 0
	v_fmac_f32_e32 v0, v10, v1
	v_fmac_f32_e32 v0, v11, v2
	;; [unrolled: 1-line block ×3, first 2 shown]
	s_barrier
	ds_write_b32 v21, v0
	s_waitcnt lgkmcnt(0)
	s_barrier
	s_and_saveexec_b64 s[6:7], s[14:15]
	s_cbranch_execz .LBB139_71
; %bb.70:
	ds_read2_b32 v[0:1], v19 offset1:1
	ds_read2_b32 v[2:3], v19 offset0:2 offset1:3
	ds_read2_b32 v[10:11], v19 offset0:4 offset1:5
	;; [unrolled: 1-line block ×3, first 2 shown]
	s_waitcnt lgkmcnt(3)
	v_add_f32_e32 v0, v54, v0
	v_add_f32_e32 v0, v0, v1
	s_waitcnt lgkmcnt(2)
	v_add_f32_e32 v0, v0, v2
	v_add_f32_e32 v0, v0, v3
	;; [unrolled: 3-line block ×4, first 2 shown]
.LBB139_71:
	s_or_b64 exec, exec, s[6:7]
	s_load_dwordx2 s[0:1], s[0:1], 0x60
	s_mul_hi_u32 s6, s30, s28
	s_mul_i32 s31, s31, s28
	s_add_i32 s6, s6, s31
	s_mul_i32 s8, s30, s28
	s_mul_i32 s6, s6, s3
	s_mul_hi_u32 s7, s8, s3
	s_add_i32 s7, s7, s6
	s_mul_i32 s6, s8, s3
	s_lshl_b64 s[6:7], s[6:7], 2
	s_waitcnt lgkmcnt(0)
	s_add_u32 s6, s0, s6
	s_addc_u32 s7, s1, s7
	s_mul_hi_i32 s1, s30, s2
	s_mul_i32 s0, s30, s2
	s_lshl_b64 s[0:1], s[0:1], 2
	s_add_u32 s8, s6, s0
	s_addc_u32 s9, s7, s1
	s_add_i32 s0, s2, 1
	s_cmp_ge_u32 s0, s3
	v_lshlrev_b32_e32 v0, 2, v52
	s_barrier
	s_cbranch_scc1 .LBB139_128
; %bb.72:
	s_mul_i32 s0, s26, s19
	s_mul_hi_u32 s1, s26, s18
	s_add_i32 s0, s1, s0
	s_mul_i32 s1, s27, s18
	s_add_i32 s1, s0, s1
	s_mul_i32 s0, s26, s18
	v_lshlrev_b32_e32 v55, 2, v53
	s_lshl_b64 s[0:1], s[0:1], 2
	v_mov_b32_e32 v1, s1
	v_subrev_co_u32_e32 v2, vcc, s0, v6
	v_mad_u64_u32 v[10:11], s[0:1], v55, s24, 0
	v_mov_b32_e32 v12, v11
	v_mad_u64_u32 v[12:13], s[0:1], v55, s25, v[12:13]
	v_and_b32_e32 v46, 48, v52
	v_subb_co_u32_e32 v3, vcc, v7, v1, vcc
	v_and_b32_e32 v44, 15, v52
	v_lshlrev_b32_e32 v1, 2, v46
	s_movk_i32 s0, 0x10c
	v_lshl_add_u64 v[6:7], s[34:35], 2, v[36:37]
	v_lshlrev_b64 v[8:9], 2, v[8:9]
	v_mad_u32_u24 v58, v44, s0, v1
	v_or_b32_e32 v1, 60, v0
	v_sub_co_u32_e32 v6, vcc, v6, v8
	v_mad_u32_u24 v59, v44, s0, v1
	v_and_b32_e32 v1, 0x1fff0, v16
	v_lshlrev_b32_e32 v42, 4, v53
	v_subb_co_u32_e32 v7, vcc, v7, v9, vcc
	v_mov_b32_e32 v11, v12
	v_mad_u32_u24 v60, v44, s0, v1
	s_movk_i32 s0, 0x430
	v_add_u32_e32 v1, 0x8c, v42
	v_lshl_add_u64 v[6:7], v[10:11], 2, v[6:7]
	v_mad_u32_u24 v65, v53, s0, v0
	v_mad_u64_u32 v[10:11], s[0:1], s24, v1, 0
	v_mov_b32_e32 v12, v11
	v_mad_u64_u32 v[12:13], s[0:1], s25, v1, v[12:13]
	v_mov_b32_e32 v1, v12
	v_sub_co_u32_e32 v10, vcc, v10, v8
	v_lshrrev_b32_e32 v45, 4, v16
	s_nop 0
	v_subb_co_u32_e32 v11, vcc, v1, v9, vcc
	v_add_u32_e32 v1, 0x88, v42
	v_mad_u64_u32 v[12:13], s[0:1], s24, v1, 0
	v_mov_b32_e32 v14, v13
	v_mad_u64_u32 v[14:15], s[0:1], s25, v1, v[14:15]
	v_mov_b32_e32 v1, v14
	v_sub_co_u32_e32 v12, vcc, v12, v8
	v_cmp_gt_u32_e64 s[6:7], 64, v16
	s_nop 0
	v_subb_co_u32_e32 v13, vcc, v1, v9, vcc
	v_add_u32_e32 v1, 0x84, v42
	v_mad_u64_u32 v[14:15], s[0:1], s24, v1, 0
	v_mov_b32_e32 v16, v15
	v_mad_u64_u32 v[16:17], s[0:1], s25, v1, v[16:17]
	v_mov_b32_e32 v1, v16
	v_sub_co_u32_e32 v14, vcc, v14, v8
	v_add_u32_e32 v64, 0x10c0, v42
	s_nop 0
	v_subb_co_u32_e32 v15, vcc, v1, v9, vcc
	v_add_u32_e32 v1, 0xcc, v42
	v_mad_u64_u32 v[16:17], s[0:1], s24, v1, 0
	v_mov_b32_e32 v18, v17
	v_mad_u64_u32 v[18:19], s[0:1], s25, v1, v[18:19]
	v_mov_b32_e32 v1, v18
	v_sub_co_u32_e32 v16, vcc, v16, v8
	s_add_i32 s16, s3, -2
	s_nop 0
	v_subb_co_u32_e32 v17, vcc, v1, v9, vcc
	v_add_u32_e32 v1, 0xc8, v42
	v_mad_u64_u32 v[18:19], s[0:1], s24, v1, 0
	v_mov_b32_e32 v20, v19
	v_mad_u64_u32 v[20:21], s[0:1], s25, v1, v[20:21]
	v_mov_b32_e32 v1, v20
	v_sub_co_u32_e32 v18, vcc, v18, v8
	v_add_u32_e32 v56, 0x10c0, v0
	s_nop 0
	v_subb_co_u32_e32 v19, vcc, v1, v9, vcc
	v_add_u32_e32 v1, 0xc4, v42
	v_mad_u64_u32 v[20:21], s[0:1], s24, v1, 0
	v_mov_b32_e32 v22, v21
	v_mad_u64_u32 v[22:23], s[0:1], s25, v1, v[22:23]
	v_mov_b32_e32 v1, v22
	v_sub_co_u32_e32 v20, vcc, v20, v8
	v_add_u32_e32 v57, 0x11c0, v0
	s_nop 0
	v_subb_co_u32_e32 v21, vcc, v1, v9, vcc
	v_add_u32_e32 v1, 0xc0, v42
	v_mad_u64_u32 v[22:23], s[0:1], s24, v1, 0
	v_mov_b32_e32 v24, v23
	v_mad_u64_u32 v[24:25], s[0:1], s25, v1, v[24:25]
	v_mov_b32_e32 v1, v24
	v_sub_co_u32_e32 v22, vcc, v22, v8
	v_or_b32_e32 v61, 1, v55
	s_nop 0
	v_subb_co_u32_e32 v23, vcc, v1, v9, vcc
	v_add_u32_e32 v1, 0x10c, v42
	v_mad_u64_u32 v[24:25], s[0:1], s24, v1, 0
	v_mov_b32_e32 v26, v25
	v_mad_u64_u32 v[26:27], s[0:1], s25, v1, v[26:27]
	v_mov_b32_e32 v1, v26
	v_sub_co_u32_e32 v24, vcc, v24, v8
	v_or_b32_e32 v62, 2, v55
	;; [unrolled: 9-line block ×3, first 2 shown]
	s_nop 0
	v_subb_co_u32_e32 v27, vcc, v1, v9, vcc
	v_add_u32_e32 v1, 0x104, v42
	v_mad_u64_u32 v[28:29], s[0:1], s24, v1, 0
	v_mov_b32_e32 v30, v29
	v_mad_u64_u32 v[30:31], s[0:1], s25, v1, v[30:31]
	v_mov_b32_e32 v1, v30
	v_sub_co_u32_e32 v28, vcc, v28, v8
	v_add_u32_e32 v66, 16, v55
	s_nop 0
	v_subb_co_u32_e32 v29, vcc, v1, v9, vcc
	v_add_u32_e32 v1, 0x100, v42
	v_mad_u64_u32 v[30:31], s[0:1], s24, v1, 0
	v_mov_b32_e32 v32, v31
	v_mad_u64_u32 v[32:33], s[0:1], s25, v1, v[32:33]
	v_mov_b32_e32 v1, v32
	v_sub_co_u32_e32 v30, vcc, v30, v8
	v_add_u32_e32 v67, 17, v55
	;; [unrolled: 9-line block ×6, first 2 shown]
	s_nop 0
	v_subb_co_u32_e32 v41, vcc, v1, v9, vcc
	v_lshl_add_u64 v[8:9], v[36:37], 0, v[10:11]
	v_lshl_add_u64 v[10:11], v[36:37], 0, v[12:13]
	;; [unrolled: 1-line block ×14, first 2 shown]
	v_mul_i32_i24_e32 v38, -12, v45
	v_lshl_add_u64 v[36:37], v[36:37], 0, v[40:41]
	v_add_u32_e32 v72, 34, v55
	v_add_u32_e32 v73, 35, v55
	v_or_b32_e32 v74, v46, v44
	v_add_u32_e32 v75, 48, v55
	s_add_i32 s17, s26, 64
	v_mov_b32_e32 v1, 0
	s_lshl_b64 s[10:11], s[24:25], 8
	v_add_u32_e32 v76, v60, v38
	v_add_u32_e32 v77, 49, v55
	;; [unrolled: 1-line block ×4, first 2 shown]
	s_cmp_eq_u32 s16, s2
	s_cselect_b32 s21, s29, 0
	s_and_saveexec_b64 s[0:1], s[4:5]
	s_cbranch_execz .LBB139_76
.LBB139_73:
	s_cmp_eq_u32 s21, 0
	s_cselect_b64 s[12:13], -1, 0
	v_cmp_gt_i32_e32 vcc, s21, v52
	s_or_b64 s[14:15], s[12:13], vcc
	v_mov_b32_e32 v38, 0
	s_and_saveexec_b64 s[12:13], s[14:15]
	s_cbranch_execz .LBB139_75
; %bb.74:
	s_ashr_i32 s14, s17, 31
	s_mul_i32 s15, s17, s19
	s_mul_hi_u32 s24, s17, s18
	s_add_i32 s15, s24, s15
	s_mul_i32 s14, s14, s18
	s_add_i32 s15, s15, s14
	s_mul_i32 s14, s17, s18
	v_lshl_add_u64 v[38:39], s[14:15], 2, v[2:3]
	flat_load_dword v38, v[38:39]
.LBB139_75:
	s_or_b64 exec, exec, s[12:13]
	s_waitcnt vmcnt(0) lgkmcnt(0)
	ds_write_b32 v56, v38
.LBB139_76:                             ; =>This Inner Loop Header: Depth=1
	s_or_b64 exec, exec, s[0:1]
	s_cmp_eq_u32 s21, 0
	s_cselect_b64 s[12:13], -1, 0
	s_cmp_lg_u32 s21, 0
	s_cselect_b64 s[14:15], -1, 0
	v_lshl_add_u64 v[38:39], v[6:7], 0, v[0:1]
	s_and_b64 vcc, exec, s[14:15]
	s_waitcnt lgkmcnt(0)
	s_barrier
	s_cbranch_vccz .LBB139_124
; %bb.77:                               ;   in Loop: Header=BB139_76 Depth=1
	v_cmp_gt_i32_e32 vcc, s21, v55
	v_mov_b32_e32 v80, 0
	v_mov_b32_e32 v81, 0
	s_and_saveexec_b64 s[0:1], vcc
	s_cbranch_execz .LBB139_79
; %bb.78:                               ;   in Loop: Header=BB139_76 Depth=1
	flat_load_dword v81, v[38:39]
.LBB139_79:                             ;   in Loop: Header=BB139_76 Depth=1
	s_or_b64 exec, exec, s[0:1]
	v_cmp_gt_i32_e32 vcc, s21, v61
	s_and_saveexec_b64 s[0:1], vcc
	s_cbranch_execz .LBB139_81
; %bb.80:                               ;   in Loop: Header=BB139_76 Depth=1
	v_lshl_add_u64 v[40:41], v[12:13], 0, v[0:1]
	flat_load_dword v80, v[40:41]
.LBB139_81:                             ;   in Loop: Header=BB139_76 Depth=1
	s_or_b64 exec, exec, s[0:1]
	v_cmp_gt_i32_e32 vcc, s21, v62
	v_mov_b32_e32 v82, 0
	v_mov_b32_e32 v83, 0
	s_and_saveexec_b64 s[0:1], vcc
	s_cbranch_execz .LBB139_83
; %bb.82:                               ;   in Loop: Header=BB139_76 Depth=1
	v_lshl_add_u64 v[40:41], v[10:11], 0, v[0:1]
	flat_load_dword v83, v[40:41]
.LBB139_83:                             ;   in Loop: Header=BB139_76 Depth=1
	s_or_b64 exec, exec, s[0:1]
	v_cmp_gt_i32_e32 vcc, s21, v63
	s_and_saveexec_b64 s[0:1], vcc
	s_cbranch_execz .LBB139_85
; %bb.84:                               ;   in Loop: Header=BB139_76 Depth=1
	v_lshl_add_u64 v[40:41], v[8:9], 0, v[0:1]
	flat_load_dword v82, v[40:41]
.LBB139_85:                             ;   in Loop: Header=BB139_76 Depth=1
	s_or_b64 exec, exec, s[0:1]
	s_branch .LBB139_87
.LBB139_86:                             ;   in Loop: Header=BB139_76 Depth=1
	s_waitcnt vmcnt(0) lgkmcnt(0)
	flat_load_dword v81, v[38:39]
	v_lshl_add_u64 v[38:39], v[12:13], 0, v[0:1]
	flat_load_dword v80, v[38:39]
	v_lshl_add_u64 v[38:39], v[10:11], 0, v[0:1]
	;; [unrolled: 2-line block ×3, first 2 shown]
	flat_load_dword v82, v[38:39]
.LBB139_87:                             ;   in Loop: Header=BB139_76 Depth=1
	ds_read_b32 v38, v57
	ds_read_b32 v84, v64
	v_cndmask_b32_e64 v42, 0, 1, s[14:15]
	v_cmp_ne_u32_e64 s[0:1], 1, v42
	s_andn2_b64 vcc, exec, s[14:15]
	s_waitcnt vmcnt(0) lgkmcnt(0)
	v_mul_f32_e32 v39, v81, v38
	v_mul_f32_e32 v40, v80, v38
	ds_write_b32 v65, v39
	v_mul_f32_e32 v41, v83, v38
	ds_read_b32 v85, v64 offset:4
	ds_write_b32 v65, v40 offset:268
	ds_read_b32 v86, v64 offset:8
	ds_write_b32 v65, v41 offset:536
	v_mul_f32_e32 v38, v82, v38
	ds_read_b32 v87, v64 offset:12
	ds_write_b32 v65, v38 offset:804
	s_waitcnt lgkmcnt(0)
	s_barrier
	ds_read2_b32 v[40:41], v60 offset1:1
	ds_read2_b32 v[38:39], v60 offset0:2 offset1:3
	v_lshl_add_u64 v[42:43], v[20:21], 0, v[0:1]
	s_waitcnt lgkmcnt(0)
	s_barrier
	s_cbranch_vccnz .LBB139_125
; %bb.88:                               ;   in Loop: Header=BB139_76 Depth=1
	v_cmp_gt_i32_e32 vcc, s21, v66
	v_mov_b32_e32 v88, 0
	v_mov_b32_e32 v89, 0
	s_and_saveexec_b64 s[14:15], vcc
	s_cbranch_execz .LBB139_90
; %bb.89:                               ;   in Loop: Header=BB139_76 Depth=1
	flat_load_dword v89, v[42:43]
.LBB139_90:                             ;   in Loop: Header=BB139_76 Depth=1
	s_or_b64 exec, exec, s[14:15]
	v_cmp_gt_i32_e32 vcc, s21, v67
	s_and_saveexec_b64 s[14:15], vcc
	s_cbranch_execz .LBB139_92
; %bb.91:                               ;   in Loop: Header=BB139_76 Depth=1
	v_lshl_add_u64 v[44:45], v[18:19], 0, v[0:1]
	flat_load_dword v88, v[44:45]
.LBB139_92:                             ;   in Loop: Header=BB139_76 Depth=1
	s_or_b64 exec, exec, s[14:15]
	v_cmp_gt_i32_e32 vcc, s21, v68
	v_mov_b32_e32 v90, 0
	v_mov_b32_e32 v91, 0
	s_and_saveexec_b64 s[14:15], vcc
	s_cbranch_execz .LBB139_94
; %bb.93:                               ;   in Loop: Header=BB139_76 Depth=1
	v_lshl_add_u64 v[44:45], v[16:17], 0, v[0:1]
	flat_load_dword v91, v[44:45]
.LBB139_94:                             ;   in Loop: Header=BB139_76 Depth=1
	s_or_b64 exec, exec, s[14:15]
	v_cmp_gt_i32_e32 vcc, s21, v69
	s_and_saveexec_b64 s[14:15], vcc
	s_cbranch_execz .LBB139_96
; %bb.95:                               ;   in Loop: Header=BB139_76 Depth=1
	v_lshl_add_u64 v[44:45], v[14:15], 0, v[0:1]
	flat_load_dword v90, v[44:45]
.LBB139_96:                             ;   in Loop: Header=BB139_76 Depth=1
	s_or_b64 exec, exec, s[14:15]
	s_branch .LBB139_98
.LBB139_97:                             ;   in Loop: Header=BB139_76 Depth=1
	s_waitcnt vmcnt(0) lgkmcnt(0)
	flat_load_dword v89, v[42:43]
	v_lshl_add_u64 v[42:43], v[18:19], 0, v[0:1]
	flat_load_dword v88, v[42:43]
	v_lshl_add_u64 v[42:43], v[16:17], 0, v[0:1]
	flat_load_dword v91, v[42:43]
	v_lshl_add_u64 v[42:43], v[14:15], 0, v[0:1]
	flat_load_dword v90, v[42:43]
.LBB139_98:                             ;   in Loop: Header=BB139_76 Depth=1
	ds_read_b32 v42, v57
	ds_read_b32 v92, v64 offset:64
	s_and_b64 vcc, exec, s[0:1]
	v_lshl_add_u64 v[46:47], v[28:29], 0, v[0:1]
	s_waitcnt vmcnt(0) lgkmcnt(0)
	v_mul_f32_e32 v43, v89, v42
	v_mul_f32_e32 v44, v88, v42
	ds_write_b32 v65, v43
	v_mul_f32_e32 v45, v91, v42
	ds_read_b32 v93, v64 offset:68
	ds_write_b32 v65, v44 offset:268
	ds_read_b32 v94, v64 offset:72
	ds_write_b32 v65, v45 offset:536
	v_mul_f32_e32 v42, v90, v42
	ds_read_b32 v95, v64 offset:76
	ds_write_b32 v65, v42 offset:804
	s_waitcnt lgkmcnt(0)
	s_barrier
	ds_read2_b32 v[44:45], v60 offset1:1
	ds_read2_b32 v[42:43], v60 offset0:2 offset1:3
	s_waitcnt lgkmcnt(0)
	s_barrier
	s_cbranch_vccnz .LBB139_126
; %bb.99:                               ;   in Loop: Header=BB139_76 Depth=1
	v_cmp_gt_i32_e32 vcc, s21, v70
	v_mov_b32_e32 v96, 0
	v_mov_b32_e32 v97, 0
	s_and_saveexec_b64 s[14:15], vcc
	s_cbranch_execz .LBB139_101
; %bb.100:                              ;   in Loop: Header=BB139_76 Depth=1
	flat_load_dword v97, v[46:47]
.LBB139_101:                            ;   in Loop: Header=BB139_76 Depth=1
	s_or_b64 exec, exec, s[14:15]
	v_cmp_gt_i32_e32 vcc, s21, v71
	s_and_saveexec_b64 s[14:15], vcc
	s_cbranch_execz .LBB139_103
; %bb.102:                              ;   in Loop: Header=BB139_76 Depth=1
	v_lshl_add_u64 v[48:49], v[26:27], 0, v[0:1]
	flat_load_dword v96, v[48:49]
.LBB139_103:                            ;   in Loop: Header=BB139_76 Depth=1
	s_or_b64 exec, exec, s[14:15]
	v_cmp_gt_i32_e32 vcc, s21, v72
	v_mov_b32_e32 v98, 0
	v_mov_b32_e32 v99, 0
	s_and_saveexec_b64 s[14:15], vcc
	s_cbranch_execz .LBB139_105
; %bb.104:                              ;   in Loop: Header=BB139_76 Depth=1
	v_lshl_add_u64 v[48:49], v[24:25], 0, v[0:1]
	flat_load_dword v99, v[48:49]
.LBB139_105:                            ;   in Loop: Header=BB139_76 Depth=1
	s_or_b64 exec, exec, s[14:15]
	v_cmp_gt_i32_e32 vcc, s21, v73
	s_and_saveexec_b64 s[14:15], vcc
	s_cbranch_execz .LBB139_107
; %bb.106:                              ;   in Loop: Header=BB139_76 Depth=1
	v_lshl_add_u64 v[48:49], v[22:23], 0, v[0:1]
	flat_load_dword v98, v[48:49]
.LBB139_107:                            ;   in Loop: Header=BB139_76 Depth=1
	s_or_b64 exec, exec, s[14:15]
	s_branch .LBB139_109
.LBB139_108:                            ;   in Loop: Header=BB139_76 Depth=1
	s_waitcnt vmcnt(0) lgkmcnt(0)
	flat_load_dword v97, v[46:47]
	v_lshl_add_u64 v[46:47], v[26:27], 0, v[0:1]
	flat_load_dword v96, v[46:47]
	v_lshl_add_u64 v[46:47], v[24:25], 0, v[0:1]
	;; [unrolled: 2-line block ×3, first 2 shown]
	flat_load_dword v98, v[46:47]
.LBB139_109:                            ;   in Loop: Header=BB139_76 Depth=1
	ds_read_b32 v46, v57
	ds_read_b32 v100, v64 offset:128
	s_and_b64 vcc, exec, s[0:1]
	v_lshl_add_u64 v[50:51], v[36:37], 0, v[0:1]
	s_waitcnt vmcnt(0) lgkmcnt(0)
	v_mul_f32_e32 v47, v97, v46
	v_mul_f32_e32 v48, v96, v46
	ds_write_b32 v65, v47
	v_mul_f32_e32 v49, v99, v46
	ds_read_b32 v101, v64 offset:132
	ds_write_b32 v65, v48 offset:268
	ds_read_b32 v102, v64 offset:136
	ds_write_b32 v65, v49 offset:536
	v_mul_f32_e32 v46, v98, v46
	ds_read_b32 v103, v64 offset:140
	ds_write_b32 v65, v46 offset:804
	s_waitcnt lgkmcnt(0)
	s_barrier
	ds_read2_b32 v[48:49], v60 offset1:1
	ds_read2_b32 v[46:47], v60 offset0:2 offset1:3
	s_waitcnt lgkmcnt(0)
	s_barrier
	s_cbranch_vccnz .LBB139_127
; %bb.110:                              ;   in Loop: Header=BB139_76 Depth=1
	v_cmp_gt_i32_e32 vcc, s21, v75
	v_mov_b32_e32 v104, 0
	v_mov_b32_e32 v105, 0
	s_and_saveexec_b64 s[0:1], vcc
	s_cbranch_execz .LBB139_112
; %bb.111:                              ;   in Loop: Header=BB139_76 Depth=1
	flat_load_dword v105, v[50:51]
.LBB139_112:                            ;   in Loop: Header=BB139_76 Depth=1
	s_or_b64 exec, exec, s[0:1]
	v_cmp_gt_i32_e32 vcc, s21, v77
	s_and_saveexec_b64 s[0:1], vcc
	s_cbranch_execz .LBB139_114
; %bb.113:                              ;   in Loop: Header=BB139_76 Depth=1
	v_lshl_add_u64 v[106:107], v[34:35], 0, v[0:1]
	flat_load_dword v104, v[106:107]
.LBB139_114:                            ;   in Loop: Header=BB139_76 Depth=1
	s_or_b64 exec, exec, s[0:1]
	v_cmp_gt_i32_e32 vcc, s21, v78
	v_mov_b32_e32 v106, 0
	v_mov_b32_e32 v107, 0
	s_and_saveexec_b64 s[0:1], vcc
	s_cbranch_execz .LBB139_116
; %bb.115:                              ;   in Loop: Header=BB139_76 Depth=1
	v_lshl_add_u64 v[108:109], v[32:33], 0, v[0:1]
	flat_load_dword v107, v[108:109]
.LBB139_116:                            ;   in Loop: Header=BB139_76 Depth=1
	s_or_b64 exec, exec, s[0:1]
	v_cmp_gt_i32_e32 vcc, s21, v79
	s_and_saveexec_b64 s[0:1], vcc
	s_cbranch_execz .LBB139_118
; %bb.117:                              ;   in Loop: Header=BB139_76 Depth=1
	v_lshl_add_u64 v[108:109], v[30:31], 0, v[0:1]
	flat_load_dword v106, v[108:109]
.LBB139_118:                            ;   in Loop: Header=BB139_76 Depth=1
	s_or_b64 exec, exec, s[0:1]
	s_branch .LBB139_120
.LBB139_119:                            ;   in Loop: Header=BB139_76 Depth=1
	s_waitcnt vmcnt(0) lgkmcnt(0)
	flat_load_dword v105, v[50:51]
	v_lshl_add_u64 v[50:51], v[34:35], 0, v[0:1]
	flat_load_dword v104, v[50:51]
	v_lshl_add_u64 v[50:51], v[32:33], 0, v[0:1]
	flat_load_dword v107, v[50:51]
	v_lshl_add_u64 v[50:51], v[30:31], 0, v[0:1]
	flat_load_dword v106, v[50:51]
.LBB139_120:                            ;   in Loop: Header=BB139_76 Depth=1
	v_add_f32_e32 v44, 0, v44
	v_add_f32_e32 v44, v44, v45
	ds_read_b32 v45, v57
	v_add_f32_e32 v48, 0, v48
	v_add_f32_e32 v48, v48, v49
	;; [unrolled: 1-line block ×6, first 2 shown]
	ds_read_b32 v40, v64 offset:192
	s_waitcnt vmcnt(0) lgkmcnt(0)
	v_mul_f32_e32 v42, v105, v45
	ds_write_b32 v65, v42
	v_mul_f32_e32 v43, v104, v45
	ds_read_b32 v42, v64 offset:196
	ds_write_b32 v65, v43 offset:268
	v_mul_f32_e32 v44, v107, v45
	ds_read_b32 v43, v64 offset:200
	ds_write_b32 v65, v44 offset:536
	v_mul_f32_e32 v45, v106, v45
	v_add_f32_e32 v50, v46, v47
	ds_read_b32 v44, v64 offset:204
	ds_write_b32 v65, v45 offset:804
	s_waitcnt lgkmcnt(0)
	s_barrier
	ds_read2_b32 v[46:47], v60 offset1:1
	v_add_f32_e32 v41, v48, v41
	ds_read2_b32 v[48:49], v60 offset0:2 offset1:3
	v_add_f32_e32 v38, v41, v38
	v_add_f32_e32 v38, v38, v39
	s_waitcnt lgkmcnt(1)
	v_add_f32_e32 v39, 0, v46
	v_cmp_gt_i32_e32 vcc, s21, v52
	v_add_f32_e32 v39, v39, v47
	s_or_b64 s[0:1], s[12:13], vcc
	s_waitcnt lgkmcnt(0)
	v_add_f32_e32 v39, v39, v48
	s_and_b64 s[12:13], s[6:7], s[0:1]
	v_add_f32_e32 v39, v39, v49
	s_barrier
	ds_write2_b32 v76, v38, v51 offset1:16
	ds_write2_b32 v76, v50, v39 offset0:32 offset1:48
	s_waitcnt lgkmcnt(0)
	s_barrier
	s_and_saveexec_b64 s[0:1], s[12:13]
	s_cbranch_execz .LBB139_122
; %bb.121:                              ;   in Loop: Header=BB139_76 Depth=1
	ds_read2_b32 v[38:39], v58 offset1:1
	ds_read2_b32 v[46:47], v58 offset0:2 offset1:3
	ds_read2_b32 v[48:49], v58 offset0:4 offset1:5
	;; [unrolled: 1-line block ×3, first 2 shown]
	s_waitcnt lgkmcnt(3)
	v_add_f32_e32 v38, v38, v39
	s_waitcnt lgkmcnt(2)
	v_add_f32_e32 v38, v38, v46
	v_add_f32_e32 v38, v38, v47
	s_waitcnt lgkmcnt(1)
	v_add_f32_e32 v38, v38, v48
	;; [unrolled: 3-line block ×3, first 2 shown]
	ds_read2_b32 v[38:39], v58 offset0:8 offset1:9
	v_add_f32_e32 v41, v41, v51
	ds_read2_b32 v[46:47], v58 offset0:10 offset1:11
	ds_read2_b32 v[48:49], v58 offset0:12 offset1:13
	ds_read_b32 v45, v58 offset:56
	s_waitcnt lgkmcnt(3)
	v_add_f32_e32 v38, v41, v38
	v_add_f32_e32 v38, v38, v39
	s_waitcnt lgkmcnt(2)
	v_add_f32_e32 v38, v38, v46
	ds_read_b32 v39, v59
	v_add_f32_e32 v38, v38, v47
	s_waitcnt lgkmcnt(2)
	v_add_f32_e32 v38, v38, v48
	v_add_f32_e32 v38, v38, v49
	s_waitcnt lgkmcnt(1)
	v_add_f32_e32 v38, v38, v45
	s_waitcnt lgkmcnt(0)
	v_add_f32_e32 v41, v38, v39
	v_add_u32_e32 v38, s17, v74
	v_ashrrev_i32_e32 v39, 31, v38
	v_lshl_add_u64 v[38:39], v[38:39], 2, s[8:9]
	global_store_dword v[38:39], v41, off
.LBB139_122:                            ;   in Loop: Header=BB139_76 Depth=1
	s_or_b64 exec, exec, s[0:1]
	v_fmac_f32_e32 v54, v81, v84
	v_fmac_f32_e32 v54, v80, v85
	;; [unrolled: 1-line block ×15, first 2 shown]
	s_add_i32 s0, s2, 1
	s_add_i32 s17, s17, 64
	s_add_i32 s1, s2, 2
	v_fmac_f32_e32 v54, v106, v44
	v_lshl_add_u64 v[8:9], v[8:9], 0, s[10:11]
	v_lshl_add_u64 v[10:11], v[10:11], 0, s[10:11]
	;; [unrolled: 1-line block ×15, first 2 shown]
	s_cmp_ge_u32 s1, s3
	v_lshl_add_u64 v[36:37], v[36:37], 0, s[10:11]
	s_barrier
	s_cbranch_scc1 .LBB139_128
; %bb.123:                              ;   in Loop: Header=BB139_76 Depth=1
	s_mov_b32 s2, s0
	s_cmp_eq_u32 s16, s2
	s_cselect_b32 s21, s29, 0
	s_and_saveexec_b64 s[0:1], s[4:5]
	s_cbranch_execnz .LBB139_73
	s_branch .LBB139_76
.LBB139_124:                            ;   in Loop: Header=BB139_76 Depth=1
                                        ; implicit-def: $vgpr82
                                        ; implicit-def: $vgpr83
                                        ; implicit-def: $vgpr80
                                        ; implicit-def: $vgpr81
	s_cbranch_execnz .LBB139_86
	s_branch .LBB139_87
.LBB139_125:                            ;   in Loop: Header=BB139_76 Depth=1
                                        ; implicit-def: $vgpr90
                                        ; implicit-def: $vgpr91
                                        ; implicit-def: $vgpr88
                                        ; implicit-def: $vgpr89
	s_cbranch_execnz .LBB139_97
	s_branch .LBB139_98
.LBB139_126:                            ;   in Loop: Header=BB139_76 Depth=1
                                        ; implicit-def: $vgpr98
                                        ; implicit-def: $vgpr99
                                        ; implicit-def: $vgpr96
                                        ; implicit-def: $vgpr97
	s_cbranch_execnz .LBB139_108
	s_branch .LBB139_109
.LBB139_127:                            ;   in Loop: Header=BB139_76 Depth=1
                                        ; implicit-def: $vgpr106
                                        ; implicit-def: $vgpr107
                                        ; implicit-def: $vgpr104
                                        ; implicit-def: $vgpr105
	s_cbranch_execnz .LBB139_119
	s_branch .LBB139_120
.LBB139_128:
	s_movk_i32 s0, 0x10c
	v_cmp_gt_i32_e32 vcc, s20, v52
	v_mad_u32_u24 v1, v53, s0, v0
	s_or_b64 s[0:1], s[22:23], vcc
	s_and_b64 s[0:1], s[4:5], s[0:1]
	ds_write_b32 v1, v54
	s_waitcnt lgkmcnt(0)
	s_barrier
	s_and_saveexec_b64 s[2:3], s[0:1]
	s_cbranch_execz .LBB139_130
; %bb.129:
	ds_read2_b32 v[2:3], v0 offset1:67
	ds_read2_b32 v[0:1], v0 offset0:134 offset1:201
	s_waitcnt lgkmcnt(1)
	v_add_f32_e32 v2, v2, v3
	s_waitcnt lgkmcnt(0)
	v_add_f32_e32 v0, v2, v0
	v_add_f32_e32 v2, v0, v1
	v_lshl_add_u64 v[0:1], v[4:5], 2, s[8:9]
	global_store_dword v[0:1], v2, off
.LBB139_130:
	s_endpgm
	.section	.rodata,"a",@progbits
	.p2align	6, 0x0
	.amdhsa_kernel _ZL26rocblas_hemvn_kernel_upperILb0ELi64ELi4ELi33ELi32ELi16ElfPKPKfPfEviT6_lT7_lT5_lS6_lS7_lS5_lT8_i
		.amdhsa_group_segment_fixed_size 4800
		.amdhsa_private_segment_fixed_size 0
		.amdhsa_kernarg_size 368
		.amdhsa_user_sgpr_count 2
		.amdhsa_user_sgpr_dispatch_ptr 0
		.amdhsa_user_sgpr_queue_ptr 0
		.amdhsa_user_sgpr_kernarg_segment_ptr 1
		.amdhsa_user_sgpr_dispatch_id 0
		.amdhsa_user_sgpr_kernarg_preload_length 0
		.amdhsa_user_sgpr_kernarg_preload_offset 0
		.amdhsa_user_sgpr_private_segment_size 0
		.amdhsa_uses_dynamic_stack 0
		.amdhsa_enable_private_segment 0
		.amdhsa_system_sgpr_workgroup_id_x 1
		.amdhsa_system_sgpr_workgroup_id_y 0
		.amdhsa_system_sgpr_workgroup_id_z 1
		.amdhsa_system_sgpr_workgroup_info 0
		.amdhsa_system_vgpr_workitem_id 1
		.amdhsa_next_free_vgpr 110
		.amdhsa_next_free_sgpr 41
		.amdhsa_accum_offset 112
		.amdhsa_reserve_vcc 1
		.amdhsa_float_round_mode_32 0
		.amdhsa_float_round_mode_16_64 0
		.amdhsa_float_denorm_mode_32 3
		.amdhsa_float_denorm_mode_16_64 3
		.amdhsa_dx10_clamp 1
		.amdhsa_ieee_mode 1
		.amdhsa_fp16_overflow 0
		.amdhsa_tg_split 0
		.amdhsa_exception_fp_ieee_invalid_op 0
		.amdhsa_exception_fp_denorm_src 0
		.amdhsa_exception_fp_ieee_div_zero 0
		.amdhsa_exception_fp_ieee_overflow 0
		.amdhsa_exception_fp_ieee_underflow 0
		.amdhsa_exception_fp_ieee_inexact 0
		.amdhsa_exception_int_div_zero 0
	.end_amdhsa_kernel
	.section	.text._ZL26rocblas_hemvn_kernel_upperILb0ELi64ELi4ELi33ELi32ELi16ElfPKPKfPfEviT6_lT7_lT5_lS6_lS7_lS5_lT8_i,"axG",@progbits,_ZL26rocblas_hemvn_kernel_upperILb0ELi64ELi4ELi33ELi32ELi16ElfPKPKfPfEviT6_lT7_lT5_lS6_lS7_lS5_lT8_i,comdat
.Lfunc_end139:
	.size	_ZL26rocblas_hemvn_kernel_upperILb0ELi64ELi4ELi33ELi32ELi16ElfPKPKfPfEviT6_lT7_lT5_lS6_lS7_lS5_lT8_i, .Lfunc_end139-_ZL26rocblas_hemvn_kernel_upperILb0ELi64ELi4ELi33ELi32ELi16ElfPKPKfPfEviT6_lT7_lT5_lS6_lS7_lS5_lT8_i
                                        ; -- End function
	.section	.AMDGPU.csdata,"",@progbits
; Kernel info:
; codeLenInByte = 6808
; NumSgprs: 47
; NumVgprs: 110
; NumAgprs: 0
; TotalNumVgprs: 110
; ScratchSize: 0
; MemoryBound: 0
; FloatMode: 240
; IeeeMode: 1
; LDSByteSize: 4800 bytes/workgroup (compile time only)
; SGPRBlocks: 5
; VGPRBlocks: 13
; NumSGPRsForWavesPerEU: 47
; NumVGPRsForWavesPerEU: 110
; AccumOffset: 112
; Occupancy: 4
; WaveLimiterHint : 1
; COMPUTE_PGM_RSRC2:SCRATCH_EN: 0
; COMPUTE_PGM_RSRC2:USER_SGPR: 2
; COMPUTE_PGM_RSRC2:TRAP_HANDLER: 0
; COMPUTE_PGM_RSRC2:TGID_X_EN: 1
; COMPUTE_PGM_RSRC2:TGID_Y_EN: 0
; COMPUTE_PGM_RSRC2:TGID_Z_EN: 1
; COMPUTE_PGM_RSRC2:TIDIG_COMP_CNT: 1
; COMPUTE_PGM_RSRC3_GFX90A:ACCUM_OFFSET: 27
; COMPUTE_PGM_RSRC3_GFX90A:TG_SPLIT: 0
	.section	.text._ZL36rocblas_hemvn_kernel_upper_block_sumILi64ElfPKPffEviT1_lS3_lT2_lT0_lPT3_i,"axG",@progbits,_ZL36rocblas_hemvn_kernel_upper_block_sumILi64ElfPKPffEviT1_lS3_lT2_lT0_lPT3_i,comdat
	.globl	_ZL36rocblas_hemvn_kernel_upper_block_sumILi64ElfPKPffEviT1_lS3_lT2_lT0_lPT3_i ; -- Begin function _ZL36rocblas_hemvn_kernel_upper_block_sumILi64ElfPKPffEviT1_lS3_lT2_lT0_lPT3_i
	.p2align	8
	.type	_ZL36rocblas_hemvn_kernel_upper_block_sumILi64ElfPKPffEviT1_lS3_lT2_lT0_lPT3_i,@function
_ZL36rocblas_hemvn_kernel_upper_block_sumILi64ElfPKPffEviT1_lS3_lT2_lT0_lPT3_i: ; @_ZL36rocblas_hemvn_kernel_upper_block_sumILi64ElfPKPffEviT1_lS3_lT2_lT0_lPT3_i
; %bb.0:
	s_mov_b32 s14, s3
	s_load_dwordx2 s[10:11], s[0:1], 0x0
	s_load_dword s3, s[0:1], 0x10
	s_mov_b32 s15, 0
	s_waitcnt lgkmcnt(0)
	v_cmp_eq_f32_e64 s[4:5], s11, 0
	v_cmp_eq_f32_e64 s[6:7], s3, 1.0
	s_and_b64 s[4:5], s[4:5], s[6:7]
	s_and_b64 vcc, exec, s[4:5]
	s_cbranch_vccnz .LBB140_19
; %bb.1:
	s_load_dwordx2 s[8:9], s[0:1], 0x20
	s_load_dwordx4 s[4:7], s[0:1], 0x28
	s_lshl_b64 s[12:13], s[14:15], 3
	v_lshl_or_b32 v0, s2, 6, v0
	s_waitcnt lgkmcnt(0)
	s_add_u32 s8, s8, s12
	s_addc_u32 s9, s9, s13
	s_load_dwordx2 s[8:9], s[8:9], 0x0
	s_lshl_b64 s[4:5], s[4:5], 2
	v_cmp_neq_f32_e64 s[12:13], s11, 0
	s_waitcnt lgkmcnt(0)
	s_add_u32 s8, s8, s4
	s_addc_u32 s9, s9, s5
	s_and_b64 vcc, exec, s[12:13]
	v_cmp_gt_i32_e64 s[4:5], s10, v0
	s_cbranch_vccnz .LBB140_6
; %bb.2:
	s_mov_b64 s[16:17], 0
	s_mov_b64 s[12:13], 0
                                        ; implicit-def: $vgpr1
                                        ; implicit-def: $vgpr2_vgpr3
	s_and_saveexec_b64 s[18:19], s[4:5]
	s_cbranch_execz .LBB140_7
; %bb.3:
	v_ashrrev_i32_e32 v2, 31, v0
	v_cmp_eq_f32_e64 s[4:5], s3, 0
	v_mul_lo_u32 v4, v0, s7
	v_mul_lo_u32 v5, v2, s6
	v_mad_u64_u32 v[2:3], s[12:13], v0, s6, 0
	v_mov_b32_e32 v1, 0
	v_add3_u32 v3, v3, v4, v5
	s_and_b64 vcc, exec, s[4:5]
	s_cbranch_vccnz .LBB140_5
; %bb.4:
	v_lshl_add_u64 v[4:5], v[2:3], 2, s[8:9]
	global_load_dword v1, v[4:5], off
	s_waitcnt vmcnt(0)
	v_mul_f32_e32 v1, s3, v1
.LBB140_5:
	s_mov_b64 s[12:13], exec
	s_or_b64 exec, exec, s[18:19]
	s_and_b64 vcc, exec, s[16:17]
	s_cbranch_vccnz .LBB140_8
	s_branch .LBB140_17
.LBB140_6:
	s_mov_b64 s[12:13], 0
                                        ; implicit-def: $vgpr1
                                        ; implicit-def: $vgpr2_vgpr3
	s_cbranch_execnz .LBB140_8
	s_branch .LBB140_17
.LBB140_7:
	s_or_b64 exec, exec, s[18:19]
	s_and_b64 vcc, exec, s[16:17]
	s_cbranch_vccz .LBB140_17
.LBB140_8:
	v_cmp_gt_i32_e32 vcc, s10, v0
                                        ; implicit-def: $vgpr1
                                        ; implicit-def: $vgpr2_vgpr3
	s_and_saveexec_b64 s[4:5], vcc
	s_cbranch_execz .LBB140_16
; %bb.9:
	v_ashrrev_i32_e32 v1, 31, v0
	s_cmp_lt_i32 s2, 0
	v_mov_b32_e32 v4, 0
	s_cbranch_scc1 .LBB140_12
; %bb.10:
	s_load_dwordx2 s[18:19], s[0:1], 0x40
	s_load_dword s15, s[0:1], 0x50
	s_ashr_i32 s17, s10, 31
	s_mul_hi_u32 s0, s10, s14
	s_mul_i32 s1, s17, s14
	s_mov_b32 s16, s10
	s_add_i32 s0, s0, s1
	s_mul_i32 s10, s10, s14
	s_waitcnt lgkmcnt(0)
	s_mul_i32 s0, s0, s15
	s_mul_hi_u32 s1, s10, s15
	s_add_i32 s1, s1, s0
	s_mul_i32 s0, s10, s15
	s_lshl_b64 s[0:1], s[0:1], 2
	s_add_u32 s0, s18, s0
	s_addc_u32 s1, s19, s1
	v_lshl_add_u64 v[2:3], v[0:1], 2, s[0:1]
	s_add_i32 s2, s2, 1
	s_lshl_b64 s[0:1], s[16:17], 2
	v_mov_b32_e32 v4, 0
.LBB140_11:                             ; =>This Inner Loop Header: Depth=1
	global_load_dword v5, v[2:3], off
	s_add_i32 s2, s2, -1
	v_lshl_add_u64 v[2:3], v[2:3], 0, s[0:1]
	s_cmp_eq_u32 s2, 0
	s_waitcnt vmcnt(0)
	v_add_f32_e32 v4, v4, v5
	s_cbranch_scc0 .LBB140_11
.LBB140_12:
	v_cmp_eq_f32_e64 s[0:1], s3, 0
	s_and_b64 vcc, exec, s[0:1]
	v_mul_lo_u32 v5, v1, s6
	v_mul_lo_u32 v6, v0, s7
	s_cbranch_vccz .LBB140_20
; %bb.13:
	v_mad_u64_u32 v[2:3], s[0:1], v0, s6, 0
	v_mul_f32_e32 v1, s11, v4
	v_add3_u32 v3, v3, v6, v5
	s_cbranch_execnz .LBB140_15
.LBB140_14:
	v_mad_u64_u32 v[2:3], s[0:1], v0, s6, 0
	v_add3_u32 v3, v3, v6, v5
	v_lshl_add_u64 v[0:1], v[2:3], 2, s[8:9]
	global_load_dword v0, v[0:1], off
	s_waitcnt vmcnt(0)
	v_mul_f32_e32 v1, s3, v0
	v_fmac_f32_e32 v1, s11, v4
.LBB140_15:
	s_or_b64 s[12:13], s[12:13], exec
.LBB140_16:
	s_or_b64 exec, exec, s[4:5]
.LBB140_17:
	s_and_saveexec_b64 s[0:1], s[12:13]
	s_cbranch_execz .LBB140_19
; %bb.18:
	v_lshl_add_u64 v[2:3], v[2:3], 2, s[8:9]
	global_store_dword v[2:3], v1, off
.LBB140_19:
	s_endpgm
.LBB140_20:
                                        ; implicit-def: $vgpr1
                                        ; implicit-def: $vgpr2_vgpr3
	s_branch .LBB140_14
	.section	.rodata,"a",@progbits
	.p2align	6, 0x0
	.amdhsa_kernel _ZL36rocblas_hemvn_kernel_upper_block_sumILi64ElfPKPffEviT1_lS3_lT2_lT0_lPT3_i
		.amdhsa_group_segment_fixed_size 0
		.amdhsa_private_segment_fixed_size 0
		.amdhsa_kernarg_size 336
		.amdhsa_user_sgpr_count 2
		.amdhsa_user_sgpr_dispatch_ptr 0
		.amdhsa_user_sgpr_queue_ptr 0
		.amdhsa_user_sgpr_kernarg_segment_ptr 1
		.amdhsa_user_sgpr_dispatch_id 0
		.amdhsa_user_sgpr_kernarg_preload_length 0
		.amdhsa_user_sgpr_kernarg_preload_offset 0
		.amdhsa_user_sgpr_private_segment_size 0
		.amdhsa_uses_dynamic_stack 0
		.amdhsa_enable_private_segment 0
		.amdhsa_system_sgpr_workgroup_id_x 1
		.amdhsa_system_sgpr_workgroup_id_y 0
		.amdhsa_system_sgpr_workgroup_id_z 1
		.amdhsa_system_sgpr_workgroup_info 0
		.amdhsa_system_vgpr_workitem_id 0
		.amdhsa_next_free_vgpr 7
		.amdhsa_next_free_sgpr 20
		.amdhsa_accum_offset 8
		.amdhsa_reserve_vcc 1
		.amdhsa_float_round_mode_32 0
		.amdhsa_float_round_mode_16_64 0
		.amdhsa_float_denorm_mode_32 3
		.amdhsa_float_denorm_mode_16_64 3
		.amdhsa_dx10_clamp 1
		.amdhsa_ieee_mode 1
		.amdhsa_fp16_overflow 0
		.amdhsa_tg_split 0
		.amdhsa_exception_fp_ieee_invalid_op 0
		.amdhsa_exception_fp_denorm_src 0
		.amdhsa_exception_fp_ieee_div_zero 0
		.amdhsa_exception_fp_ieee_overflow 0
		.amdhsa_exception_fp_ieee_underflow 0
		.amdhsa_exception_fp_ieee_inexact 0
		.amdhsa_exception_int_div_zero 0
	.end_amdhsa_kernel
	.section	.text._ZL36rocblas_hemvn_kernel_upper_block_sumILi64ElfPKPffEviT1_lS3_lT2_lT0_lPT3_i,"axG",@progbits,_ZL36rocblas_hemvn_kernel_upper_block_sumILi64ElfPKPffEviT1_lS3_lT2_lT0_lPT3_i,comdat
.Lfunc_end140:
	.size	_ZL36rocblas_hemvn_kernel_upper_block_sumILi64ElfPKPffEviT1_lS3_lT2_lT0_lPT3_i, .Lfunc_end140-_ZL36rocblas_hemvn_kernel_upper_block_sumILi64ElfPKPffEviT1_lS3_lT2_lT0_lPT3_i
                                        ; -- End function
	.section	.AMDGPU.csdata,"",@progbits
; Kernel info:
; codeLenInByte = 580
; NumSgprs: 26
; NumVgprs: 7
; NumAgprs: 0
; TotalNumVgprs: 7
; ScratchSize: 0
; MemoryBound: 0
; FloatMode: 240
; IeeeMode: 1
; LDSByteSize: 0 bytes/workgroup (compile time only)
; SGPRBlocks: 3
; VGPRBlocks: 0
; NumSGPRsForWavesPerEU: 26
; NumVGPRsForWavesPerEU: 7
; AccumOffset: 8
; Occupancy: 8
; WaveLimiterHint : 1
; COMPUTE_PGM_RSRC2:SCRATCH_EN: 0
; COMPUTE_PGM_RSRC2:USER_SGPR: 2
; COMPUTE_PGM_RSRC2:TRAP_HANDLER: 0
; COMPUTE_PGM_RSRC2:TGID_X_EN: 1
; COMPUTE_PGM_RSRC2:TGID_Y_EN: 0
; COMPUTE_PGM_RSRC2:TGID_Z_EN: 1
; COMPUTE_PGM_RSRC2:TIDIG_COMP_CNT: 0
; COMPUTE_PGM_RSRC3_GFX90A:ACCUM_OFFSET: 1
; COMPUTE_PGM_RSRC3_GFX90A:TG_SPLIT: 0
	.section	.text._ZL26rocblas_hemvn_kernel_upperILb0ELi64ELi4ELi33ELi32ELi16EifPKPKfPfEviT6_lT7_lT5_lS6_lS7_lS5_lT8_i,"axG",@progbits,_ZL26rocblas_hemvn_kernel_upperILb0ELi64ELi4ELi33ELi32ELi16EifPKPKfPfEviT6_lT7_lT5_lS6_lS7_lS5_lT8_i,comdat
	.globl	_ZL26rocblas_hemvn_kernel_upperILb0ELi64ELi4ELi33ELi32ELi16EifPKPKfPfEviT6_lT7_lT5_lS6_lS7_lS5_lT8_i ; -- Begin function _ZL26rocblas_hemvn_kernel_upperILb0ELi64ELi4ELi33ELi32ELi16EifPKPKfPfEviT6_lT7_lT5_lS6_lS7_lS5_lT8_i
	.p2align	8
	.type	_ZL26rocblas_hemvn_kernel_upperILb0ELi64ELi4ELi33ELi32ELi16EifPKPKfPfEviT6_lT7_lT5_lS6_lS7_lS5_lT8_i,@function
_ZL26rocblas_hemvn_kernel_upperILb0ELi64ELi4ELi33ELi32ELi16EifPKPKfPfEviT6_lT7_lT5_lS6_lS7_lS5_lT8_i: ; @_ZL26rocblas_hemvn_kernel_upperILb0ELi64ELi4ELi33ELi32ELi16EifPKPKfPfEviT6_lT7_lT5_lS6_lS7_lS5_lT8_i
; %bb.0:
	s_load_dwordx2 s[4:5], s[0:1], 0x7c
	s_add_u32 s8, s0, 0x70
	s_mov_b32 s26, s3
	s_addc_u32 s9, s1, 0
	s_waitcnt lgkmcnt(0)
	s_and_b32 s3, s5, 0xffff
	s_lshr_b32 s5, s4, 16
	s_and_b32 s4, s4, 0xffff
	s_mul_i32 s4, s5, s4
	s_mul_i32 s4, s4, s3
	s_cmpk_lg_i32 s4, 0x100
	s_cbranch_scc1 .LBB141_130
; %bb.1:
	s_load_dwordx2 s[28:29], s[0:1], 0x0
	s_load_dword s3, s[0:1], 0x50
	s_waitcnt lgkmcnt(0)
	v_cmp_eq_f32_e64 s[4:5], s29, 0
	v_cmp_eq_f32_e64 s[6:7], s3, 1.0
	s_and_b64 s[6:7], s[4:5], s[6:7]
	s_and_b64 vcc, exec, s[6:7]
	s_cbranch_vccnz .LBB141_130
; %bb.2:
	s_mov_b32 s27, 0
	v_cmp_neq_f32_e64 s[12:13], s29, 0
	s_mov_b64 s[10:11], 0
	s_and_b64 vcc, exec, s[4:5]
	s_mov_b64 s[6:7], 0
	s_cbranch_vccnz .LBB141_4
; %bb.3:
	s_load_dwordx4 s[4:7], s[0:1], 0x10
	s_lshl_b64 s[14:15], s[26:27], 3
	s_waitcnt lgkmcnt(0)
	s_add_u32 s4, s4, s14
	s_addc_u32 s5, s5, s15
	s_load_dwordx2 s[4:5], s[4:5], 0x0
	s_lshl_b64 s[6:7], s[6:7], 2
	s_waitcnt lgkmcnt(0)
	s_add_u32 s6, s4, s6
	s_addc_u32 s7, s5, s7
.LBB141_4:
	v_cndmask_b32_e64 v1, 0, 1, s[12:13]
	v_cmp_ne_u32_e64 s[4:5], 1, v1
	s_andn2_b64 vcc, exec, s[12:13]
	s_cbranch_vccnz .LBB141_6
; %bb.5:
	s_load_dwordx4 s[12:15], s[0:1], 0x30
	s_lshl_b64 s[10:11], s[26:27], 3
	s_waitcnt lgkmcnt(0)
	s_add_u32 s10, s12, s10
	s_addc_u32 s11, s13, s11
	s_load_dwordx2 s[10:11], s[10:11], 0x0
	s_lshl_b64 s[12:13], s[14:15], 2
	s_waitcnt lgkmcnt(0)
	s_add_u32 s10, s10, s12
	s_addc_u32 s11, s11, s13
.LBB141_6:
	s_and_b64 vcc, exec, s[4:5]
	s_cbranch_vccnz .LBB141_130
; %bb.7:
	s_load_dword s3, s[8:9], 0x0
	s_load_dword s29, s[0:1], 0x40
	s_ashr_i32 s33, s28, 31
	s_lshr_b32 s5, s33, 26
	v_and_b32_e32 v6, 0x3ff, v0
	s_lshl_b32 s24, s2, 6
	s_add_i32 s5, s28, s5
	s_andn2_b32 s5, s5, 63
	v_add_u32_e32 v4, s24, v6
	v_bfe_u32 v5, v0, 10, 10
	s_waitcnt lgkmcnt(0)
	s_add_i32 s4, s3, -1
	s_sub_i32 s27, s28, s5
	v_mul_lo_u32 v0, v4, s29
	s_cmp_eq_u32 s2, s4
	v_ashrrev_i32_e32 v1, 31, v0
	s_cselect_b32 s18, s27, 0
	v_lshl_add_u64 v[10:11], v[0:1], 2, s[10:11]
	v_cmp_eq_u32_e64 s[14:15], 0, v5
	s_and_saveexec_b64 s[4:5], s[14:15]
	s_cbranch_execz .LBB141_11
; %bb.8:
	s_cmp_eq_u32 s18, 0
	s_cselect_b64 s[8:9], -1, 0
	v_cmp_gt_i32_e32 vcc, s18, v6
	s_or_b64 s[10:11], s[8:9], vcc
	v_mov_b32_e32 v0, 0
	s_and_saveexec_b64 s[8:9], s[10:11]
	s_cbranch_execz .LBB141_10
; %bb.9:
	flat_load_dword v0, v[10:11]
.LBB141_10:
	s_or_b64 exec, exec, s[8:9]
	v_lshlrev_b32_e32 v1, 2, v6
	s_waitcnt vmcnt(0) lgkmcnt(0)
	ds_write_b32 v1, v0 offset:4544
.LBB141_11:
	s_or_b64 exec, exec, s[4:5]
	s_load_dword s22, s[0:1], 0x20
	s_ashr_i32 s25, s24, 31
	v_lshl_add_u32 v18, v5, 6, v6
	s_lshl_b64 s[4:5], s[24:25], 2
	v_and_b32_e32 v0, 31, v6
	v_lshrrev_b32_e32 v1, 5, v18
	s_add_u32 s6, s6, s4
	s_addc_u32 s7, s7, s5
	s_waitcnt lgkmcnt(0)
	v_mad_u64_u32 v[8:9], s[4:5], v1, s22, v[0:1]
	s_mul_i32 s4, s24, s22
	s_ashr_i32 s5, s4, 31
	s_lshl_b64 s[4:5], s[4:5], 2
	s_add_u32 s4, s4, s6
	s_addc_u32 s5, s5, s7
	s_cmp_eq_u32 s18, 0
	s_cselect_b64 s[20:21], -1, 0
	s_cmp_lg_u32 s18, 0
	v_ashrrev_i32_e32 v9, 31, v8
	s_cselect_b64 s[34:35], -1, 0
	v_lshl_add_u64 v[12:13], v[8:9], 2, s[4:5]
	s_and_b64 vcc, exec, s[34:35]
	v_cmp_gt_i32_e64 s[4:5], s18, v0
	v_lshlrev_b32_e32 v2, 2, v0
	s_cbranch_vccz .LBB141_21
; %bb.12:
	v_sub_co_u32_e32 v14, vcc, v12, v2
	s_ashr_i32 s19, s18, 31
	s_nop 0
	v_subbrev_co_u32_e32 v15, vcc, 0, v13, vcc
	v_lshl_add_u64 v[14:15], s[18:19], 2, v[14:15]
	v_lshl_add_u64 v[14:15], v[14:15], 0, -4
	v_cndmask_b32_e64 v15, v15, v13, s[4:5]
	v_cndmask_b32_e64 v14, v14, v12, s[4:5]
	v_cmp_gt_i32_e32 vcc, s18, v1
	v_mov_b32_e32 v7, 0
	v_mov_b32_e32 v16, 0
	s_and_saveexec_b64 s[6:7], vcc
	s_cbranch_execz .LBB141_14
; %bb.13:
	flat_load_dword v16, v[14:15]
.LBB141_14:
	s_or_b64 exec, exec, s[6:7]
	v_mul_u32_u24_e32 v3, 33, v1
	v_add_lshl_u32 v3, v3, v0, 2
	s_waitcnt vmcnt(0) lgkmcnt(0)
	ds_write_b32 v3, v16
	v_add_u32_e32 v16, 8, v1
	v_cmp_gt_i32_e32 vcc, s18, v16
	s_and_saveexec_b64 s[6:7], vcc
	s_cbranch_execz .LBB141_16
; %bb.15:
	s_lshl_b32 s8, s22, 3
	s_ashr_i32 s9, s8, 31
	v_lshl_add_u64 v[16:17], s[8:9], 2, v[14:15]
	flat_load_dword v7, v[16:17]
.LBB141_16:
	s_or_b64 exec, exec, s[6:7]
	s_waitcnt vmcnt(0) lgkmcnt(0)
	ds_write_b32 v3, v7 offset:1056
	v_add_u32_e32 v7, 16, v1
	v_cmp_gt_i32_e32 vcc, s18, v7
	v_mov_b32_e32 v7, 0
	v_mov_b32_e32 v16, 0
	s_and_saveexec_b64 s[6:7], vcc
	s_cbranch_execz .LBB141_18
; %bb.17:
	s_lshl_b32 s8, s22, 4
	s_ashr_i32 s9, s8, 31
	v_lshl_add_u64 v[16:17], s[8:9], 2, v[14:15]
	flat_load_dword v16, v[16:17]
.LBB141_18:
	s_or_b64 exec, exec, s[6:7]
	s_waitcnt vmcnt(0) lgkmcnt(0)
	ds_write_b32 v3, v16 offset:2112
	v_add_u32_e32 v16, 24, v1
	v_cmp_gt_i32_e32 vcc, s18, v16
	s_and_saveexec_b64 s[6:7], vcc
	s_cbranch_execz .LBB141_20
; %bb.19:
	s_mul_i32 s8, s22, 24
	s_ashr_i32 s9, s8, 31
	v_lshl_add_u64 v[16:17], s[8:9], 2, v[14:15]
	flat_load_dword v7, v[16:17]
.LBB141_20:
	s_or_b64 exec, exec, s[6:7]
	s_waitcnt vmcnt(0) lgkmcnt(0)
	ds_write_b32 v3, v7 offset:3168
	v_mov_b32_e32 v3, 0
	v_lshl_add_u64 v[14:15], v[14:15], 0, v[2:3]
	s_lshl_b64 s[6:7], s[18:19], 2
	v_mov_b32_e32 v3, s7
	v_subrev_co_u32_e32 v14, vcc, s6, v14
	s_nop 1
	v_subb_co_u32_e32 v15, vcc, v15, v3, vcc
	v_lshl_add_u64 v[14:15], v[14:15], 0, 4
	v_cndmask_b32_e64 v15, v15, v13, s[4:5]
	v_cndmask_b32_e64 v14, v14, v12, s[4:5]
	v_mul_u32_u24_e32 v22, 33, v1
	s_branch .LBB141_23
.LBB141_21:
                                        ; implicit-def: $vgpr14_vgpr15
	v_mul_u32_u24_e32 v22, 33, v1
	s_cbranch_execz .LBB141_23
; %bb.22:
	flat_load_dword v3, v[12:13]
	s_lshl_b32 s4, s22, 3
	v_add_lshl_u32 v7, v22, v0, 2
	s_ashr_i32 s5, s4, 31
	v_lshl_add_u64 v[14:15], s[4:5], 2, v[12:13]
	s_ashr_i32 s23, s22, 31
	s_lshl_b64 s[4:5], s[22:23], 5
	s_waitcnt vmcnt(0) lgkmcnt(0)
	ds_write_b32 v7, v3
	flat_load_dword v3, v[14:15]
	v_lshl_add_u64 v[14:15], v[14:15], 0, s[4:5]
	s_waitcnt vmcnt(0) lgkmcnt(0)
	ds_write_b32 v7, v3 offset:1056
	flat_load_dword v3, v[14:15]
	v_lshl_add_u64 v[14:15], v[14:15], 0, s[4:5]
	s_waitcnt vmcnt(0) lgkmcnt(0)
	ds_write_b32 v7, v3 offset:2112
	flat_load_dword v3, v[14:15]
	v_mov_b64_e32 v[14:15], v[12:13]
	s_waitcnt vmcnt(0) lgkmcnt(0)
	ds_write_b32 v7, v3 offset:3168
.LBB141_23:
	v_lshlrev_b32_e32 v19, 2, v1
	v_mul_u32_u24_e32 v20, 33, v0
	v_cmp_gt_u32_e64 s[6:7], v19, v0
	v_add_lshl_u32 v27, v19, v20, 2
	s_waitcnt lgkmcnt(0)
	s_barrier
	s_and_saveexec_b64 s[4:5], s[6:7]
	s_cbranch_execz .LBB141_25
; %bb.24:
	v_mul_u32_u24_e32 v3, 0x84, v1
	v_add_lshl_u32 v3, v3, v0, 2
	ds_read_b32 v3, v3
	s_waitcnt lgkmcnt(0)
	ds_write_b32 v27, v3
.LBB141_25:
	s_or_b64 exec, exec, s[4:5]
	v_cmp_ge_u32_e64 s[8:9], v19, v0
	s_and_saveexec_b64 s[4:5], s[8:9]
	s_cbranch_execz .LBB141_27
; %bb.26:
	v_or_b32_e32 v3, 1, v19
	v_mul_u32_u24_e32 v3, 33, v3
	v_add_lshl_u32 v3, v3, v0, 2
	ds_read_b32 v3, v3
	s_waitcnt lgkmcnt(0)
	ds_write_b32 v27, v3 offset:4
.LBB141_27:
	s_or_b64 exec, exec, s[4:5]
	v_or_b32_e32 v3, 2, v19
	v_cmp_gt_u32_e64 s[10:11], v3, v0
	s_and_saveexec_b64 s[4:5], s[10:11]
	s_cbranch_execz .LBB141_29
; %bb.28:
	v_mul_u32_u24_e32 v3, 33, v3
	v_add_lshl_u32 v3, v3, v0, 2
	ds_read_b32 v3, v3
	s_waitcnt lgkmcnt(0)
	ds_write_b32 v27, v3 offset:8
.LBB141_29:
	s_or_b64 exec, exec, s[4:5]
	v_or_b32_e32 v3, 3, v19
	v_cmp_gt_u32_e64 s[12:13], v3, v0
	v_mad_u32_u24 v3, v3, 33, v0
	v_lshlrev_b32_e32 v24, 2, v3
	s_and_saveexec_b64 s[4:5], s[12:13]
	s_cbranch_execz .LBB141_31
; %bb.30:
	ds_read_b32 v3, v24
	s_waitcnt lgkmcnt(0)
	ds_write_b32 v27, v3 offset:12
.LBB141_31:
	s_or_b64 exec, exec, s[4:5]
	v_mul_u32_u24_e32 v3, 0x84, v1
	v_add_u32_e32 v26, 0xfffffef8, v24
	s_waitcnt lgkmcnt(0)
	s_barrier
	v_add_lshl_u32 v25, v3, v0, 2
	v_lshlrev_b32_e32 v28, 2, v19
	ds_read2_b32 v[12:13], v26 offset1:33
	ds_read_b32 v16, v25
	ds_read_b128 v[30:33], v28 offset:4544
	ds_read_b32 v35, v24
	v_add_lshl_u32 v23, v1, v20, 2
	s_waitcnt lgkmcnt(3)
	v_mov_b32_e32 v17, v12
	v_mov_b32_e32 v34, v13
	s_waitcnt lgkmcnt(1)
	v_pk_mul_f32 v[16:17], v[16:17], v[30:31]
	s_waitcnt lgkmcnt(0)
	v_pk_mul_f32 v[12:13], v[34:35], v[32:33]
	v_add_f32_e32 v3, 0, v16
	v_add_f32_e32 v3, v3, v17
	;; [unrolled: 1-line block ×4, first 2 shown]
	v_cmp_gt_u32_e64 s[4:5], 32, v18
	v_mov_b32_e32 v7, 0
	v_lshlrev_b32_e32 v21, 2, v20
	s_barrier
	ds_write_b32 v23, v3
	s_waitcnt lgkmcnt(0)
	s_barrier
	s_and_saveexec_b64 s[16:17], s[4:5]
	s_cbranch_execz .LBB141_33
; %bb.32:
	ds_read2_b32 v[12:13], v21 offset1:1
	ds_read2_b32 v[16:17], v21 offset0:2 offset1:3
	ds_read2_b32 v[30:31], v21 offset0:4 offset1:5
	;; [unrolled: 1-line block ×3, first 2 shown]
	s_waitcnt lgkmcnt(3)
	v_add_f32_e32 v3, v12, v13
	s_waitcnt lgkmcnt(2)
	v_add_f32_e32 v3, v3, v16
	v_add_f32_e32 v3, v3, v17
	s_waitcnt lgkmcnt(1)
	v_add_f32_e32 v3, v3, v30
	;; [unrolled: 3-line block ×3, first 2 shown]
	v_add_f32_e32 v7, v3, v33
.LBB141_33:
	s_or_b64 exec, exec, s[16:17]
	s_lshl_b32 s30, s22, 5
	s_ashr_i32 s31, s30, 31
	v_lshl_add_u64 v[14:15], s[30:31], 2, v[14:15]
	s_mov_b64 s[16:17], 0x80
	v_lshl_add_u64 v[12:13], v[14:15], 0, s[16:17]
	s_and_b64 vcc, exec, s[34:35]
	s_barrier
	s_cbranch_vccz .LBB141_43
; %bb.34:
	v_or_b32_e32 v3, 32, v0
	v_lshlrev_b32_e32 v16, 2, v3
	v_sub_co_u32_e32 v16, vcc, v12, v16
	s_ashr_i32 s19, s18, 31
	s_nop 0
	v_subbrev_co_u32_e32 v17, vcc, 0, v13, vcc
	v_lshl_add_u64 v[16:17], s[18:19], 2, v[16:17]
	v_lshl_add_u64 v[16:17], v[16:17], 0, -4
	v_cmp_gt_i32_e32 vcc, s18, v3
	s_sub_i32 s23, s18, 32
	v_mov_b32_e32 v29, 0
	v_cndmask_b32_e32 v17, v17, v13, vcc
	v_cndmask_b32_e32 v16, v16, v12, vcc
	v_cmp_gt_i32_e64 s[16:17], s23, v1
	v_mov_b32_e32 v30, 0
	s_and_saveexec_b64 s[36:37], s[16:17]
	s_cbranch_execz .LBB141_36
; %bb.35:
	flat_load_dword v30, v[16:17]
.LBB141_36:
	s_or_b64 exec, exec, s[36:37]
	v_add_lshl_u32 v3, v22, v0, 2
	s_waitcnt vmcnt(0) lgkmcnt(0)
	ds_write_b32 v3, v30
	v_add_u32_e32 v30, 8, v1
	v_cmp_gt_i32_e64 s[16:17], s23, v30
	s_and_saveexec_b64 s[36:37], s[16:17]
	s_cbranch_execz .LBB141_38
; %bb.37:
	s_lshl_b32 s16, s22, 3
	s_ashr_i32 s17, s16, 31
	v_lshl_add_u64 v[30:31], s[16:17], 2, v[16:17]
	flat_load_dword v29, v[30:31]
.LBB141_38:
	s_or_b64 exec, exec, s[36:37]
	s_waitcnt vmcnt(0) lgkmcnt(0)
	ds_write_b32 v3, v29 offset:1056
	v_add_u32_e32 v29, 16, v1
	v_cmp_gt_i32_e64 s[16:17], s23, v29
	v_mov_b32_e32 v29, 0
	v_mov_b32_e32 v30, 0
	s_and_saveexec_b64 s[36:37], s[16:17]
	s_cbranch_execz .LBB141_40
; %bb.39:
	s_lshl_b32 s16, s22, 4
	s_ashr_i32 s17, s16, 31
	v_lshl_add_u64 v[30:31], s[16:17], 2, v[16:17]
	flat_load_dword v30, v[30:31]
.LBB141_40:
	s_or_b64 exec, exec, s[36:37]
	s_waitcnt vmcnt(0) lgkmcnt(0)
	ds_write_b32 v3, v30 offset:2112
	v_add_u32_e32 v30, 24, v1
	v_cmp_gt_i32_e64 s[16:17], s23, v30
	s_and_saveexec_b64 s[36:37], s[16:17]
	s_cbranch_execz .LBB141_42
; %bb.41:
	s_mul_i32 s16, s22, 24
	s_ashr_i32 s17, s16, 31
	v_lshl_add_u64 v[30:31], s[16:17], 2, v[16:17]
	flat_load_dword v29, v[30:31]
.LBB141_42:
	s_or_b64 exec, exec, s[36:37]
	s_waitcnt vmcnt(0) lgkmcnt(0)
	ds_write_b32 v3, v29 offset:3168
	v_mov_b32_e32 v3, 0
	v_lshl_add_u64 v[16:17], v[16:17], 0, v[2:3]
	s_lshl_b64 s[16:17], s[18:19], 2
	v_mov_b32_e32 v3, s17
	v_subrev_co_u32_e64 v16, s[16:17], s16, v16
	s_nop 1
	v_subb_co_u32_e64 v17, s[16:17], v17, v3, s[16:17]
	s_mov_b64 s[16:17], 0x84
	s_nop 0
	v_lshl_add_u64 v[16:17], v[16:17], 0, s[16:17]
	v_cndmask_b32_e32 v17, v17, v13, vcc
	v_cndmask_b32_e32 v16, v16, v12, vcc
	s_branch .LBB141_45
.LBB141_43:
                                        ; implicit-def: $vgpr16_vgpr17
	s_cbranch_execz .LBB141_45
; %bb.44:
	flat_load_dword v3, v[14:15] offset:128
	s_lshl_b32 s16, s22, 3
	v_add_lshl_u32 v16, v22, v0, 2
	s_ashr_i32 s17, s16, 31
	v_lshl_add_u64 v[14:15], s[16:17], 2, v[14:15]
	s_ashr_i32 s23, s22, 31
	s_lshl_b64 s[16:17], s[22:23], 5
	s_waitcnt vmcnt(0) lgkmcnt(0)
	ds_write_b32 v16, v3
	flat_load_dword v3, v[14:15] offset:128
	v_lshl_add_u64 v[14:15], v[14:15], 0, s[16:17]
	s_waitcnt vmcnt(0) lgkmcnt(0)
	ds_write_b32 v16, v3 offset:1056
	flat_load_dword v3, v[14:15] offset:128
	v_lshl_add_u64 v[14:15], v[14:15], 0, s[16:17]
	s_waitcnt vmcnt(0) lgkmcnt(0)
	ds_write_b32 v16, v3 offset:2112
	flat_load_dword v3, v[14:15] offset:128
	s_waitcnt vmcnt(0) lgkmcnt(0)
	ds_write_b32 v16, v3 offset:3168
	v_mov_b64_e32 v[16:17], v[12:13]
.LBB141_45:
	s_waitcnt lgkmcnt(0)
	s_barrier
	s_and_saveexec_b64 s[16:17], s[6:7]
	s_cbranch_execnz .LBB141_62
; %bb.46:
	s_or_b64 exec, exec, s[16:17]
	s_and_saveexec_b64 s[6:7], s[8:9]
	s_cbranch_execnz .LBB141_63
.LBB141_47:
	s_or_b64 exec, exec, s[6:7]
	s_and_saveexec_b64 s[6:7], s[10:11]
	s_cbranch_execnz .LBB141_64
.LBB141_48:
	s_or_b64 exec, exec, s[6:7]
	v_add_u32_e32 v28, 0x11c0, v28
	s_and_saveexec_b64 s[6:7], s[12:13]
	s_cbranch_execz .LBB141_50
.LBB141_49:
	ds_read_b32 v3, v24
	s_waitcnt lgkmcnt(0)
	ds_write_b32 v27, v3 offset:12
.LBB141_50:
	s_or_b64 exec, exec, s[6:7]
	s_waitcnt lgkmcnt(0)
	s_barrier
	ds_read_b32 v3, v25
	ds_read_b128 v[12:15], v28 offset:128
	ds_read2_b32 v[30:31], v26 offset1:33
	ds_read_b32 v27, v24
	v_cmp_eq_u32_e64 s[6:7], 1, v1
	s_waitcnt lgkmcnt(0)
	v_fma_f32 v3, v3, v12, 0
	v_fmac_f32_e32 v3, v30, v13
	v_fmac_f32_e32 v3, v31, v14
	;; [unrolled: 1-line block ×3, first 2 shown]
	s_barrier
	ds_write_b32 v23, v3
	s_waitcnt lgkmcnt(0)
	s_barrier
	s_and_saveexec_b64 s[8:9], s[6:7]
	s_cbranch_execz .LBB141_52
; %bb.51:
	ds_read2_b32 v[12:13], v21 offset1:1
	ds_read2_b32 v[14:15], v21 offset0:2 offset1:3
	ds_read2_b32 v[30:31], v21 offset0:4 offset1:5
	;; [unrolled: 1-line block ×3, first 2 shown]
	s_waitcnt lgkmcnt(3)
	v_add_f32_e32 v3, v12, v13
	s_waitcnt lgkmcnt(2)
	v_add_f32_e32 v3, v3, v14
	v_add_f32_e32 v3, v3, v15
	s_waitcnt lgkmcnt(1)
	v_add_f32_e32 v3, v3, v30
	;; [unrolled: 3-line block ×3, first 2 shown]
	v_add_f32_e32 v7, v3, v33
.LBB141_52:
	s_or_b64 exec, exec, s[8:9]
	s_movk_i32 s8, 0xff80
	s_mov_b32 s9, -1
	v_lshl_add_u64 v[12:13], v[16:17], 0, s[8:9]
	s_and_b64 vcc, exec, s[34:35]
	s_barrier
	s_cbranch_vccz .LBB141_65
; %bb.53:
	v_sub_co_u32_e32 v14, vcc, v12, v2
	s_ashr_i32 s19, s18, 31
	s_nop 0
	v_subbrev_co_u32_e32 v15, vcc, 0, v13, vcc
	v_lshl_add_u64 v[14:15], s[18:19], 2, v[14:15]
	v_lshl_add_u64 v[14:15], v[14:15], 0, -4
	v_cmp_gt_i32_e32 vcc, s18, v0
	s_sub_i32 s12, s18, 32
	v_cmp_gt_i32_e64 s[8:9], s12, v1
	v_cndmask_b32_e32 v15, v15, v13, vcc
	v_cndmask_b32_e32 v14, v14, v12, vcc
	v_mov_b32_e32 v17, 0
	v_mov_b32_e32 v16, 0
	s_and_saveexec_b64 s[10:11], s[8:9]
	s_cbranch_execz .LBB141_55
; %bb.54:
	flat_load_dword v16, v[14:15]
.LBB141_55:
	s_or_b64 exec, exec, s[10:11]
	v_add_lshl_u32 v3, v22, v0, 2
	s_waitcnt vmcnt(0) lgkmcnt(0)
	ds_write_b32 v3, v16
	v_add_u32_e32 v16, 8, v1
	v_cmp_gt_i32_e64 s[8:9], s12, v16
	s_and_saveexec_b64 s[10:11], s[8:9]
	s_cbranch_execz .LBB141_57
; %bb.56:
	s_lshl_b32 s8, s22, 3
	s_ashr_i32 s9, s8, 31
	v_lshl_add_u64 v[30:31], s[8:9], 2, v[14:15]
	flat_load_dword v17, v[30:31]
.LBB141_57:
	s_or_b64 exec, exec, s[10:11]
	s_waitcnt vmcnt(0) lgkmcnt(0)
	ds_write_b32 v3, v17 offset:1056
	v_add_u32_e32 v17, 16, v1
	v_cmp_gt_i32_e64 s[8:9], s12, v17
	v_mov_b32_e32 v29, 0
	v_mov_b32_e32 v27, 0
	s_and_saveexec_b64 s[10:11], s[8:9]
	s_cbranch_execz .LBB141_59
; %bb.58:
	s_lshl_b32 s8, s22, 4
	s_ashr_i32 s9, s8, 31
	v_lshl_add_u64 v[30:31], s[8:9], 2, v[14:15]
	flat_load_dword v27, v[30:31]
.LBB141_59:
	s_or_b64 exec, exec, s[10:11]
	s_waitcnt vmcnt(0) lgkmcnt(0)
	ds_write_b32 v3, v27 offset:2112
	v_add_u32_e32 v27, 24, v1
	v_cmp_gt_i32_e64 s[8:9], s12, v27
	s_and_saveexec_b64 s[10:11], s[8:9]
	s_cbranch_execz .LBB141_61
; %bb.60:
	s_mul_i32 s8, s22, 24
	s_ashr_i32 s9, s8, 31
	v_lshl_add_u64 v[30:31], s[8:9], 2, v[14:15]
	flat_load_dword v29, v[30:31]
.LBB141_61:
	s_or_b64 exec, exec, s[10:11]
	s_waitcnt vmcnt(0) lgkmcnt(0)
	ds_write_b32 v3, v29 offset:3168
	v_mov_b32_e32 v3, 0
	v_lshl_add_u64 v[2:3], v[14:15], 0, v[2:3]
	s_lshl_b64 s[8:9], s[18:19], 2
	v_mov_b32_e32 v14, s9
	v_subrev_co_u32_e64 v2, s[8:9], s8, v2
	s_nop 1
	v_subb_co_u32_e64 v3, s[8:9], v3, v14, s[8:9]
	v_lshl_add_u64 v[2:3], v[2:3], 0, 4
	v_cndmask_b32_e32 v59, v3, v13, vcc
	v_cndmask_b32_e32 v58, v2, v12, vcc
	s_branch .LBB141_67
.LBB141_62:
	ds_read_b32 v3, v25
	s_waitcnt lgkmcnt(0)
	ds_write_b32 v27, v3
	s_or_b64 exec, exec, s[16:17]
	s_and_saveexec_b64 s[6:7], s[8:9]
	s_cbranch_execz .LBB141_47
.LBB141_63:
	ds_read_b32 v3, v26
	s_waitcnt lgkmcnt(0)
	ds_write_b32 v27, v3 offset:4
	s_or_b64 exec, exec, s[6:7]
	s_and_saveexec_b64 s[6:7], s[10:11]
	s_cbranch_execz .LBB141_48
.LBB141_64:
	ds_read_b32 v3, v26 offset:132
	s_waitcnt lgkmcnt(0)
	ds_write_b32 v27, v3 offset:8
	s_or_b64 exec, exec, s[6:7]
	v_add_u32_e32 v28, 0x11c0, v28
	s_and_saveexec_b64 s[6:7], s[12:13]
	s_cbranch_execnz .LBB141_49
	s_branch .LBB141_50
.LBB141_65:
                                        ; implicit-def: $vgpr58_vgpr59
                                        ; implicit-def: $vgpr16
                                        ; implicit-def: $vgpr17
                                        ; implicit-def: $vgpr27
	s_cbranch_execz .LBB141_67
; %bb.66:
	flat_load_dword v14, v[12:13]
	s_lshl_b32 s8, s22, 3
	v_add_lshl_u32 v0, v22, v0, 2
	s_ashr_i32 s9, s8, 31
	v_lshl_add_u64 v[2:3], s[8:9], 2, v[12:13]
	s_ashr_i32 s23, s22, 31
	s_lshl_b64 s[8:9], s[22:23], 5
	v_add_u32_e32 v16, 8, v1
	v_add_u32_e32 v17, 16, v1
	;; [unrolled: 1-line block ×3, first 2 shown]
	v_mov_b64_e32 v[58:59], v[12:13]
	s_waitcnt vmcnt(0) lgkmcnt(0)
	ds_write_b32 v0, v14
	flat_load_dword v14, v[2:3]
	v_lshl_add_u64 v[2:3], v[2:3], 0, s[8:9]
	s_waitcnt vmcnt(0) lgkmcnt(0)
	ds_write_b32 v0, v14 offset:1056
	flat_load_dword v14, v[2:3]
	v_lshl_add_u64 v[2:3], v[2:3], 0, s[8:9]
	s_waitcnt vmcnt(0) lgkmcnt(0)
	ds_write_b32 v0, v14 offset:2112
	flat_load_dword v2, v[2:3]
	s_waitcnt vmcnt(0) lgkmcnt(0)
	ds_write_b32 v0, v2 offset:3168
.LBB141_67:
	v_add_lshl_u32 v15, v16, v20, 2
	v_lshlrev_b32_e32 v16, 2, v16
	v_add_lshl_u32 v22, v17, v20, 2
	v_lshlrev_b32_e32 v17, 2, v17
	;; [unrolled: 2-line block ×3, first 2 shown]
	s_waitcnt lgkmcnt(0)
	s_barrier
	ds_read_b32 v19, v19 offset:4544
	ds_read_b32 v14, v25
	ds_read_b32 v25, v23
	ds_read_b128 v[0:3], v28 offset:128
	ds_read2_b32 v[12:13], v26 offset1:33
	ds_read_b32 v26, v15
	ds_read_b32 v16, v16 offset:4544
	ds_read_b32 v22, v22
	ds_read_b32 v17, v17 offset:4544
	;; [unrolled: 2-line block ×3, first 2 shown]
	ds_read_b32 v15, v24
	s_waitcnt lgkmcnt(9)
	v_fma_f32 v19, v25, v19, 0
	s_waitcnt lgkmcnt(5)
	v_fmac_f32_e32 v19, v26, v16
	s_waitcnt lgkmcnt(3)
	v_fmac_f32_e32 v19, v22, v17
	;; [unrolled: 2-line block ×3, first 2 shown]
	s_waitcnt lgkmcnt(0)
	s_barrier
	ds_write_b32 v23, v19
	s_waitcnt lgkmcnt(0)
	s_barrier
	s_and_saveexec_b64 s[8:9], s[6:7]
	s_cbranch_execz .LBB141_69
; %bb.68:
	ds_read2_b32 v[16:17], v21 offset1:1
	ds_read2_b32 v[24:25], v21 offset0:2 offset1:3
	ds_read2_b32 v[26:27], v21 offset0:4 offset1:5
	;; [unrolled: 1-line block ×3, first 2 shown]
	s_waitcnt lgkmcnt(3)
	v_add_f32_e32 v7, v7, v16
	v_add_f32_e32 v7, v7, v17
	s_waitcnt lgkmcnt(2)
	v_add_f32_e32 v7, v7, v24
	v_add_f32_e32 v7, v7, v25
	;; [unrolled: 3-line block ×4, first 2 shown]
.LBB141_69:
	s_or_b64 exec, exec, s[8:9]
	v_fma_f32 v0, v14, v0, 0
	v_fmac_f32_e32 v0, v12, v1
	v_fmac_f32_e32 v0, v13, v2
	;; [unrolled: 1-line block ×3, first 2 shown]
	s_barrier
	ds_write_b32 v23, v0
	s_waitcnt lgkmcnt(0)
	s_barrier
	s_and_saveexec_b64 s[6:7], s[4:5]
	s_cbranch_execz .LBB141_71
; %bb.70:
	ds_read2_b32 v[0:1], v21 offset1:1
	ds_read2_b32 v[2:3], v21 offset0:2 offset1:3
	ds_read2_b32 v[12:13], v21 offset0:4 offset1:5
	;; [unrolled: 1-line block ×3, first 2 shown]
	s_waitcnt lgkmcnt(3)
	v_add_f32_e32 v0, v7, v0
	v_add_f32_e32 v0, v0, v1
	s_waitcnt lgkmcnt(2)
	v_add_f32_e32 v0, v0, v2
	v_add_f32_e32 v0, v0, v3
	;; [unrolled: 3-line block ×4, first 2 shown]
.LBB141_71:
	s_or_b64 exec, exec, s[6:7]
	s_load_dwordx2 s[0:1], s[0:1], 0x60
	s_mul_hi_u32 s4, s28, s26
	s_mul_i32 s33, s33, s26
	s_add_i32 s4, s4, s33
	s_mul_i32 s6, s28, s26
	s_mul_i32 s4, s4, s3
	s_mul_hi_u32 s5, s6, s3
	s_add_i32 s5, s5, s4
	s_mul_i32 s4, s6, s3
	s_lshl_b64 s[4:5], s[4:5], 2
	s_waitcnt lgkmcnt(0)
	s_add_u32 s4, s0, s4
	s_addc_u32 s5, s1, s5
	s_mul_hi_i32 s1, s28, s2
	s_mul_i32 s0, s28, s2
	s_lshl_b64 s[0:1], s[0:1], 2
	s_add_u32 s6, s4, s0
	s_addc_u32 s7, s5, s1
	s_add_i32 s8, s2, 1
	s_cmp_ge_u32 s8, s3
	v_lshlrev_b32_e32 v74, 2, v6
	s_barrier
	s_cbranch_scc1 .LBB141_128
; %bb.72:
	s_mul_i32 s0, s24, s29
	s_ashr_i32 s1, s0, 31
	s_lshl_b64 s[0:1], s[0:1], 2
	v_and_b32_e32 v12, 48, v6
	v_lshlrev_b32_e32 v75, 2, v5
	v_subrev_co_u32_e32 v0, vcc, s0, v10
	v_and_b32_e32 v10, 15, v6
	v_lshlrev_b32_e32 v13, 2, v12
	s_movk_i32 s9, 0x10c
	v_mov_b32_e32 v1, s1
	v_mad_u64_u32 v[26:27], s[0:1], v75, s22, v[6:7]
	v_mad_u32_u24 v76, v10, s9, v13
	v_or_b32_e32 v13, 60, v74
	v_ashrrev_i32_e32 v27, 31, v26
	v_mad_u32_u24 v77, v10, s9, v13
	v_and_b32_e32 v13, 0x1fff0, v18
	s_lshl_b32 s25, s29, 6
	s_lshl_b32 s4, s22, 4
	v_mad_u32_u24 v78, v10, s9, v13
	s_ashr_i32 s23, s22, 31
	s_lshl_b32 s34, s22, 1
	s_mul_i32 s36, s22, 3
	v_mov_b32_e32 v13, 0x10c0
	s_mul_i32 s29, s29, s8
	v_add_u32_e32 v12, s24, v12
	v_lshlrev_b64 v[16:17], 2, v[26:27]
	s_lshl_b64 s[12:13], s[30:31], 2
	s_add_i32 s19, s3, -2
	s_ashr_i32 s5, s4, 31
	s_ashr_i32 s35, s34, 31
	;; [unrolled: 1-line block ×3, first 2 shown]
	v_lshl_add_u32 v79, v5, 4, v13
	s_lshl_b64 s[16:17], s[22:23], 2
	s_lshl_b32 s8, s29, 6
	v_add3_u32 v10, v12, v10, 64
	v_lshlrev_b64 v[12:13], 2, v[8:9]
	s_lshl_b64 s[28:29], s[22:23], 3
	v_mad_i64_i32 v[8:9], s[40:41], v8, -4, v[16:17]
	v_lshl_add_u64 v[16:17], s[30:31], 0, v[26:27]
	s_add_u32 s38, s28, s12
	v_lshlrev_b64 v[44:45], 2, v[16:17]
	s_addc_u32 s39, s29, s13
	s_lshl_b64 s[10:11], s[4:5], 4
	v_mad_i64_i32 v[16:17], s[40:41], s22, 12, v[44:45]
	s_add_u32 s40, s16, s12
	s_addc_u32 s41, s17, s13
	s_lshl_b64 s[34:35], s[34:35], 2
	s_add_u32 s42, s12, s34
	s_addc_u32 s43, s13, s35
	s_lshl_b64 s[36:37], s[36:37], 2
	v_lshl_add_u64 v[20:21], v[58:59], 0, s[42:43]
	s_add_u32 s42, s12, s36
	s_addc_u32 s43, s13, s37
	v_lshl_add_u64 v[22:23], v[58:59], 0, s[42:43]
	s_lshl_b64 s[42:43], s[4:5], 2
	s_add_u32 s44, s38, s42
	s_addc_u32 s45, s39, s43
	s_add_u32 s30, s30, s4
	s_addc_u32 s31, s31, s5
	v_lshl_add_u64 v[26:27], s[30:31], 0, v[26:27]
	v_lshlrev_b64 v[26:27], 2, v[26:27]
	v_mad_i64_i32 v[26:27], s[30:31], s22, 12, v[26:27]
	s_add_u32 s30, s40, s42
	s_addc_u32 s31, s41, s43
	v_lshl_add_u64 v[28:29], v[58:59], 0, s[30:31]
	s_add_u32 s30, s12, s42
	s_addc_u32 s31, s13, s43
	v_subb_co_u32_e32 v1, vcc, v11, v1, vcc
	v_lshrrev_b32_e32 v11, 4, v18
	v_cmp_gt_u32_e64 s[0:1], 64, v18
	v_lshl_add_u64 v[18:19], v[58:59], 0, s[40:41]
	s_add_u32 s40, s30, s34
	s_addc_u32 s41, s31, s35
	v_lshl_add_u64 v[30:31], v[58:59], 0, s[30:31]
	s_add_u32 s30, s30, s36
	s_addc_u32 s31, s31, s37
	v_lshl_add_u64 v[34:35], v[58:59], 0, s[30:31]
	s_lshl_b64 s[30:31], s[4:5], 3
	v_lshl_add_u64 v[14:15], v[58:59], 0, s[38:39]
	s_add_u32 s38, s38, s30
	s_mul_i32 s26, s22, 12
	s_addc_u32 s39, s39, s31
	s_mul_hi_i32 s24, s22, 12
	v_lshl_add_u64 v[36:37], v[58:59], 0, s[38:39]
	s_add_u32 s38, s26, s30
	s_addc_u32 s39, s24, s31
	v_lshl_add_u64 v[2:3], v[58:59], 0, s[12:13]
	s_add_u32 s12, s30, s12
	s_addc_u32 s13, s31, s13
	s_add_u32 s30, s12, s16
	s_addc_u32 s31, s13, s17
	v_lshl_add_u64 v[38:39], s[38:39], 0, v[44:45]
	s_add_u32 s38, s12, s34
	s_addc_u32 s39, s13, s35
	v_lshl_add_u64 v[32:33], v[58:59], 0, s[40:41]
	s_add_u32 s40, s12, s36
	s_addc_u32 s41, s13, s37
	s_mul_i32 s24, s22, 0xc0
	s_mul_hi_i32 s26, s4, 12
	s_add_u32 s28, s24, s28
	s_addc_u32 s29, s26, s29
	s_add_u32 s22, s22, s4
	s_addc_u32 s5, s23, s5
	v_mad_u64_u32 v[42:43], s[22:23], s22, 12, v[44:45]
	v_mov_b32_e32 v46, v43
	v_mad_u64_u32 v[46:47], s[22:23], s5, 12, v[46:47]
	v_mad_i64_i32 v[50:51], s[4:5], s4, 12, v[44:45]
	s_movk_i32 s9, 0x430
	v_mul_i32_i24_e32 v11, -12, v11
	v_sub_co_u32_e32 v12, vcc, 0, v12
	v_lshl_add_u64 v[40:41], s[28:29], 0, v[44:45]
	v_mov_b32_e32 v43, v46
	v_lshl_add_u64 v[44:45], v[50:51], 0, s[16:17]
	v_lshl_add_u64 v[46:47], v[58:59], 0, v[50:51]
	;; [unrolled: 1-line block ×4, first 2 shown]
	v_subb_co_u32_e32 v13, vcc, 0, v13, vcc
	v_lshl_add_u64 v[16:17], v[58:59], 0, v[16:17]
	v_lshl_add_u64 v[24:25], v[58:59], 0, s[44:45]
	;; [unrolled: 1-line block ×13, first 2 shown]
	v_add_u32_e32 v80, v78, v11
	v_add_u32_e32 v81, 0x10c0, v74
	;; [unrolled: 1-line block ×3, first 2 shown]
	v_or_b32_e32 v83, 1, v75
	v_or_b32_e32 v84, 2, v75
	;; [unrolled: 1-line block ×3, first 2 shown]
	v_mad_u32_u24 v86, v5, s9, v74
	v_add_u32_e32 v87, 16, v75
	v_add_u32_e32 v88, 17, v75
	;; [unrolled: 1-line block ×12, first 2 shown]
	s_cmp_eq_u32 s19, s2
	s_cselect_b32 s22, s27, 0
	s_and_saveexec_b64 s[4:5], s[14:15]
	s_cbranch_execz .LBB141_76
.LBB141_73:
	s_cmp_eq_u32 s22, 0
	s_cselect_b64 s[12:13], -1, 0
	v_cmp_gt_i32_e32 vcc, s22, v6
	s_or_b64 s[16:17], s[12:13], vcc
	v_mov_b32_e32 v11, 0
	s_and_saveexec_b64 s[12:13], s[16:17]
	s_cbranch_execz .LBB141_75
; %bb.74:
	s_ashr_i32 s9, s8, 31
	v_lshl_add_u64 v[60:61], s[8:9], 2, v[0:1]
	flat_load_dword v11, v[60:61]
.LBB141_75:
	s_or_b64 exec, exec, s[12:13]
	s_waitcnt vmcnt(0) lgkmcnt(0)
	ds_write_b32 v81, v11
.LBB141_76:                             ; =>This Inner Loop Header: Depth=1
	s_or_b64 exec, exec, s[4:5]
	s_cmp_eq_u32 s22, 0
	s_cselect_b64 s[12:13], -1, 0
	s_cmp_lg_u32 s22, 0
	s_cselect_b64 s[16:17], -1, 0
	v_lshl_add_u64 v[60:61], v[2:3], 0, v[8:9]
	s_and_b64 vcc, exec, s[16:17]
	s_waitcnt lgkmcnt(0)
	s_barrier
	s_cbranch_vccz .LBB141_124
; %bb.77:                               ;   in Loop: Header=BB141_76 Depth=1
	v_cmp_gt_i32_e32 vcc, s22, v75
	v_mov_b32_e32 v99, 0
	v_mov_b32_e32 v100, 0
	s_and_saveexec_b64 s[4:5], vcc
	s_cbranch_execz .LBB141_79
; %bb.78:                               ;   in Loop: Header=BB141_76 Depth=1
	flat_load_dword v100, v[60:61]
.LBB141_79:                             ;   in Loop: Header=BB141_76 Depth=1
	s_or_b64 exec, exec, s[4:5]
	v_cmp_gt_i32_e32 vcc, s22, v83
	s_and_saveexec_b64 s[4:5], vcc
	s_cbranch_execz .LBB141_81
; %bb.80:                               ;   in Loop: Header=BB141_76 Depth=1
	v_lshl_add_u64 v[62:63], v[18:19], 0, v[8:9]
	flat_load_dword v99, v[62:63]
.LBB141_81:                             ;   in Loop: Header=BB141_76 Depth=1
	s_or_b64 exec, exec, s[4:5]
	v_cmp_gt_i32_e32 vcc, s22, v84
	v_mov_b32_e32 v101, 0
	v_mov_b32_e32 v102, 0
	s_and_saveexec_b64 s[4:5], vcc
	s_cbranch_execz .LBB141_83
; %bb.82:                               ;   in Loop: Header=BB141_76 Depth=1
	v_lshl_add_u64 v[62:63], v[20:21], 0, v[8:9]
	flat_load_dword v102, v[62:63]
.LBB141_83:                             ;   in Loop: Header=BB141_76 Depth=1
	s_or_b64 exec, exec, s[4:5]
	v_cmp_gt_i32_e32 vcc, s22, v85
	s_and_saveexec_b64 s[4:5], vcc
	s_cbranch_execz .LBB141_85
; %bb.84:                               ;   in Loop: Header=BB141_76 Depth=1
	v_lshl_add_u64 v[62:63], v[22:23], 0, v[8:9]
	flat_load_dword v101, v[62:63]
.LBB141_85:                             ;   in Loop: Header=BB141_76 Depth=1
	s_or_b64 exec, exec, s[4:5]
	s_branch .LBB141_87
.LBB141_86:                             ;   in Loop: Header=BB141_76 Depth=1
	s_waitcnt vmcnt(0) lgkmcnt(0)
	flat_load_dword v100, v[60:61]
	v_lshl_add_u64 v[60:61], v[18:19], 0, v[8:9]
	flat_load_dword v99, v[60:61]
	v_lshl_add_u64 v[60:61], v[14:15], 0, v[8:9]
	;; [unrolled: 2-line block ×3, first 2 shown]
	flat_load_dword v101, v[60:61]
.LBB141_87:                             ;   in Loop: Header=BB141_76 Depth=1
	ds_read_b32 v11, v82
	ds_read_b32 v103, v79
	s_andn2_b64 vcc, exec, s[16:17]
	v_lshl_add_u64 v[64:65], v[30:31], 0, v[8:9]
	s_waitcnt vmcnt(0) lgkmcnt(0)
	v_mul_f32_e32 v60, v100, v11
	v_mul_f32_e32 v61, v99, v11
	ds_write_b32 v86, v60
	v_mul_f32_e32 v62, v102, v11
	ds_read_b32 v104, v79 offset:4
	ds_write_b32 v86, v61 offset:268
	ds_read_b32 v105, v79 offset:8
	ds_write_b32 v86, v62 offset:536
	v_mul_f32_e32 v11, v101, v11
	ds_read_b32 v106, v79 offset:12
	ds_write_b32 v86, v11 offset:804
	s_waitcnt lgkmcnt(0)
	s_barrier
	ds_read2_b32 v[62:63], v78 offset1:1
	ds_read2_b32 v[60:61], v78 offset0:2 offset1:3
	v_cndmask_b32_e64 v11, 0, 1, s[16:17]
	v_cmp_ne_u32_e64 s[4:5], 1, v11
	s_waitcnt lgkmcnt(0)
	s_barrier
	s_cbranch_vccnz .LBB141_125
; %bb.88:                               ;   in Loop: Header=BB141_76 Depth=1
	v_cmp_gt_i32_e32 vcc, s22, v87
	v_mov_b32_e32 v107, 0
	v_mov_b32_e32 v108, 0
	s_and_saveexec_b64 s[16:17], vcc
	s_cbranch_execz .LBB141_90
; %bb.89:                               ;   in Loop: Header=BB141_76 Depth=1
	flat_load_dword v108, v[64:65]
.LBB141_90:                             ;   in Loop: Header=BB141_76 Depth=1
	s_or_b64 exec, exec, s[16:17]
	v_cmp_gt_i32_e32 vcc, s22, v88
	s_and_saveexec_b64 s[16:17], vcc
	s_cbranch_execz .LBB141_92
; %bb.91:                               ;   in Loop: Header=BB141_76 Depth=1
	v_lshl_add_u64 v[66:67], v[28:29], 0, v[8:9]
	flat_load_dword v107, v[66:67]
.LBB141_92:                             ;   in Loop: Header=BB141_76 Depth=1
	s_or_b64 exec, exec, s[16:17]
	v_cmp_gt_i32_e32 vcc, s22, v89
	v_mov_b32_e32 v109, 0
	v_mov_b32_e32 v110, 0
	s_and_saveexec_b64 s[16:17], vcc
	s_cbranch_execz .LBB141_94
; %bb.93:                               ;   in Loop: Header=BB141_76 Depth=1
	v_lshl_add_u64 v[66:67], v[32:33], 0, v[8:9]
	flat_load_dword v110, v[66:67]
.LBB141_94:                             ;   in Loop: Header=BB141_76 Depth=1
	s_or_b64 exec, exec, s[16:17]
	v_cmp_gt_i32_e32 vcc, s22, v90
	s_and_saveexec_b64 s[16:17], vcc
	s_cbranch_execz .LBB141_96
; %bb.95:                               ;   in Loop: Header=BB141_76 Depth=1
	v_lshl_add_u64 v[66:67], v[34:35], 0, v[8:9]
	flat_load_dword v109, v[66:67]
.LBB141_96:                             ;   in Loop: Header=BB141_76 Depth=1
	s_or_b64 exec, exec, s[16:17]
	s_branch .LBB141_98
.LBB141_97:                             ;   in Loop: Header=BB141_76 Depth=1
	s_waitcnt vmcnt(0) lgkmcnt(0)
	flat_load_dword v108, v[64:65]
	v_lshl_add_u64 v[64:65], v[28:29], 0, v[8:9]
	flat_load_dword v107, v[64:65]
	v_lshl_add_u64 v[64:65], v[24:25], 0, v[8:9]
	;; [unrolled: 2-line block ×3, first 2 shown]
	flat_load_dword v109, v[64:65]
.LBB141_98:                             ;   in Loop: Header=BB141_76 Depth=1
	ds_read_b32 v11, v82
	ds_read_b32 v111, v79 offset:64
	s_and_b64 vcc, exec, s[4:5]
	v_lshl_add_u64 v[68:69], v[54:55], 0, v[8:9]
	s_waitcnt vmcnt(0) lgkmcnt(0)
	v_mul_f32_e32 v64, v108, v11
	v_mul_f32_e32 v65, v107, v11
	ds_write_b32 v86, v64
	v_mul_f32_e32 v66, v110, v11
	ds_read_b32 v112, v79 offset:68
	ds_write_b32 v86, v65 offset:268
	ds_read_b32 v113, v79 offset:72
	ds_write_b32 v86, v66 offset:536
	v_mul_f32_e32 v11, v109, v11
	ds_read_b32 v114, v79 offset:76
	ds_write_b32 v86, v11 offset:804
	s_waitcnt lgkmcnt(0)
	s_barrier
	ds_read2_b32 v[66:67], v78 offset1:1
	ds_read2_b32 v[64:65], v78 offset0:2 offset1:3
	s_waitcnt lgkmcnt(0)
	s_barrier
	s_cbranch_vccnz .LBB141_126
; %bb.99:                               ;   in Loop: Header=BB141_76 Depth=1
	v_cmp_gt_i32_e32 vcc, s22, v91
	v_mov_b32_e32 v115, 0
	v_mov_b32_e32 v116, 0
	s_and_saveexec_b64 s[16:17], vcc
	s_cbranch_execz .LBB141_101
; %bb.100:                              ;   in Loop: Header=BB141_76 Depth=1
	flat_load_dword v116, v[68:69]
.LBB141_101:                            ;   in Loop: Header=BB141_76 Depth=1
	s_or_b64 exec, exec, s[16:17]
	v_cmp_gt_i32_e32 vcc, s22, v92
	s_and_saveexec_b64 s[16:17], vcc
	s_cbranch_execz .LBB141_103
; %bb.102:                              ;   in Loop: Header=BB141_76 Depth=1
	v_lshl_add_u64 v[70:71], v[52:53], 0, v[8:9]
	flat_load_dword v115, v[70:71]
.LBB141_103:                            ;   in Loop: Header=BB141_76 Depth=1
	s_or_b64 exec, exec, s[16:17]
	v_cmp_gt_i32_e32 vcc, s22, v93
	v_mov_b32_e32 v117, 0
	v_mov_b32_e32 v118, 0
	s_and_saveexec_b64 s[16:17], vcc
	s_cbranch_execz .LBB141_105
; %bb.104:                              ;   in Loop: Header=BB141_76 Depth=1
	v_lshl_add_u64 v[70:71], v[56:57], 0, v[8:9]
	flat_load_dword v118, v[70:71]
.LBB141_105:                            ;   in Loop: Header=BB141_76 Depth=1
	s_or_b64 exec, exec, s[16:17]
	v_cmp_gt_i32_e32 vcc, s22, v94
	s_and_saveexec_b64 s[16:17], vcc
	s_cbranch_execz .LBB141_107
; %bb.106:                              ;   in Loop: Header=BB141_76 Depth=1
	v_lshl_add_u64 v[70:71], v[58:59], 0, v[8:9]
	flat_load_dword v117, v[70:71]
.LBB141_107:                            ;   in Loop: Header=BB141_76 Depth=1
	s_or_b64 exec, exec, s[16:17]
	s_branch .LBB141_109
.LBB141_108:                            ;   in Loop: Header=BB141_76 Depth=1
	s_waitcnt vmcnt(0) lgkmcnt(0)
	flat_load_dword v116, v[68:69]
	v_lshl_add_u64 v[68:69], v[52:53], 0, v[8:9]
	flat_load_dword v115, v[68:69]
	v_lshl_add_u64 v[68:69], v[36:37], 0, v[8:9]
	;; [unrolled: 2-line block ×3, first 2 shown]
	flat_load_dword v117, v[68:69]
.LBB141_109:                            ;   in Loop: Header=BB141_76 Depth=1
	ds_read_b32 v11, v82
	ds_read_b32 v119, v79 offset:128
	s_and_b64 vcc, exec, s[4:5]
	v_lshl_add_u64 v[72:73], v[46:47], 0, v[12:13]
	s_waitcnt vmcnt(0) lgkmcnt(0)
	v_mul_f32_e32 v68, v116, v11
	v_mul_f32_e32 v69, v115, v11
	ds_write_b32 v86, v68
	v_mul_f32_e32 v70, v118, v11
	ds_read_b32 v120, v79 offset:132
	ds_write_b32 v86, v69 offset:268
	ds_read_b32 v121, v79 offset:136
	ds_write_b32 v86, v70 offset:536
	v_mul_f32_e32 v11, v117, v11
	ds_read_b32 v122, v79 offset:140
	ds_write_b32 v86, v11 offset:804
	s_waitcnt lgkmcnt(0)
	s_barrier
	ds_read2_b32 v[70:71], v78 offset1:1
	ds_read2_b32 v[68:69], v78 offset0:2 offset1:3
	s_waitcnt lgkmcnt(0)
	s_barrier
	s_cbranch_vccnz .LBB141_127
; %bb.110:                              ;   in Loop: Header=BB141_76 Depth=1
	v_cmp_gt_i32_e32 vcc, s22, v95
	v_mov_b32_e32 v123, 0
	v_mov_b32_e32 v124, 0
	s_and_saveexec_b64 s[4:5], vcc
	s_cbranch_execz .LBB141_112
; %bb.111:                              ;   in Loop: Header=BB141_76 Depth=1
	flat_load_dword v124, v[72:73]
.LBB141_112:                            ;   in Loop: Header=BB141_76 Depth=1
	s_or_b64 exec, exec, s[4:5]
	v_cmp_gt_i32_e32 vcc, s22, v96
	s_and_saveexec_b64 s[4:5], vcc
	s_cbranch_execz .LBB141_114
; %bb.113:                              ;   in Loop: Header=BB141_76 Depth=1
	v_lshl_add_u64 v[126:127], v[44:45], 0, v[12:13]
	flat_load_dword v123, v[126:127]
.LBB141_114:                            ;   in Loop: Header=BB141_76 Depth=1
	s_or_b64 exec, exec, s[4:5]
	v_cmp_gt_i32_e32 vcc, s22, v97
	v_mov_b32_e32 v125, 0
	v_mov_b32_e32 v126, 0
	s_and_saveexec_b64 s[4:5], vcc
	s_cbranch_execz .LBB141_116
; %bb.115:                              ;   in Loop: Header=BB141_76 Depth=1
	v_lshl_add_u64 v[126:127], v[48:49], 0, v[12:13]
	flat_load_dword v126, v[126:127]
.LBB141_116:                            ;   in Loop: Header=BB141_76 Depth=1
	s_or_b64 exec, exec, s[4:5]
	v_cmp_gt_i32_e32 vcc, s22, v98
	s_and_saveexec_b64 s[4:5], vcc
	s_cbranch_execz .LBB141_118
; %bb.117:                              ;   in Loop: Header=BB141_76 Depth=1
	v_lshl_add_u64 v[128:129], v[50:51], 0, v[12:13]
	flat_load_dword v125, v[128:129]
.LBB141_118:                            ;   in Loop: Header=BB141_76 Depth=1
	s_or_b64 exec, exec, s[4:5]
	s_branch .LBB141_120
.LBB141_119:                            ;   in Loop: Header=BB141_76 Depth=1
	s_waitcnt vmcnt(0) lgkmcnt(0)
	flat_load_dword v124, v[72:73]
	v_lshl_add_u64 v[72:73], v[44:45], 0, v[12:13]
	flat_load_dword v123, v[72:73]
	v_lshl_add_u64 v[72:73], v[40:41], 0, v[12:13]
	;; [unrolled: 2-line block ×3, first 2 shown]
	flat_load_dword v125, v[72:73]
.LBB141_120:                            ;   in Loop: Header=BB141_76 Depth=1
	v_add_f32_e32 v66, 0, v66
	v_add_f32_e32 v66, v66, v67
	ds_read_b32 v67, v82
	v_add_f32_e32 v64, v66, v64
	v_add_f32_e32 v11, 0, v70
	;; [unrolled: 1-line block ×4, first 2 shown]
	ds_read_b32 v62, v79 offset:192
	s_waitcnt vmcnt(0) lgkmcnt(0)
	v_mul_f32_e32 v64, v124, v67
	ds_write_b32 v86, v64
	v_mul_f32_e32 v65, v123, v67
	v_add_f32_e32 v11, v11, v71
	ds_read_b32 v64, v79 offset:196
	ds_write_b32 v86, v65 offset:268
	v_mul_f32_e32 v66, v126, v67
	v_add_f32_e32 v11, v11, v68
	ds_read_b32 v65, v79 offset:200
	ds_write_b32 v86, v66 offset:536
	;; [unrolled: 4-line block ×3, first 2 shown]
	s_waitcnt lgkmcnt(0)
	s_barrier
	ds_read2_b32 v[68:69], v78 offset1:1
	v_add_f32_e32 v63, v70, v63
	ds_read2_b32 v[70:71], v78 offset0:2 offset1:3
	v_add_f32_e32 v60, v63, v60
	v_add_f32_e32 v60, v60, v61
	s_waitcnt lgkmcnt(1)
	v_add_f32_e32 v61, 0, v68
	v_cmp_gt_i32_e32 vcc, s22, v6
	v_add_f32_e32 v61, v61, v69
	s_or_b64 s[4:5], s[12:13], vcc
	s_waitcnt lgkmcnt(0)
	v_add_f32_e32 v61, v61, v70
	s_and_b64 s[12:13], s[0:1], s[4:5]
	v_add_f32_e32 v61, v61, v71
	s_barrier
	ds_write2_b32 v80, v60, v72 offset1:16
	ds_write2_b32 v80, v11, v61 offset0:32 offset1:48
	s_waitcnt lgkmcnt(0)
	s_barrier
	s_and_saveexec_b64 s[4:5], s[12:13]
	s_cbranch_execz .LBB141_122
; %bb.121:                              ;   in Loop: Header=BB141_76 Depth=1
	ds_read2_b32 v[60:61], v76 offset1:1
	ds_read2_b32 v[68:69], v76 offset0:2 offset1:3
	ds_read2_b32 v[70:71], v76 offset0:4 offset1:5
	;; [unrolled: 1-line block ×3, first 2 shown]
	s_waitcnt lgkmcnt(3)
	v_add_f32_e32 v11, v60, v61
	s_waitcnt lgkmcnt(2)
	v_add_f32_e32 v11, v11, v68
	v_add_f32_e32 v11, v11, v69
	ds_read2_b32 v[60:61], v76 offset0:8 offset1:9
	s_waitcnt lgkmcnt(2)
	v_add_f32_e32 v11, v11, v70
	v_add_f32_e32 v11, v11, v71
	s_waitcnt lgkmcnt(1)
	v_add_f32_e32 v11, v11, v72
	v_add_f32_e32 v11, v11, v73
	ds_read2_b32 v[68:69], v76 offset0:10 offset1:11
	ds_read2_b32 v[70:71], v76 offset0:12 offset1:13
	ds_read_b32 v63, v76 offset:56
	s_waitcnt lgkmcnt(3)
	v_add_f32_e32 v11, v11, v60
	v_add_f32_e32 v11, v11, v61
	s_waitcnt lgkmcnt(2)
	v_add_f32_e32 v11, v11, v68
	ds_read_b32 v60, v77
	v_add_f32_e32 v11, v11, v69
	s_waitcnt lgkmcnt(2)
	v_add_f32_e32 v11, v11, v70
	v_add_f32_e32 v11, v11, v71
	s_waitcnt lgkmcnt(1)
	v_add_f32_e32 v11, v11, v63
	s_waitcnt lgkmcnt(0)
	v_add_f32_e32 v63, v11, v60
	v_ashrrev_i32_e32 v11, 31, v10
	v_lshl_add_u64 v[60:61], v[10:11], 2, s[6:7]
	global_store_dword v[60:61], v63, off
.LBB141_122:                            ;   in Loop: Header=BB141_76 Depth=1
	s_or_b64 exec, exec, s[4:5]
	v_fmac_f32_e32 v7, v100, v103
	v_fmac_f32_e32 v7, v99, v104
	;; [unrolled: 1-line block ×15, first 2 shown]
	s_add_i32 s4, s2, 1
	s_add_i32 s8, s8, s25
	;; [unrolled: 1-line block ×3, first 2 shown]
	v_fmac_f32_e32 v7, v125, v66
	v_add_u32_e32 v10, 64, v10
	v_lshl_add_u64 v[14:15], v[14:15], 0, s[10:11]
	v_lshl_add_u64 v[16:17], v[16:17], 0, s[10:11]
	;; [unrolled: 1-line block ×23, first 2 shown]
	s_cmp_ge_u32 s2, s3
	v_lshl_add_u64 v[50:51], v[50:51], 0, s[10:11]
	s_barrier
	s_cbranch_scc1 .LBB141_128
; %bb.123:                              ;   in Loop: Header=BB141_76 Depth=1
	s_mov_b32 s2, s4
	s_cmp_eq_u32 s19, s2
	s_cselect_b32 s22, s27, 0
	s_and_saveexec_b64 s[4:5], s[14:15]
	s_cbranch_execnz .LBB141_73
	s_branch .LBB141_76
.LBB141_124:                            ;   in Loop: Header=BB141_76 Depth=1
                                        ; implicit-def: $vgpr101
                                        ; implicit-def: $vgpr102
                                        ; implicit-def: $vgpr99
                                        ; implicit-def: $vgpr100
	s_cbranch_execnz .LBB141_86
	s_branch .LBB141_87
.LBB141_125:                            ;   in Loop: Header=BB141_76 Depth=1
                                        ; implicit-def: $vgpr109
                                        ; implicit-def: $vgpr110
                                        ; implicit-def: $vgpr107
                                        ; implicit-def: $vgpr108
	s_cbranch_execnz .LBB141_97
	s_branch .LBB141_98
.LBB141_126:                            ;   in Loop: Header=BB141_76 Depth=1
                                        ; implicit-def: $vgpr117
                                        ; implicit-def: $vgpr118
                                        ; implicit-def: $vgpr115
                                        ; implicit-def: $vgpr116
	s_cbranch_execnz .LBB141_108
	s_branch .LBB141_109
.LBB141_127:                            ;   in Loop: Header=BB141_76 Depth=1
                                        ; implicit-def: $vgpr125
                                        ; implicit-def: $vgpr126
                                        ; implicit-def: $vgpr123
                                        ; implicit-def: $vgpr124
	s_cbranch_execnz .LBB141_119
	s_branch .LBB141_120
.LBB141_128:
	s_movk_i32 s0, 0x10c
	v_cmp_gt_i32_e32 vcc, s18, v6
	v_mad_u32_u24 v0, v5, s0, v74
	s_or_b64 s[0:1], s[20:21], vcc
	s_and_b64 s[0:1], s[14:15], s[0:1]
	ds_write_b32 v0, v7
	s_waitcnt lgkmcnt(0)
	s_barrier
	s_and_saveexec_b64 s[2:3], s[0:1]
	s_cbranch_execz .LBB141_130
; %bb.129:
	ds_read2_b32 v[0:1], v74 offset1:67
	ds_read2_b32 v[2:3], v74 offset0:134 offset1:201
	v_ashrrev_i32_e32 v5, 31, v4
	s_waitcnt lgkmcnt(1)
	v_add_f32_e32 v0, v0, v1
	s_waitcnt lgkmcnt(0)
	v_add_f32_e32 v0, v0, v2
	v_add_f32_e32 v2, v0, v3
	v_lshl_add_u64 v[0:1], v[4:5], 2, s[6:7]
	global_store_dword v[0:1], v2, off
.LBB141_130:
	s_endpgm
	.section	.rodata,"a",@progbits
	.p2align	6, 0x0
	.amdhsa_kernel _ZL26rocblas_hemvn_kernel_upperILb0ELi64ELi4ELi33ELi32ELi16EifPKPKfPfEviT6_lT7_lT5_lS6_lS7_lS5_lT8_i
		.amdhsa_group_segment_fixed_size 4800
		.amdhsa_private_segment_fixed_size 0
		.amdhsa_kernarg_size 368
		.amdhsa_user_sgpr_count 2
		.amdhsa_user_sgpr_dispatch_ptr 0
		.amdhsa_user_sgpr_queue_ptr 0
		.amdhsa_user_sgpr_kernarg_segment_ptr 1
		.amdhsa_user_sgpr_dispatch_id 0
		.amdhsa_user_sgpr_kernarg_preload_length 0
		.amdhsa_user_sgpr_kernarg_preload_offset 0
		.amdhsa_user_sgpr_private_segment_size 0
		.amdhsa_uses_dynamic_stack 0
		.amdhsa_enable_private_segment 0
		.amdhsa_system_sgpr_workgroup_id_x 1
		.amdhsa_system_sgpr_workgroup_id_y 0
		.amdhsa_system_sgpr_workgroup_id_z 1
		.amdhsa_system_sgpr_workgroup_info 0
		.amdhsa_system_vgpr_workitem_id 1
		.amdhsa_next_free_vgpr 130
		.amdhsa_next_free_sgpr 46
		.amdhsa_accum_offset 132
		.amdhsa_reserve_vcc 1
		.amdhsa_float_round_mode_32 0
		.amdhsa_float_round_mode_16_64 0
		.amdhsa_float_denorm_mode_32 3
		.amdhsa_float_denorm_mode_16_64 3
		.amdhsa_dx10_clamp 1
		.amdhsa_ieee_mode 1
		.amdhsa_fp16_overflow 0
		.amdhsa_tg_split 0
		.amdhsa_exception_fp_ieee_invalid_op 0
		.amdhsa_exception_fp_denorm_src 0
		.amdhsa_exception_fp_ieee_div_zero 0
		.amdhsa_exception_fp_ieee_overflow 0
		.amdhsa_exception_fp_ieee_underflow 0
		.amdhsa_exception_fp_ieee_inexact 0
		.amdhsa_exception_int_div_zero 0
	.end_amdhsa_kernel
	.section	.text._ZL26rocblas_hemvn_kernel_upperILb0ELi64ELi4ELi33ELi32ELi16EifPKPKfPfEviT6_lT7_lT5_lS6_lS7_lS5_lT8_i,"axG",@progbits,_ZL26rocblas_hemvn_kernel_upperILb0ELi64ELi4ELi33ELi32ELi16EifPKPKfPfEviT6_lT7_lT5_lS6_lS7_lS5_lT8_i,comdat
.Lfunc_end141:
	.size	_ZL26rocblas_hemvn_kernel_upperILb0ELi64ELi4ELi33ELi32ELi16EifPKPKfPfEviT6_lT7_lT5_lS6_lS7_lS5_lT8_i, .Lfunc_end141-_ZL26rocblas_hemvn_kernel_upperILb0ELi64ELi4ELi33ELi32ELi16EifPKPKfPfEviT6_lT7_lT5_lS6_lS7_lS5_lT8_i
                                        ; -- End function
	.section	.AMDGPU.csdata,"",@progbits
; Kernel info:
; codeLenInByte = 6564
; NumSgprs: 52
; NumVgprs: 130
; NumAgprs: 0
; TotalNumVgprs: 130
; ScratchSize: 0
; MemoryBound: 0
; FloatMode: 240
; IeeeMode: 1
; LDSByteSize: 4800 bytes/workgroup (compile time only)
; SGPRBlocks: 6
; VGPRBlocks: 16
; NumSGPRsForWavesPerEU: 52
; NumVGPRsForWavesPerEU: 130
; AccumOffset: 132
; Occupancy: 3
; WaveLimiterHint : 1
; COMPUTE_PGM_RSRC2:SCRATCH_EN: 0
; COMPUTE_PGM_RSRC2:USER_SGPR: 2
; COMPUTE_PGM_RSRC2:TRAP_HANDLER: 0
; COMPUTE_PGM_RSRC2:TGID_X_EN: 1
; COMPUTE_PGM_RSRC2:TGID_Y_EN: 0
; COMPUTE_PGM_RSRC2:TGID_Z_EN: 1
; COMPUTE_PGM_RSRC2:TIDIG_COMP_CNT: 1
; COMPUTE_PGM_RSRC3_GFX90A:ACCUM_OFFSET: 32
; COMPUTE_PGM_RSRC3_GFX90A:TG_SPLIT: 0
	.section	.text._ZL36rocblas_hemvn_kernel_upper_block_sumILi64EifPKPffEviT1_lS3_lT2_lT0_lPT3_i,"axG",@progbits,_ZL36rocblas_hemvn_kernel_upper_block_sumILi64EifPKPffEviT1_lS3_lT2_lT0_lPT3_i,comdat
	.globl	_ZL36rocblas_hemvn_kernel_upper_block_sumILi64EifPKPffEviT1_lS3_lT2_lT0_lPT3_i ; -- Begin function _ZL36rocblas_hemvn_kernel_upper_block_sumILi64EifPKPffEviT1_lS3_lT2_lT0_lPT3_i
	.p2align	8
	.type	_ZL36rocblas_hemvn_kernel_upper_block_sumILi64EifPKPffEviT1_lS3_lT2_lT0_lPT3_i,@function
_ZL36rocblas_hemvn_kernel_upper_block_sumILi64EifPKPffEviT1_lS3_lT2_lT0_lPT3_i: ; @_ZL36rocblas_hemvn_kernel_upper_block_sumILi64EifPKPffEviT1_lS3_lT2_lT0_lPT3_i
; %bb.0:
	s_mov_b32 s12, s3
	s_load_dwordx2 s[8:9], s[0:1], 0x0
	s_load_dword s3, s[0:1], 0x10
	s_mov_b32 s13, 0
	s_waitcnt lgkmcnt(0)
	v_cmp_eq_f32_e64 s[4:5], s9, 0
	v_cmp_eq_f32_e64 s[6:7], s3, 1.0
	s_and_b64 s[4:5], s[4:5], s[6:7]
	s_and_b64 vcc, exec, s[4:5]
	s_cbranch_vccnz .LBB142_19
; %bb.1:
	s_load_dwordx4 s[4:7], s[0:1], 0x20
	s_load_dword s18, s[0:1], 0x30
	s_lshl_b64 s[10:11], s[12:13], 3
	v_lshl_or_b32 v0, s2, 6, v0
	s_waitcnt lgkmcnt(0)
	s_add_u32 s4, s4, s10
	s_addc_u32 s5, s5, s11
	s_load_dwordx2 s[4:5], s[4:5], 0x0
	s_lshl_b64 s[6:7], s[6:7], 2
	v_cmp_neq_f32_e64 s[10:11], s9, 0
	s_waitcnt lgkmcnt(0)
	s_add_u32 s6, s4, s6
	s_addc_u32 s7, s5, s7
	s_and_b64 vcc, exec, s[10:11]
	v_cmp_gt_i32_e64 s[4:5], s8, v0
	s_cbranch_vccnz .LBB142_6
; %bb.2:
	s_mov_b64 s[14:15], 0
	s_mov_b64 s[10:11], 0
                                        ; implicit-def: $vgpr4
                                        ; implicit-def: $vgpr2_vgpr3
	s_and_saveexec_b64 s[16:17], s[4:5]
	s_cbranch_execz .LBB142_7
; %bb.3:
	v_cmp_eq_f32_e64 s[4:5], s3, 0
	v_mul_lo_u32 v2, v0, s18
	v_mov_b32_e32 v4, 0
	v_ashrrev_i32_e32 v3, 31, v2
	s_and_b64 vcc, exec, s[4:5]
	s_cbranch_vccnz .LBB142_5
; %bb.4:
	v_lshl_add_u64 v[4:5], v[2:3], 2, s[6:7]
	global_load_dword v1, v[4:5], off
	s_waitcnt vmcnt(0)
	v_mul_f32_e32 v4, s3, v1
.LBB142_5:
	s_mov_b64 s[10:11], exec
	s_or_b64 exec, exec, s[16:17]
	s_and_b64 vcc, exec, s[14:15]
	s_cbranch_vccnz .LBB142_8
	s_branch .LBB142_17
.LBB142_6:
	s_mov_b64 s[10:11], 0
                                        ; implicit-def: $vgpr4
                                        ; implicit-def: $vgpr2_vgpr3
	s_cbranch_execnz .LBB142_8
	s_branch .LBB142_17
.LBB142_7:
	s_or_b64 exec, exec, s[16:17]
	s_and_b64 vcc, exec, s[14:15]
	s_cbranch_vccz .LBB142_17
.LBB142_8:
	v_cmp_gt_i32_e32 vcc, s8, v0
                                        ; implicit-def: $vgpr4
                                        ; implicit-def: $vgpr2_vgpr3
	s_and_saveexec_b64 s[4:5], vcc
	s_cbranch_execz .LBB142_16
; %bb.9:
	s_cmp_lt_i32 s2, 0
	v_mov_b32_e32 v1, 0
	s_cbranch_scc1 .LBB142_12
; %bb.10:
	s_load_dwordx2 s[16:17], s[0:1], 0x40
	s_load_dword s13, s[0:1], 0x50
	s_ashr_i32 s15, s8, 31
	s_mul_hi_u32 s0, s8, s12
	s_mul_i32 s1, s15, s12
	s_mov_b32 s14, s8
	s_add_i32 s0, s0, s1
	s_mul_i32 s8, s8, s12
	s_waitcnt lgkmcnt(0)
	s_mul_i32 s0, s0, s13
	s_mul_hi_u32 s1, s8, s13
	s_add_i32 s1, s1, s0
	s_mul_i32 s0, s8, s13
	s_lshl_b64 s[0:1], s[0:1], 2
	s_add_u32 s0, s16, s0
	s_addc_u32 s1, s17, s1
	v_mov_b32_e32 v1, 0
	v_lshl_add_u64 v[2:3], v[0:1], 2, s[0:1]
	s_add_i32 s2, s2, 1
	s_lshl_b64 s[0:1], s[14:15], 2
.LBB142_11:                             ; =>This Inner Loop Header: Depth=1
	global_load_dword v4, v[2:3], off
	s_add_i32 s2, s2, -1
	v_lshl_add_u64 v[2:3], v[2:3], 0, s[0:1]
	s_cmp_eq_u32 s2, 0
	s_waitcnt vmcnt(0)
	v_add_f32_e32 v1, v1, v4
	s_cbranch_scc0 .LBB142_11
.LBB142_12:
	v_cmp_eq_f32_e64 s[0:1], s3, 0
	v_mul_lo_u32 v2, v0, s18
	s_and_b64 vcc, exec, s[0:1]
	v_ashrrev_i32_e32 v3, 31, v2
	s_cbranch_vccz .LBB142_20
; %bb.13:
	v_mul_f32_e32 v4, s9, v1
	s_cbranch_execnz .LBB142_15
.LBB142_14:
	v_lshl_add_u64 v[4:5], v[2:3], 2, s[6:7]
	global_load_dword v0, v[4:5], off
	s_waitcnt vmcnt(0)
	v_mul_f32_e32 v4, s3, v0
	v_fmac_f32_e32 v4, s9, v1
.LBB142_15:
	s_or_b64 s[10:11], s[10:11], exec
.LBB142_16:
	s_or_b64 exec, exec, s[4:5]
.LBB142_17:
	s_and_saveexec_b64 s[0:1], s[10:11]
	s_cbranch_execz .LBB142_19
; %bb.18:
	v_lshl_add_u64 v[0:1], v[2:3], 2, s[6:7]
	global_store_dword v[0:1], v4, off
.LBB142_19:
	s_endpgm
.LBB142_20:
                                        ; implicit-def: $vgpr4
	s_branch .LBB142_14
	.section	.rodata,"a",@progbits
	.p2align	6, 0x0
	.amdhsa_kernel _ZL36rocblas_hemvn_kernel_upper_block_sumILi64EifPKPffEviT1_lS3_lT2_lT0_lPT3_i
		.amdhsa_group_segment_fixed_size 0
		.amdhsa_private_segment_fixed_size 0
		.amdhsa_kernarg_size 336
		.amdhsa_user_sgpr_count 2
		.amdhsa_user_sgpr_dispatch_ptr 0
		.amdhsa_user_sgpr_queue_ptr 0
		.amdhsa_user_sgpr_kernarg_segment_ptr 1
		.amdhsa_user_sgpr_dispatch_id 0
		.amdhsa_user_sgpr_kernarg_preload_length 0
		.amdhsa_user_sgpr_kernarg_preload_offset 0
		.amdhsa_user_sgpr_private_segment_size 0
		.amdhsa_uses_dynamic_stack 0
		.amdhsa_enable_private_segment 0
		.amdhsa_system_sgpr_workgroup_id_x 1
		.amdhsa_system_sgpr_workgroup_id_y 0
		.amdhsa_system_sgpr_workgroup_id_z 1
		.amdhsa_system_sgpr_workgroup_info 0
		.amdhsa_system_vgpr_workitem_id 0
		.amdhsa_next_free_vgpr 6
		.amdhsa_next_free_sgpr 19
		.amdhsa_accum_offset 8
		.amdhsa_reserve_vcc 1
		.amdhsa_float_round_mode_32 0
		.amdhsa_float_round_mode_16_64 0
		.amdhsa_float_denorm_mode_32 3
		.amdhsa_float_denorm_mode_16_64 3
		.amdhsa_dx10_clamp 1
		.amdhsa_ieee_mode 1
		.amdhsa_fp16_overflow 0
		.amdhsa_tg_split 0
		.amdhsa_exception_fp_ieee_invalid_op 0
		.amdhsa_exception_fp_denorm_src 0
		.amdhsa_exception_fp_ieee_div_zero 0
		.amdhsa_exception_fp_ieee_overflow 0
		.amdhsa_exception_fp_ieee_underflow 0
		.amdhsa_exception_fp_ieee_inexact 0
		.amdhsa_exception_int_div_zero 0
	.end_amdhsa_kernel
	.section	.text._ZL36rocblas_hemvn_kernel_upper_block_sumILi64EifPKPffEviT1_lS3_lT2_lT0_lPT3_i,"axG",@progbits,_ZL36rocblas_hemvn_kernel_upper_block_sumILi64EifPKPffEviT1_lS3_lT2_lT0_lPT3_i,comdat
.Lfunc_end142:
	.size	_ZL36rocblas_hemvn_kernel_upper_block_sumILi64EifPKPffEviT1_lS3_lT2_lT0_lPT3_i, .Lfunc_end142-_ZL36rocblas_hemvn_kernel_upper_block_sumILi64EifPKPffEviT1_lS3_lT2_lT0_lPT3_i
                                        ; -- End function
	.section	.AMDGPU.csdata,"",@progbits
; Kernel info:
; codeLenInByte = 516
; NumSgprs: 25
; NumVgprs: 6
; NumAgprs: 0
; TotalNumVgprs: 6
; ScratchSize: 0
; MemoryBound: 0
; FloatMode: 240
; IeeeMode: 1
; LDSByteSize: 0 bytes/workgroup (compile time only)
; SGPRBlocks: 3
; VGPRBlocks: 0
; NumSGPRsForWavesPerEU: 25
; NumVGPRsForWavesPerEU: 6
; AccumOffset: 8
; Occupancy: 8
; WaveLimiterHint : 1
; COMPUTE_PGM_RSRC2:SCRATCH_EN: 0
; COMPUTE_PGM_RSRC2:USER_SGPR: 2
; COMPUTE_PGM_RSRC2:TRAP_HANDLER: 0
; COMPUTE_PGM_RSRC2:TGID_X_EN: 1
; COMPUTE_PGM_RSRC2:TGID_Y_EN: 0
; COMPUTE_PGM_RSRC2:TGID_Z_EN: 1
; COMPUTE_PGM_RSRC2:TIDIG_COMP_CNT: 0
; COMPUTE_PGM_RSRC3_GFX90A:ACCUM_OFFSET: 1
; COMPUTE_PGM_RSRC3_GFX90A:TG_SPLIT: 0
	.section	.text._ZL50rocblas_symv_kernel_lower_double_buffered_diagonalILi32ELi4E24rocblas_internal_val_ptrIfEPKPKfPKPfEvbiT1_lT2_lllSA_lllS9_lT3_llli,"axG",@progbits,_ZL50rocblas_symv_kernel_lower_double_buffered_diagonalILi32ELi4E24rocblas_internal_val_ptrIfEPKPKfPKPfEvbiT1_lT2_lllSA_lllS9_lT3_llli,comdat
	.globl	_ZL50rocblas_symv_kernel_lower_double_buffered_diagonalILi32ELi4E24rocblas_internal_val_ptrIfEPKPKfPKPfEvbiT1_lT2_lllSA_lllS9_lT3_llli ; -- Begin function _ZL50rocblas_symv_kernel_lower_double_buffered_diagonalILi32ELi4E24rocblas_internal_val_ptrIfEPKPKfPKPfEvbiT1_lT2_lllSA_lllS9_lT3_llli
	.p2align	8
	.type	_ZL50rocblas_symv_kernel_lower_double_buffered_diagonalILi32ELi4E24rocblas_internal_val_ptrIfEPKPKfPKPfEvbiT1_lT2_lllSA_lllS9_lT3_llli,@function
_ZL50rocblas_symv_kernel_lower_double_buffered_diagonalILi32ELi4E24rocblas_internal_val_ptrIfEPKPKfPKPfEvbiT1_lT2_lllSA_lllS9_lT3_llli: ; @_ZL50rocblas_symv_kernel_lower_double_buffered_diagonalILi32ELi4E24rocblas_internal_val_ptrIfEPKPKfPKPfEvbiT1_lT2_lllSA_lllS9_lT3_llli
; %bb.0:
	s_mov_b32 s18, s3
	s_load_dword s3, s[0:1], 0x0
	s_load_dwordx8 s[4:11], s[0:1], 0x8
	s_load_dwordx2 s[16:17], s[0:1], 0x28
	s_mov_b64 s[22:23], -1
                                        ; implicit-def: $sgpr26
	s_waitcnt lgkmcnt(0)
	s_bitcmp1_b32 s3, 0
	s_cselect_b64 s[12:13], -1, 0
	s_xor_b64 s[20:21], s[12:13], -1
	s_and_b64 vcc, exec, s[20:21]
	s_cbranch_vccnz .LBB143_7
; %bb.1:
	s_load_dwordx4 s[12:15], s[0:1], 0x58
	s_andn2_b64 vcc, exec, s[22:23]
	s_cbranch_vccz .LBB143_8
.LBB143_2:
	s_andn2_b64 vcc, exec, s[20:21]
	s_cbranch_vccnz .LBB143_4
.LBB143_3:
	s_waitcnt lgkmcnt(0)
	s_mul_i32 s3, s18, s15
	s_mul_hi_u32 s4, s18, s14
	s_add_i32 s5, s4, s3
	s_mul_i32 s4, s18, s14
	s_lshl_b64 s[4:5], s[4:5], 2
	s_add_u32 s4, s12, s4
	s_addc_u32 s5, s13, s5
	s_load_dword s12, s[4:5], 0x0
.LBB143_4:
	s_waitcnt lgkmcnt(0)
	v_cmp_eq_f32_e64 s[20:21], s26, 0
	v_cmp_eq_f32_e64 s[4:5], s12, 1.0
	s_and_b64 s[4:5], s[20:21], s[4:5]
	s_and_b64 vcc, exec, s[4:5]
	s_cbranch_vccnz .LBB143_41
; %bb.5:
	v_cmp_neq_f32_e64 s[24:25], s26, 0
	s_mov_b32 s19, 0
	s_and_b64 vcc, exec, s[24:25]
	s_cbranch_vccnz .LBB143_9
; %bb.6:
	s_mov_b64 s[14:15], 0
	s_load_dwordx2 s[22:23], s[0:1], 0x68
	s_cbranch_execz .LBB143_10
	s_branch .LBB143_11
.LBB143_7:
	s_mul_i32 s3, s18, s7
	s_mul_hi_u32 s7, s18, s6
	s_add_i32 s7, s7, s3
	s_mul_i32 s6, s18, s6
	s_lshl_b64 s[6:7], s[6:7], 2
	s_add_u32 s6, s4, s6
	s_addc_u32 s7, s5, s7
	s_load_dword s26, s[6:7], 0x0
	s_load_dwordx4 s[12:15], s[0:1], 0x58
	s_cbranch_execnz .LBB143_2
.LBB143_8:
	s_waitcnt lgkmcnt(0)
	s_mov_b32 s26, s4
	s_andn2_b64 vcc, exec, s[20:21]
	s_cbranch_vccz .LBB143_3
	s_branch .LBB143_4
.LBB143_9:
                                        ; implicit-def: $sgpr14_sgpr15
	s_load_dwordx2 s[22:23], s[0:1], 0x68
.LBB143_10:
	s_lshl_b64 s[4:5], s[18:19], 3
	s_add_u32 s4, s8, s4
	s_addc_u32 s5, s9, s5
	s_load_dwordx2 s[4:5], s[4:5], 0x0
	s_lshl_b64 s[6:7], s[10:11], 2
	s_waitcnt lgkmcnt(0)
	s_add_u32 s14, s4, s6
	s_addc_u32 s15, s5, s7
.LBB143_11:
	s_load_dwordx4 s[4:7], s[0:1], 0x38
	s_load_dwordx2 s[8:9], s[0:1], 0x48
	s_andn2_b64 vcc, exec, s[24:25]
	s_cbranch_vccnz .LBB143_13
; %bb.12:
	s_lshl_b64 s[10:11], s[18:19], 3
	s_waitcnt lgkmcnt(0)
	s_add_u32 s4, s4, s10
	s_addc_u32 s5, s5, s11
	s_load_dwordx2 s[4:5], s[4:5], 0x0
	s_lshl_b64 s[6:7], s[6:7], 2
	s_waitcnt lgkmcnt(0)
	s_add_u32 s10, s4, s6
	s_addc_u32 s11, s5, s7
	s_branch .LBB143_14
.LBB143_13:
	s_mov_b64 s[10:11], 0
.LBB143_14:
	s_waitcnt lgkmcnt(0)
	s_load_dwordx4 s[4:7], s[0:1], 0x70
	s_lshl_b64 s[0:1], s[18:19], 3
	s_add_u32 s0, s22, s0
	s_addc_u32 s1, s23, s1
	s_load_dwordx2 s[0:1], s[0:1], 0x0
	s_waitcnt lgkmcnt(0)
	s_lshl_b64 s[4:5], s[4:5], 2
	v_bfe_u32 v5, v0, 10, 10
	v_and_b32_e32 v4, 0x3ff, v0
	s_add_u32 s3, s0, s4
	s_addc_u32 s4, s1, s5
	s_lshl_b32 s13, s2, 5
	s_ashr_i32 s18, s13, 31
	s_mul_i32 s0, s13, s7
	s_mul_hi_u32 s1, s13, s6
	s_add_i32 s0, s1, s0
	s_mul_i32 s1, s18, s6
	s_add_i32 s1, s0, s1
	s_mul_i32 s0, s13, s6
	s_lshl_b64 s[0:1], s[0:1], 2
	s_add_u32 s2, s3, s0
	s_addc_u32 s3, s4, s1
	s_mov_b64 s[4:5], -1
	s_andn2_b64 vcc, exec, s[20:21]
	v_cmp_eq_u32_e64 s[0:1], 0, v5
	s_cbranch_vccnz .LBB143_18
; %bb.15:
	s_and_saveexec_b64 s[4:5], s[0:1]
	s_cbranch_execz .LBB143_17
; %bb.16:
	v_mad_u64_u32 v[0:1], s[0:1], v4, s6, 0
	v_mov_b32_e32 v2, v1
	v_mad_u64_u32 v[2:3], s[0:1], v4, s7, v[2:3]
	v_mov_b32_e32 v1, v2
	v_lshl_add_u64 v[0:1], v[0:1], 2, s[2:3]
	global_load_dword v2, v[0:1], off
	s_waitcnt vmcnt(0)
	v_mul_f32_e32 v2, s12, v2
	global_store_dword v[0:1], v2, off
.LBB143_17:
	s_or_b64 exec, exec, s[4:5]
	s_mov_b64 s[4:5], 0
.LBB143_18:
	s_andn2_b64 vcc, exec, s[4:5]
	s_cbranch_vccnz .LBB143_41
; %bb.19:
	v_mov_b32_e32 v6, 0
	v_cmp_eq_u32_e64 s[0:1], 0, v5
	s_and_saveexec_b64 s[4:5], s[0:1]
	s_cbranch_execz .LBB143_23
; %bb.20:
	v_cmp_eq_f32_e64 s[20:21], s12, 0
	v_mov_b32_e32 v6, 0
	s_and_b64 vcc, exec, s[20:21]
	s_cbranch_vccnz .LBB143_22
; %bb.21:
	v_mad_u64_u32 v[0:1], s[20:21], v4, s6, 0
	v_mov_b32_e32 v2, v1
	v_mad_u64_u32 v[2:3], s[20:21], v4, s7, v[2:3]
	v_mov_b32_e32 v1, v2
	v_lshl_add_u64 v[0:1], v[0:1], 2, s[2:3]
	global_load_dword v0, v[0:1], off
	s_waitcnt vmcnt(0)
	v_mul_f32_e32 v6, s12, v0
.LBB143_22:
	s_mul_i32 s19, s13, s9
	s_mul_hi_u32 s20, s13, s8
	s_add_i32 s19, s20, s19
	s_mul_i32 s20, s18, s8
	s_add_i32 s21, s19, s20
	s_mul_i32 s20, s13, s8
	s_lshl_b64 s[20:21], s[20:21], 2
	s_add_u32 s10, s10, s20
	s_addc_u32 s11, s11, s21
	v_mad_u64_u32 v[0:1], s[20:21], v4, s8, 0
	v_mov_b32_e32 v2, v1
	v_mad_u64_u32 v[2:3], s[8:9], v4, s9, v[2:3]
	v_mov_b32_e32 v1, v2
	v_lshl_add_u64 v[0:1], v[0:1], 2, s[10:11]
	flat_load_dword v0, v[0:1]
	v_lshlrev_b32_e32 v1, 2, v4
	s_waitcnt vmcnt(0) lgkmcnt(0)
	ds_write_b32 v1, v0 offset:5120
.LBB143_23:
	s_or_b64 exec, exec, s[4:5]
	s_add_u32 s4, s16, 1
	s_addc_u32 s5, s17, 0
	s_mul_i32 s8, s4, s18
	s_mul_hi_u32 s9, s4, s13
	s_add_i32 s8, s9, s8
	s_mul_i32 s5, s5, s13
	s_add_i32 s5, s8, s5
	s_mul_i32 s4, s4, s13
	v_mad_u64_u32 v[0:1], s[8:9], v5, s16, 0
	s_lshl_b64 s[4:5], s[4:5], 2
	v_mov_b32_e32 v2, v1
	s_add_u32 s4, s14, s4
	v_mad_u64_u32 v[2:3], s[8:9], v5, s17, v[2:3]
	s_addc_u32 s5, s15, s5
	v_mov_b32_e32 v1, v2
	v_lshl_add_u64 v[2:3], v[0:1], 2, s[4:5]
	v_lshlrev_b32_e32 v0, 2, v4
	v_mov_b32_e32 v1, 0
	v_lshl_add_u64 v[2:3], v[2:3], 0, v[0:1]
	flat_load_dword v7, v[2:3]
	v_lshl_add_u32 v1, v5, 5, v4
	v_lshlrev_b32_e32 v1, 2, v1
	s_lshl_b64 s[4:5], s[16:17], 4
	v_lshl_add_u64 v[2:3], v[2:3], 0, s[4:5]
	v_add_u32_e32 v12, 4, v5
	v_add_u32_e32 v11, 8, v5
	v_add_u32_e32 v10, 12, v5
	v_cmp_lt_u32_e32 vcc, 15, v4
	s_waitcnt vmcnt(0) lgkmcnt(0)
	ds_write_b32 v1, v7
	flat_load_dword v8, v[2:3]
	v_lshlrev_b32_e32 v7, 5, v12
	v_add_lshl_u32 v7, v7, v4, 2
	v_lshl_add_u64 v[2:3], v[2:3], 0, s[4:5]
	s_waitcnt vmcnt(0) lgkmcnt(0)
	ds_write_b32 v7, v8
	flat_load_dword v9, v[2:3]
	v_lshlrev_b32_e32 v8, 5, v11
	v_add_lshl_u32 v8, v8, v4, 2
	v_lshl_add_u64 v[2:3], v[2:3], 0, s[4:5]
	s_waitcnt vmcnt(0) lgkmcnt(0)
	ds_write_b32 v8, v9
	flat_load_dword v13, v[2:3]
	v_lshlrev_b32_e32 v9, 5, v10
	v_add_lshl_u32 v9, v9, v4, 2
	s_waitcnt vmcnt(0) lgkmcnt(0)
	ds_write_b32 v9, v13
	s_and_saveexec_b64 s[8:9], vcc
	s_cbranch_execz .LBB143_25
; %bb.24:
	v_lshl_add_u64 v[2:3], v[2:3], 0, s[4:5]
	flat_load_dword v13, v[2:3]
	s_lshl_b64 s[10:11], s[16:17], 2
	v_lshl_add_u64 v[2:3], s[10:11], 2, v[2:3]
	s_waitcnt vmcnt(0) lgkmcnt(0)
	ds_write_b32 v1, v13 offset:2048
	flat_load_dword v13, v[2:3]
	v_lshl_add_u64 v[2:3], v[2:3], 0, s[4:5]
	s_waitcnt vmcnt(0) lgkmcnt(0)
	ds_write_b32 v1, v13 offset:2560
	flat_load_dword v13, v[2:3]
	;; [unrolled: 4-line block ×3, first 2 shown]
	s_waitcnt vmcnt(0) lgkmcnt(0)
	ds_write_b32 v1, v2 offset:3584
.LBB143_25:
	s_or_b64 exec, exec, s[8:9]
	v_cmp_lt_u32_e32 vcc, v4, v5
	v_lshlrev_b32_e32 v2, 5, v4
	s_waitcnt lgkmcnt(0)
	s_barrier
	s_and_saveexec_b64 s[4:5], vcc
	s_cbranch_execz .LBB143_27
; %bb.26:
	v_add_lshl_u32 v3, v2, v5, 2
	ds_read_b32 v3, v3
	s_waitcnt lgkmcnt(0)
	ds_write_b32 v1, v3
.LBB143_27:
	s_or_b64 exec, exec, s[4:5]
	v_sub_u32_e32 v3, v4, v5
	v_sub_u32_e32 v13, 0, v3
	v_max_i32_e32 v13, v3, v13
	v_cmp_gt_u32_e32 vcc, 4, v13
	v_add_lshl_u32 v14, v5, v2, 2
	s_and_saveexec_b64 s[4:5], vcc
	s_cbranch_execnz .LBB143_42
; %bb.28:
	s_or_b64 exec, exec, s[4:5]
	v_cmp_gt_u32_e32 vcc, 8, v13
	s_and_saveexec_b64 s[4:5], vcc
	s_cbranch_execnz .LBB143_43
.LBB143_29:
	s_or_b64 exec, exec, s[4:5]
	v_cmp_gt_u32_e32 vcc, 12, v13
	s_and_saveexec_b64 s[4:5], vcc
	s_cbranch_execz .LBB143_31
.LBB143_30:
	ds_read_b32 v3, v14 offset:48
	s_waitcnt lgkmcnt(0)
	ds_write_b32 v9, v3
.LBB143_31:
	s_or_b64 exec, exec, s[4:5]
	v_add_u32_e32 v3, 16, v5
	v_cmp_gt_u32_e32 vcc, 16, v13
	v_lshlrev_b32_e32 v3, 5, v3
	s_and_saveexec_b64 s[4:5], vcc
	s_cbranch_execnz .LBB143_44
; %bb.32:
	s_or_b64 exec, exec, s[4:5]
	v_cmp_gt_u32_e32 vcc, 20, v13
	s_and_saveexec_b64 s[4:5], vcc
	s_cbranch_execnz .LBB143_45
.LBB143_33:
	s_or_b64 exec, exec, s[4:5]
	v_cmp_gt_u32_e32 vcc, 24, v13
	s_and_saveexec_b64 s[4:5], vcc
	s_cbranch_execz .LBB143_35
.LBB143_34:
	v_add_lshl_u32 v11, v11, v2, 2
	ds_read_b32 v11, v11 offset:64
	s_waitcnt lgkmcnt(0)
	ds_write_b32 v1, v11 offset:3072
.LBB143_35:
	s_or_b64 exec, exec, s[4:5]
	v_cmp_lt_u32_e32 vcc, 27, v13
	v_add_u32_e32 v11, 28, v5
                                        ; implicit-def: $vgpr12
	s_and_saveexec_b64 s[4:5], vcc
	s_xor_b64 s[4:5], exec, s[4:5]
; %bb.36:
	v_add_u32_e32 v11, 28, v5
	v_lshl_add_u32 v12, v11, 5, v4
                                        ; implicit-def: $vgpr10
                                        ; implicit-def: $vgpr2
; %bb.37:
	s_andn2_saveexec_b64 s[4:5], s[4:5]
	s_cbranch_execz .LBB143_39
; %bb.38:
	v_add_lshl_u32 v2, v10, v2, 2
	ds_read_b32 v2, v2 offset:64
	v_lshl_add_u32 v12, v11, 5, v4
	v_lshlrev_b32_e32 v10, 2, v12
	s_waitcnt lgkmcnt(0)
	ds_write_b32 v10, v2
.LBB143_39:
	s_or_b64 exec, exec, s[4:5]
	v_lshlrev_b32_e32 v2, 2, v5
	v_add_u32_e32 v10, 0x1400, v2
	s_waitcnt lgkmcnt(0)
	s_barrier
	ds_read2_b32 v[14:15], v10 offset1:4
	ds_read2_b32 v[16:17], v10 offset0:8 offset1:12
	ds_read_b32 v13, v1
	ds_read_b32 v7, v7
	;; [unrolled: 1-line block ×4, first 2 shown]
	v_add_lshl_u32 v3, v3, v4, 2
	v_lshlrev_b32_e32 v8, 2, v12
	v_lshlrev_b32_e32 v5, 5, v5
	;; [unrolled: 1-line block ×3, first 2 shown]
	ds_read_b32 v11, v8
	ds_read_b32 v12, v9 offset:5120
	ds_read_b32 v20, v3
	ds_read_b32 v21, v2 offset:5216
	ds_read2_b32 v[2:3], v10 offset0:16 offset1:20
	v_add_lshl_u32 v5, v5, v4, 2
	s_waitcnt lgkmcnt(8)
	v_fma_f32 v13, v13, v14, 0
	ds_read2st64_b32 v[8:9], v5 offset0:10 offset1:12
	s_waitcnt lgkmcnt(8)
	v_fmac_f32_e32 v13, v7, v15
	s_waitcnt lgkmcnt(7)
	v_fmac_f32_e32 v13, v18, v16
	s_waitcnt lgkmcnt(6)
	v_fmac_f32_e32 v13, v19, v17
	s_waitcnt lgkmcnt(1)
	v_fmac_f32_e32 v13, v20, v2
	s_waitcnt lgkmcnt(0)
	v_fmac_f32_e32 v13, v8, v3
	v_fmac_f32_e32 v13, v9, v21
	v_fmac_f32_e32 v13, v11, v12
	ds_write_b32 v1, v13 offset:4096
	s_waitcnt lgkmcnt(0)
	s_barrier
	s_and_saveexec_b64 s[4:5], s[0:1]
	s_cbranch_execz .LBB143_41
; %bb.40:
	v_add_u32_e32 v2, 0x1000, v0
	ds_read2_b32 v[0:1], v2 offset1:32
	ds_read2_b32 v[2:3], v2 offset0:64 offset1:96
	v_cmp_neq_f32_e64 vcc, s12, 0
	s_waitcnt lgkmcnt(1)
	v_add_f32_e32 v0, 0, v0
	v_add_f32_e32 v0, v0, v1
	s_waitcnt lgkmcnt(0)
	v_add_f32_e32 v0, v0, v2
	v_add_f32_e32 v0, v0, v3
	v_mul_f32_e32 v1, s26, v0
	v_fmac_f32_e32 v6, s26, v0
	v_cndmask_b32_e32 v5, v1, v6, vcc
	v_mad_u64_u32 v[0:1], s[0:1], v4, s6, 0
	v_mov_b32_e32 v2, v1
	v_mad_u64_u32 v[2:3], s[0:1], v4, s7, v[2:3]
	v_mov_b32_e32 v1, v2
	v_lshl_add_u64 v[0:1], v[0:1], 2, s[2:3]
	global_store_dword v[0:1], v5, off
.LBB143_41:
	s_endpgm
.LBB143_42:
	ds_read_b32 v3, v14 offset:16
	s_waitcnt lgkmcnt(0)
	ds_write_b32 v7, v3
	s_or_b64 exec, exec, s[4:5]
	v_cmp_gt_u32_e32 vcc, 8, v13
	s_and_saveexec_b64 s[4:5], vcc
	s_cbranch_execz .LBB143_29
.LBB143_43:
	ds_read_b32 v3, v14 offset:32
	s_waitcnt lgkmcnt(0)
	ds_write_b32 v8, v3
	s_or_b64 exec, exec, s[4:5]
	v_cmp_gt_u32_e32 vcc, 12, v13
	s_and_saveexec_b64 s[4:5], vcc
	s_cbranch_execnz .LBB143_30
	s_branch .LBB143_31
.LBB143_44:
	ds_read_b32 v14, v14 offset:64
	v_add_lshl_u32 v15, v3, v4, 2
	s_waitcnt lgkmcnt(0)
	ds_write_b32 v15, v14
	s_or_b64 exec, exec, s[4:5]
	v_cmp_gt_u32_e32 vcc, 20, v13
	s_and_saveexec_b64 s[4:5], vcc
	s_cbranch_execz .LBB143_33
.LBB143_45:
	v_add_lshl_u32 v12, v12, v2, 2
	ds_read_b32 v12, v12 offset:64
	s_waitcnt lgkmcnt(0)
	ds_write_b32 v1, v12 offset:2560
	s_or_b64 exec, exec, s[4:5]
	v_cmp_gt_u32_e32 vcc, 24, v13
	s_and_saveexec_b64 s[4:5], vcc
	s_cbranch_execnz .LBB143_34
	s_branch .LBB143_35
	.section	.rodata,"a",@progbits
	.p2align	6, 0x0
	.amdhsa_kernel _ZL50rocblas_symv_kernel_lower_double_buffered_diagonalILi32ELi4E24rocblas_internal_val_ptrIfEPKPKfPKPfEvbiT1_lT2_lllSA_lllS9_lT3_llli
		.amdhsa_group_segment_fixed_size 5248
		.amdhsa_private_segment_fixed_size 0
		.amdhsa_kernarg_size 140
		.amdhsa_user_sgpr_count 2
		.amdhsa_user_sgpr_dispatch_ptr 0
		.amdhsa_user_sgpr_queue_ptr 0
		.amdhsa_user_sgpr_kernarg_segment_ptr 1
		.amdhsa_user_sgpr_dispatch_id 0
		.amdhsa_user_sgpr_kernarg_preload_length 0
		.amdhsa_user_sgpr_kernarg_preload_offset 0
		.amdhsa_user_sgpr_private_segment_size 0
		.amdhsa_uses_dynamic_stack 0
		.amdhsa_enable_private_segment 0
		.amdhsa_system_sgpr_workgroup_id_x 1
		.amdhsa_system_sgpr_workgroup_id_y 0
		.amdhsa_system_sgpr_workgroup_id_z 1
		.amdhsa_system_sgpr_workgroup_info 0
		.amdhsa_system_vgpr_workitem_id 1
		.amdhsa_next_free_vgpr 22
		.amdhsa_next_free_sgpr 27
		.amdhsa_accum_offset 24
		.amdhsa_reserve_vcc 1
		.amdhsa_float_round_mode_32 0
		.amdhsa_float_round_mode_16_64 0
		.amdhsa_float_denorm_mode_32 3
		.amdhsa_float_denorm_mode_16_64 3
		.amdhsa_dx10_clamp 1
		.amdhsa_ieee_mode 1
		.amdhsa_fp16_overflow 0
		.amdhsa_tg_split 0
		.amdhsa_exception_fp_ieee_invalid_op 0
		.amdhsa_exception_fp_denorm_src 0
		.amdhsa_exception_fp_ieee_div_zero 0
		.amdhsa_exception_fp_ieee_overflow 0
		.amdhsa_exception_fp_ieee_underflow 0
		.amdhsa_exception_fp_ieee_inexact 0
		.amdhsa_exception_int_div_zero 0
	.end_amdhsa_kernel
	.section	.text._ZL50rocblas_symv_kernel_lower_double_buffered_diagonalILi32ELi4E24rocblas_internal_val_ptrIfEPKPKfPKPfEvbiT1_lT2_lllSA_lllS9_lT3_llli,"axG",@progbits,_ZL50rocblas_symv_kernel_lower_double_buffered_diagonalILi32ELi4E24rocblas_internal_val_ptrIfEPKPKfPKPfEvbiT1_lT2_lllSA_lllS9_lT3_llli,comdat
.Lfunc_end143:
	.size	_ZL50rocblas_symv_kernel_lower_double_buffered_diagonalILi32ELi4E24rocblas_internal_val_ptrIfEPKPKfPKPfEvbiT1_lT2_lllSA_lllS9_lT3_llli, .Lfunc_end143-_ZL50rocblas_symv_kernel_lower_double_buffered_diagonalILi32ELi4E24rocblas_internal_val_ptrIfEPKPKfPKPfEvbiT1_lT2_lllSA_lllS9_lT3_llli
                                        ; -- End function
	.section	.AMDGPU.csdata,"",@progbits
; Kernel info:
; codeLenInByte = 1976
; NumSgprs: 33
; NumVgprs: 22
; NumAgprs: 0
; TotalNumVgprs: 22
; ScratchSize: 0
; MemoryBound: 0
; FloatMode: 240
; IeeeMode: 1
; LDSByteSize: 5248 bytes/workgroup (compile time only)
; SGPRBlocks: 4
; VGPRBlocks: 2
; NumSGPRsForWavesPerEU: 33
; NumVGPRsForWavesPerEU: 22
; AccumOffset: 24
; Occupancy: 6
; WaveLimiterHint : 1
; COMPUTE_PGM_RSRC2:SCRATCH_EN: 0
; COMPUTE_PGM_RSRC2:USER_SGPR: 2
; COMPUTE_PGM_RSRC2:TRAP_HANDLER: 0
; COMPUTE_PGM_RSRC2:TGID_X_EN: 1
; COMPUTE_PGM_RSRC2:TGID_Y_EN: 0
; COMPUTE_PGM_RSRC2:TGID_Z_EN: 1
; COMPUTE_PGM_RSRC2:TIDIG_COMP_CNT: 1
; COMPUTE_PGM_RSRC3_GFX90A:ACCUM_OFFSET: 5
; COMPUTE_PGM_RSRC3_GFX90A:TG_SPLIT: 0
	.section	.text._ZL54rocblas_symv_kernel_lower_double_buffered_non_diagonalILi32ELi4ELi4E24rocblas_internal_val_ptrIfEPKPKfPKPfEvbiT2_lT3_lllSA_lllT4_llli,"axG",@progbits,_ZL54rocblas_symv_kernel_lower_double_buffered_non_diagonalILi32ELi4ELi4E24rocblas_internal_val_ptrIfEPKPKfPKPfEvbiT2_lT3_lllSA_lllT4_llli,comdat
	.globl	_ZL54rocblas_symv_kernel_lower_double_buffered_non_diagonalILi32ELi4ELi4E24rocblas_internal_val_ptrIfEPKPKfPKPfEvbiT2_lT3_lllSA_lllT4_llli ; -- Begin function _ZL54rocblas_symv_kernel_lower_double_buffered_non_diagonalILi32ELi4ELi4E24rocblas_internal_val_ptrIfEPKPKfPKPfEvbiT2_lT3_lllSA_lllT4_llli
	.p2align	8
	.type	_ZL54rocblas_symv_kernel_lower_double_buffered_non_diagonalILi32ELi4ELi4E24rocblas_internal_val_ptrIfEPKPKfPKPfEvbiT2_lT3_lllSA_lllT4_llli,@function
_ZL54rocblas_symv_kernel_lower_double_buffered_non_diagonalILi32ELi4ELi4E24rocblas_internal_val_ptrIfEPKPKfPKPfEvbiT2_lT3_lllSA_lllT4_llli: ; @_ZL54rocblas_symv_kernel_lower_double_buffered_non_diagonalILi32ELi4ELi4E24rocblas_internal_val_ptrIfEPKPKfPKPfEvbiT2_lT3_lllSA_lllT4_llli
; %bb.0:
	s_load_dword s5, s[0:1], 0x0
	s_load_dwordx8 s[8:15], s[0:1], 0x8
	s_load_dwordx2 s[16:17], s[0:1], 0x28
	s_waitcnt lgkmcnt(0)
	s_bitcmp0_b32 s5, 0
	s_cbranch_scc0 .LBB144_2
; %bb.1:
	s_mul_i32 s5, s4, s11
	s_mul_hi_u32 s6, s4, s10
	s_add_i32 s7, s6, s5
	s_mul_i32 s6, s4, s10
	s_lshl_b64 s[6:7], s[6:7], 2
	s_add_u32 s6, s8, s6
	s_addc_u32 s7, s9, s7
	s_load_dword s22, s[6:7], 0x0
	s_cbranch_execz .LBB144_3
	s_branch .LBB144_4
.LBB144_2:
                                        ; implicit-def: $sgpr22
.LBB144_3:
	s_waitcnt lgkmcnt(0)
	s_mov_b32 s22, s8
.LBB144_4:
	s_waitcnt lgkmcnt(0)
	v_cmp_eq_f32_e64 s[6:7], s22, 0
	s_and_b64 vcc, exec, s[6:7]
	s_cbranch_vccnz .LBB144_21
; %bb.5:
	s_load_dwordx2 s[6:7], s[0:1], 0x80
	s_waitcnt lgkmcnt(0)
	v_cvt_f32_u32_e32 v1, s7
	s_add_i32 s5, s6, -1
	s_cmp_eq_u32 s2, s5
	v_rcp_iflag_f32_e32 v1, v1
	s_nop 0
	v_mul_f32_e32 v1, 0x4f7ffffe, v1
	v_cvt_u32_f32_e32 v1, v1
	s_nop 0
	v_readfirstlane_b32 s5, v1
	s_cbranch_scc1 .LBB144_21
; %bb.6:
	s_not_b32 s10, s2
	s_add_i32 s6, s6, s10
	s_sub_i32 s10, 0, s7
	s_mul_i32 s10, s10, s5
	s_mul_hi_u32 s10, s5, s10
	s_add_i32 s5, s5, s10
	s_mul_hi_u32 s23, s6, s5
	s_load_dwordx4 s[24:27], s[0:1], 0x38
	s_load_dwordx2 s[10:11], s[0:1], 0x48
	s_mov_b32 s5, 0
	s_lshl_b64 s[4:5], s[4:5], 3
	s_add_u32 s18, s12, s4
	s_addc_u32 s19, s13, s5
	s_load_dwordx2 s[8:9], s[0:1], 0x58
	s_waitcnt lgkmcnt(0)
	s_add_u32 s12, s24, s4
	s_addc_u32 s13, s25, s5
	s_load_dwordx2 s[12:13], s[12:13], 0x0
	v_and_b32_e32 v32, 0x3ff, v0
	s_add_u32 s20, s8, s4
	s_addc_u32 s21, s9, s5
	s_lshl_b64 s[4:5], s[26:27], 2
	s_waitcnt lgkmcnt(0)
	s_add_u32 s8, s12, s4
	v_bfe_u32 v0, v0, 10, 10
	s_addc_u32 s9, s13, s5
	s_lshl_b32 s12, s2, 5
	s_ashr_i32 s13, s12, 31
	v_cmp_eq_u32_e32 vcc, 0, v0
	s_and_saveexec_b64 s[4:5], vcc
	s_cbranch_execz .LBB144_8
; %bb.7:
	s_mul_i32 s2, s12, s11
	s_mul_hi_u32 s24, s12, s10
	s_add_i32 s2, s24, s2
	s_mul_i32 s24, s13, s10
	s_add_i32 s25, s2, s24
	s_mul_i32 s24, s12, s10
	v_mad_u64_u32 v[2:3], s[26:27], v32, s10, 0
	s_lshl_b64 s[24:25], s[24:25], 2
	v_mov_b32_e32 v4, v3
	s_add_u32 s24, s8, s24
	v_mad_u64_u32 v[4:5], s[26:27], v32, s11, v[4:5]
	s_addc_u32 s25, s9, s25
	v_mov_b32_e32 v3, v4
	v_lshl_add_u64 v[2:3], v[2:3], 2, s[24:25]
	global_load_dword v1, v[2:3], off
	v_lshlrev_b32_e32 v2, 2, v32
	s_waitcnt vmcnt(0)
	ds_write_b32 v2, v1 offset:3072
.LBB144_8:
	s_or_b64 exec, exec, s[4:5]
	s_mul_i32 s2, s23, s7
	s_sub_i32 s2, s6, s2
	s_add_i32 s4, s23, 1
	s_sub_i32 s5, s2, s7
	s_cmp_ge_u32 s2, s7
	s_cselect_b32 s4, s4, s23
	s_cselect_b32 s2, s5, s2
	s_add_i32 s5, s4, 1
	s_cmp_ge_u32 s2, s7
	s_cselect_b32 s2, s5, s4
	s_add_i32 s4, s7, -1
	s_cmp_lg_u32 s3, s4
	s_mov_b32 s23, s2
	s_cbranch_scc1 .LBB144_10
; %bb.9:
	s_mul_i32 s4, s2, s7
	s_sub_i32 s4, s6, s4
	s_add_i32 s23, s4, s2
.LBB144_10:
	s_cmp_eq_u32 s23, 0
	s_cbranch_scc1 .LBB144_21
; %bb.11:
	s_load_dwordx4 s[4:7], s[0:1], 0x60
	s_load_dwordx2 s[24:25], s[20:21], 0x0
	v_lshl_add_u32 v0, v0, 5, v32
	v_and_b32_e32 v4, 15, v32
	v_lshrrev_b32_e32 v33, 4, v0
	s_waitcnt lgkmcnt(0)
	s_lshl_b64 s[0:1], s[4:5], 2
	s_mul_i32 s4, s12, s7
	s_mul_hi_u32 s5, s12, s6
	s_add_u32 s20, s24, s0
	s_addc_u32 s21, s25, s1
	s_add_i32 s0, s5, s4
	s_mul_i32 s1, s13, s6
	s_add_i32 s1, s0, s1
	s_mul_i32 s0, s12, s6
	s_lshl_b64 s[0:1], s[0:1], 2
	s_add_u32 s0, s20, s0
	s_addc_u32 s1, s21, s1
	s_cmp_lt_i32 s23, 1
	v_mov_b32_e32 v41, 0
	v_lshlrev_b32_e32 v6, 2, v4
	v_mov_b32_e32 v42, 0
	v_mov_b32_e32 v43, 0
	;; [unrolled: 1-line block ×3, first 2 shown]
	s_barrier
	s_cbranch_scc1 .LBB144_19
; %bb.12:
	s_mul_i32 s3, s3, s2
	v_lshlrev_b32_e32 v1, 2, v33
	v_mov_b32_e32 v5, 0
	s_lshl_b32 s2, s3, 5
	s_load_dwordx2 s[20:21], s[18:19], 0x0
	v_mad_u64_u32 v[2:3], s[4:5], v1, s16, v[4:5]
	s_ashr_i32 s3, s2, 31
	s_mul_i32 s18, s2, s7
	s_mul_hi_u32 s19, s2, s6
	v_mov_b32_e32 v8, v3
	s_add_i32 s18, s19, s18
	s_mul_i32 s19, s3, s6
	v_mad_u64_u32 v[8:9], s[4:5], v1, s17, v[8:9]
	s_add_i32 s19, s18, s19
	s_mul_i32 s18, s2, s6
	s_lshl_b64 s[4:5], s[10:11], 7
	s_lshl_b64 s[18:19], s[18:19], 2
	s_add_u32 s18, s0, s18
	s_addc_u32 s19, s1, s19
	s_lshl_b64 s[14:15], s[14:15], 2
	s_waitcnt lgkmcnt(0)
	s_add_u32 s26, s20, s14
	s_addc_u32 s27, s21, s15
	s_add_u32 s14, s16, 1
	s_addc_u32 s15, s17, 0
	s_mul_i32 s20, s14, s13
	s_mul_hi_u32 s21, s14, s12
	s_add_i32 s20, s21, s20
	s_mul_i32 s15, s15, s12
	s_add_i32 s15, s20, s15
	s_mul_i32 s14, s14, s12
	s_lshl_b64 s[14:15], s[14:15], 2
	s_add_u32 s24, s26, s14
	s_addc_u32 s25, s27, s15
	s_lshl_b64 s[20:21], s[2:3], 2
	s_add_u32 s2, s24, s20
	v_mov_b32_e32 v3, v8
	s_addc_u32 s3, s25, s21
	v_lshl_add_u64 v[2:3], v[2:3], 2, s[2:3]
	s_lshl_b64 s[2:3], s[16:17], 2
	global_load_dword v37, v[2:3], off offset:128
	v_lshl_add_u64 v[2:3], v[2:3], 0, s[2:3]
	global_load_dword v38, v[2:3], off offset:128
	v_lshl_add_u64 v[2:3], v[2:3], 0, s[2:3]
	;; [unrolled: 2-line block ×3, first 2 shown]
	global_load_dword v40, v[2:3], off offset:128
	s_lshl_b64 s[2:3], s[6:7], 7
	v_mad_u64_u32 v[8:9], s[24:25], v32, s6, 0
	s_lshl_b64 s[12:13], s[12:13], 2
	v_mov_b32_e32 v2, v9
	s_add_u32 s12, s20, s12
	v_lshl_or_b32 v1, v33, 7, v6
	v_mad_u64_u32 v[2:3], s[24:25], v32, s7, v[2:3]
	s_addc_u32 s13, s21, s13
	v_mov_b32_e32 v7, v5
	v_add_u32_e32 v34, 0x800, v1
	v_mov_b32_e32 v9, v2
	v_mov_b32_e32 v1, 0xc00
	v_lshl_add_u64 v[2:3], s[12:13], 0, v[6:7]
	s_mov_b64 s[12:13], 0x80
	v_lshl_add_u32 v35, v33, 4, v1
	v_mov_b32_e32 v1, 0x800
	v_lshl_add_u64 v[10:11], v[2:3], 0, s[12:13]
	v_lshl_add_u32 v36, v32, 2, v1
	v_mul_lo_u32 v1, s11, v10
	v_mul_lo_u32 v12, s10, v11
	v_mad_u64_u32 v[10:11], s[24:25], s10, v10, 0
	s_mov_b64 s[24:25], 0xc0
	s_nop 0
	v_lshl_add_u64 v[2:3], v[2:3], 0, s[24:25]
	v_add3_u32 v11, v11, v12, v1
	v_mul_lo_u32 v1, s11, v2
	v_mul_lo_u32 v3, s10, v3
	v_mad_u64_u32 v[12:13], s[10:11], s10, v2, 0
	s_add_u32 s10, s26, s20
	s_addc_u32 s11, s27, s21
	s_add_u32 s10, s10, s14
	v_and_b32_e32 v18, 0xfff0, v0
	s_addc_u32 s11, s11, s15
	v_add3_u32 v13, v13, v3, v1
	v_or_b32_e32 v3, 4, v18
	v_mov_b64_e32 v[0:1], s[10:11]
	v_mad_u64_u32 v[14:15], s[14:15], s16, v3, v[0:1]
	v_mov_b32_e32 v2, v15
	v_mad_u64_u32 v[2:3], s[14:15], s17, v3, v[2:3]
	v_or_b32_e32 v3, 8, v18
	v_mad_u64_u32 v[16:17], s[14:15], s16, v3, v[0:1]
	v_mov_b32_e32 v15, v2
	v_mov_b32_e32 v2, v17
	v_mad_u64_u32 v[2:3], s[14:15], s17, v3, v[2:3]
	v_mov_b32_e32 v17, v2
	v_or_b32_e32 v2, 12, v18
	v_mad_u64_u32 v[18:19], s[14:15], s16, v2, v[0:1]
	v_mov_b32_e32 v0, v19
	v_mad_u64_u32 v[0:1], s[14:15], s17, v2, v[0:1]
	v_mov_b32_e32 v19, v0
	;; [unrolled: 2-line block ×4, first 2 shown]
	v_lshl_add_u64 v[20:21], v[0:1], 4, s[10:11]
	v_mov_b64_e32 v[22:23], s[18:19]
	v_mov_b32_e32 v43, v5
	v_mov_b32_e32 v42, v5
	;; [unrolled: 1-line block ×3, first 2 shown]
	s_waitcnt vmcnt(3)
	v_mov_b32_e32 v44, v37
	s_waitcnt vmcnt(2)
	v_mov_b32_e32 v45, v38
	;; [unrolled: 2-line block ×4, first 2 shown]
.LBB144_13:                             ; =>This Inner Loop Header: Depth=1
	v_lshl_add_u64 v[0:1], s[8:9], 0, v[10:11]
	v_lshl_add_u64 v[26:27], v[20:21], 0, v[6:7]
	;; [unrolled: 1-line block ×6, first 2 shown]
	global_load_dword v49, v[0:1], off
	global_load_dword v48, v[2:3], off
	global_load_dword v50, v[26:27], off offset:192
	global_load_dword v51, v[24:25], off offset:192
	;; [unrolled: 1-line block ×4, first 2 shown]
	ds_read_b128 v[0:3], v35
	s_cmp_eq_u32 s23, 1
	s_cbranch_scc1 .LBB144_15
; %bb.14:                               ;   in Loop: Header=BB144_13 Depth=1
	global_load_dword v44, v[26:27], off offset:256
	global_load_dword v45, v[24:25], off offset:256
	;; [unrolled: 1-line block ×4, first 2 shown]
.LBB144_15:                             ;   in Loop: Header=BB144_13 Depth=1
	s_waitcnt lgkmcnt(0)
	v_fma_f32 v24, v37, v0, 0
	s_waitcnt vmcnt(3)
	v_fma_f32 v0, v50, v0, 0
	v_fmac_f32_e32 v24, v38, v1
	s_waitcnt vmcnt(2)
	v_fmac_f32_e32 v0, v51, v1
	v_fmac_f32_e32 v24, v39, v2
	s_waitcnt vmcnt(1)
	v_fmac_f32_e32 v0, v52, v2
	;; [unrolled: 3-line block ×3, first 2 shown]
	s_barrier
	ds_write2_b32 v34, v24, v0 offset1:16
	s_waitcnt lgkmcnt(0)
	s_barrier
	s_and_saveexec_b64 s[10:11], vcc
	s_cbranch_execz .LBB144_17
; %bb.16:                               ;   in Loop: Header=BB144_13 Depth=1
	ds_read2_b32 v[0:1], v36 offset1:32
	ds_read2_b32 v[2:3], v36 offset0:64 offset1:96
	ds_read2_b32 v[24:25], v36 offset0:128 offset1:160
	;; [unrolled: 1-line block ×3, first 2 shown]
	v_lshl_add_u64 v[22:23], v[22:23], 0, s[2:3]
	s_waitcnt lgkmcnt(3)
	v_add_f32_e32 v0, 0, v0
	v_add_f32_e32 v0, v0, v1
	s_waitcnt lgkmcnt(2)
	v_add_f32_e32 v0, v0, v2
	v_add_f32_e32 v0, v0, v3
	;; [unrolled: 3-line block ×4, first 2 shown]
	v_lshl_add_u64 v[0:1], v[8:9], 2, v[22:23]
	v_mul_f32_e32 v2, s22, v2
	global_atomic_add_f32 v[0:1], v2, off
.LBB144_17:                             ;   in Loop: Header=BB144_13 Depth=1
	s_or_b64 exec, exec, s[10:11]
	s_add_u32 s8, s8, s4
	v_fmac_f32_e32 v5, v49, v37
	v_fmac_f32_e32 v43, v49, v38
	;; [unrolled: 1-line block ×4, first 2 shown]
	s_addc_u32 s9, s9, s5
	s_add_i32 s23, s23, -1
	v_fmac_f32_e32 v5, v48, v50
	v_fmac_f32_e32 v43, v48, v51
	;; [unrolled: 1-line block ×4, first 2 shown]
	v_lshl_add_u64 v[14:15], v[14:15], 0, s[12:13]
	v_lshl_add_u64 v[16:17], v[16:17], 0, s[12:13]
	;; [unrolled: 1-line block ×3, first 2 shown]
	s_cmp_eq_u32 s23, 0
	v_lshl_add_u64 v[20:21], v[20:21], 0, s[12:13]
	s_cbranch_scc1 .LBB144_19
; %bb.18:                               ;   in Loop: Header=BB144_13 Depth=1
	v_mov_b32_e32 v37, v44
	v_mov_b32_e32 v38, v45
	;; [unrolled: 1-line block ×4, first 2 shown]
	s_branch .LBB144_13
.LBB144_19:
	v_lshl_or_b32 v0, v33, 8, v6
	ds_write2_b32 v0, v5, v43 offset1:16
	ds_write2_b32 v0, v42, v41 offset0:32 offset1:48
	s_waitcnt lgkmcnt(0)
	s_barrier
	s_and_saveexec_b64 s[2:3], vcc
	s_cbranch_execz .LBB144_21
; %bb.20:
	v_lshlrev_b32_e32 v0, 4, v32
	v_or_b32_e32 v1, v4, v0
	v_add_u32_e32 v3, 1, v32
	v_add_u32_e32 v4, 2, v32
	;; [unrolled: 1-line block ×7, first 2 shown]
	v_and_or_b32 v3, v3, 15, v0
	v_and_or_b32 v4, v4, 15, v0
	;; [unrolled: 1-line block ×7, first 2 shown]
	v_lshlrev_b32_e32 v2, 2, v1
	v_lshlrev_b32_e32 v3, 2, v3
	;; [unrolled: 1-line block ×8, first 2 shown]
	ds_read_b32 v2, v2
	ds_read_b32 v3, v3
	;; [unrolled: 1-line block ×8, first 2 shown]
	s_waitcnt lgkmcnt(7)
	v_add_f32_e32 v2, 0, v2
	s_waitcnt lgkmcnt(6)
	v_add_f32_e32 v2, v2, v3
	;; [unrolled: 2-line block ×8, first 2 shown]
	v_add_u32_e32 v3, 9, v32
	v_add_u32_e32 v4, 10, v32
	;; [unrolled: 1-line block ×6, first 2 shown]
	v_add_u32_e32 v9, -1, v32
	v_xor_b32_e32 v1, 8, v1
	v_and_or_b32 v3, v3, 15, v0
	v_and_or_b32 v4, v4, 15, v0
	;; [unrolled: 1-line block ×7, first 2 shown]
	v_lshlrev_b32_e32 v1, 2, v1
	v_lshlrev_b32_e32 v3, 2, v3
	;; [unrolled: 1-line block ×8, first 2 shown]
	ds_read_b32 v1, v1
	ds_read_b32 v3, v3
	;; [unrolled: 1-line block ×8, first 2 shown]
	s_waitcnt lgkmcnt(7)
	v_add_f32_e32 v1, v2, v1
	s_waitcnt lgkmcnt(6)
	v_add_f32_e32 v1, v1, v3
	;; [unrolled: 2-line block ×8, first 2 shown]
	v_mad_u64_u32 v[0:1], s[2:3], v32, s6, 0
	v_mov_b32_e32 v2, v1
	v_mad_u64_u32 v[2:3], s[2:3], v32, s7, v[2:3]
	v_mov_b32_e32 v1, v2
	v_lshl_add_u64 v[0:1], v[0:1], 2, s[0:1]
	v_mul_f32_e32 v2, s22, v4
	global_atomic_add_f32 v[0:1], v2, off
.LBB144_21:
	s_endpgm
	.section	.rodata,"a",@progbits
	.p2align	6, 0x0
	.amdhsa_kernel _ZL54rocblas_symv_kernel_lower_double_buffered_non_diagonalILi32ELi4ELi4E24rocblas_internal_val_ptrIfEPKPKfPKPfEvbiT2_lT3_lllSA_lllT4_llli
		.amdhsa_group_segment_fixed_size 3200
		.amdhsa_private_segment_fixed_size 0
		.amdhsa_kernarg_size 384
		.amdhsa_user_sgpr_count 2
		.amdhsa_user_sgpr_dispatch_ptr 0
		.amdhsa_user_sgpr_queue_ptr 0
		.amdhsa_user_sgpr_kernarg_segment_ptr 1
		.amdhsa_user_sgpr_dispatch_id 0
		.amdhsa_user_sgpr_kernarg_preload_length 0
		.amdhsa_user_sgpr_kernarg_preload_offset 0
		.amdhsa_user_sgpr_private_segment_size 0
		.amdhsa_uses_dynamic_stack 0
		.amdhsa_enable_private_segment 0
		.amdhsa_system_sgpr_workgroup_id_x 1
		.amdhsa_system_sgpr_workgroup_id_y 1
		.amdhsa_system_sgpr_workgroup_id_z 1
		.amdhsa_system_sgpr_workgroup_info 0
		.amdhsa_system_vgpr_workitem_id 1
		.amdhsa_next_free_vgpr 54
		.amdhsa_next_free_sgpr 28
		.amdhsa_accum_offset 56
		.amdhsa_reserve_vcc 1
		.amdhsa_float_round_mode_32 0
		.amdhsa_float_round_mode_16_64 0
		.amdhsa_float_denorm_mode_32 3
		.amdhsa_float_denorm_mode_16_64 3
		.amdhsa_dx10_clamp 1
		.amdhsa_ieee_mode 1
		.amdhsa_fp16_overflow 0
		.amdhsa_tg_split 0
		.amdhsa_exception_fp_ieee_invalid_op 0
		.amdhsa_exception_fp_denorm_src 0
		.amdhsa_exception_fp_ieee_div_zero 0
		.amdhsa_exception_fp_ieee_overflow 0
		.amdhsa_exception_fp_ieee_underflow 0
		.amdhsa_exception_fp_ieee_inexact 0
		.amdhsa_exception_int_div_zero 0
	.end_amdhsa_kernel
	.section	.text._ZL54rocblas_symv_kernel_lower_double_buffered_non_diagonalILi32ELi4ELi4E24rocblas_internal_val_ptrIfEPKPKfPKPfEvbiT2_lT3_lllSA_lllT4_llli,"axG",@progbits,_ZL54rocblas_symv_kernel_lower_double_buffered_non_diagonalILi32ELi4ELi4E24rocblas_internal_val_ptrIfEPKPKfPKPfEvbiT2_lT3_lllSA_lllT4_llli,comdat
.Lfunc_end144:
	.size	_ZL54rocblas_symv_kernel_lower_double_buffered_non_diagonalILi32ELi4ELi4E24rocblas_internal_val_ptrIfEPKPKfPKPfEvbiT2_lT3_lllSA_lllT4_llli, .Lfunc_end144-_ZL54rocblas_symv_kernel_lower_double_buffered_non_diagonalILi32ELi4ELi4E24rocblas_internal_val_ptrIfEPKPKfPKPfEvbiT2_lT3_lllSA_lllT4_llli
                                        ; -- End function
	.section	.AMDGPU.csdata,"",@progbits
; Kernel info:
; codeLenInByte = 2260
; NumSgprs: 34
; NumVgprs: 54
; NumAgprs: 0
; TotalNumVgprs: 54
; ScratchSize: 0
; MemoryBound: 0
; FloatMode: 240
; IeeeMode: 1
; LDSByteSize: 3200 bytes/workgroup (compile time only)
; SGPRBlocks: 4
; VGPRBlocks: 6
; NumSGPRsForWavesPerEU: 34
; NumVGPRsForWavesPerEU: 54
; AccumOffset: 56
; Occupancy: 8
; WaveLimiterHint : 1
; COMPUTE_PGM_RSRC2:SCRATCH_EN: 0
; COMPUTE_PGM_RSRC2:USER_SGPR: 2
; COMPUTE_PGM_RSRC2:TRAP_HANDLER: 0
; COMPUTE_PGM_RSRC2:TGID_X_EN: 1
; COMPUTE_PGM_RSRC2:TGID_Y_EN: 1
; COMPUTE_PGM_RSRC2:TGID_Z_EN: 1
; COMPUTE_PGM_RSRC2:TIDIG_COMP_CNT: 1
; COMPUTE_PGM_RSRC3_GFX90A:ACCUM_OFFSET: 13
; COMPUTE_PGM_RSRC3_GFX90A:TG_SPLIT: 0
	.section	.text._ZL58rocblas_symv_kernel_lower_double_buffered_diagonal_genericILi32ELi4E24rocblas_internal_val_ptrIfEPKPKfPKPfEvbiT1_lT2_lllSA_lllS9_lT3_lllii,"axG",@progbits,_ZL58rocblas_symv_kernel_lower_double_buffered_diagonal_genericILi32ELi4E24rocblas_internal_val_ptrIfEPKPKfPKPfEvbiT1_lT2_lllSA_lllS9_lT3_lllii,comdat
	.globl	_ZL58rocblas_symv_kernel_lower_double_buffered_diagonal_genericILi32ELi4E24rocblas_internal_val_ptrIfEPKPKfPKPfEvbiT1_lT2_lllSA_lllS9_lT3_lllii ; -- Begin function _ZL58rocblas_symv_kernel_lower_double_buffered_diagonal_genericILi32ELi4E24rocblas_internal_val_ptrIfEPKPKfPKPfEvbiT1_lT2_lllSA_lllS9_lT3_lllii
	.p2align	8
	.type	_ZL58rocblas_symv_kernel_lower_double_buffered_diagonal_genericILi32ELi4E24rocblas_internal_val_ptrIfEPKPKfPKPfEvbiT1_lT2_lllSA_lllS9_lT3_lllii,@function
_ZL58rocblas_symv_kernel_lower_double_buffered_diagonal_genericILi32ELi4E24rocblas_internal_val_ptrIfEPKPKfPKPfEvbiT1_lT2_lllSA_lllS9_lT3_lllii: ; @_ZL58rocblas_symv_kernel_lower_double_buffered_diagonal_genericILi32ELi4E24rocblas_internal_val_ptrIfEPKPKfPKPfEvbiT1_lT2_lllSA_lllS9_lT3_lllii
; %bb.0:
	s_mov_b32 s18, s3
	s_load_dword s3, s[0:1], 0x0
	s_load_dwordx8 s[4:11], s[0:1], 0x8
	s_load_dwordx2 s[16:17], s[0:1], 0x28
	s_mov_b64 s[22:23], -1
                                        ; implicit-def: $sgpr26
	s_waitcnt lgkmcnt(0)
	s_bitcmp1_b32 s3, 0
	s_cselect_b64 s[12:13], -1, 0
	s_xor_b64 s[20:21], s[12:13], -1
	s_and_b64 vcc, exec, s[20:21]
	s_cbranch_vccnz .LBB145_7
; %bb.1:
	s_load_dwordx4 s[12:15], s[0:1], 0x58
	s_andn2_b64 vcc, exec, s[22:23]
	s_cbranch_vccz .LBB145_8
.LBB145_2:
	s_andn2_b64 vcc, exec, s[20:21]
	s_cbranch_vccnz .LBB145_4
.LBB145_3:
	s_waitcnt lgkmcnt(0)
	s_mul_i32 s3, s18, s15
	s_mul_hi_u32 s4, s18, s14
	s_add_i32 s5, s4, s3
	s_mul_i32 s4, s18, s14
	s_lshl_b64 s[4:5], s[4:5], 2
	s_add_u32 s4, s12, s4
	s_addc_u32 s5, s13, s5
	s_load_dword s12, s[4:5], 0x0
.LBB145_4:
	s_waitcnt lgkmcnt(0)
	v_cmp_eq_f32_e64 s[20:21], s26, 0
	v_cmp_eq_f32_e64 s[4:5], s12, 1.0
	s_and_b64 s[4:5], s[20:21], s[4:5]
	s_and_b64 vcc, exec, s[4:5]
	s_cbranch_vccnz .LBB145_81
; %bb.5:
	v_cmp_neq_f32_e64 s[22:23], s26, 0
	s_mov_b32 s19, 0
	s_and_b64 vcc, exec, s[22:23]
	s_cbranch_vccnz .LBB145_9
; %bb.6:
	s_mov_b64 s[14:15], 0
	s_load_dwordx2 s[24:25], s[0:1], 0x68
	s_cbranch_execz .LBB145_10
	s_branch .LBB145_11
.LBB145_7:
	s_mul_i32 s3, s18, s7
	s_mul_hi_u32 s7, s18, s6
	s_add_i32 s7, s7, s3
	s_mul_i32 s6, s18, s6
	s_lshl_b64 s[6:7], s[6:7], 2
	s_add_u32 s6, s4, s6
	s_addc_u32 s7, s5, s7
	s_load_dword s26, s[6:7], 0x0
	s_load_dwordx4 s[12:15], s[0:1], 0x58
	s_cbranch_execnz .LBB145_2
.LBB145_8:
	s_waitcnt lgkmcnt(0)
	s_mov_b32 s26, s4
	s_andn2_b64 vcc, exec, s[20:21]
	s_cbranch_vccz .LBB145_3
	s_branch .LBB145_4
.LBB145_9:
                                        ; implicit-def: $sgpr14_sgpr15
	s_load_dwordx2 s[24:25], s[0:1], 0x68
.LBB145_10:
	s_lshl_b64 s[4:5], s[18:19], 3
	s_add_u32 s4, s8, s4
	s_addc_u32 s5, s9, s5
	s_load_dwordx2 s[4:5], s[4:5], 0x0
	s_lshl_b64 s[6:7], s[10:11], 2
	s_waitcnt lgkmcnt(0)
	s_add_u32 s14, s4, s6
	s_addc_u32 s15, s5, s7
.LBB145_11:
	s_load_dwordx4 s[4:7], s[0:1], 0x38
	s_load_dwordx2 s[10:11], s[0:1], 0x48
	s_andn2_b64 vcc, exec, s[22:23]
	s_cbranch_vccnz .LBB145_13
; %bb.12:
	s_lshl_b64 s[8:9], s[18:19], 3
	s_waitcnt lgkmcnt(0)
	s_add_u32 s4, s4, s8
	s_addc_u32 s5, s5, s9
	s_load_dwordx2 s[4:5], s[4:5], 0x0
	s_lshl_b64 s[6:7], s[6:7], 2
	s_waitcnt lgkmcnt(0)
	s_add_u32 s22, s4, s6
	s_addc_u32 s23, s5, s7
	s_branch .LBB145_14
.LBB145_13:
	s_mov_b64 s[22:23], 0
.LBB145_14:
	s_waitcnt lgkmcnt(0)
	s_lshl_b64 s[4:5], s[18:19], 3
	s_add_u32 s8, s24, s4
	s_addc_u32 s9, s25, s5
	s_load_dwordx4 s[4:7], s[0:1], 0x70
	s_load_dwordx2 s[18:19], s[8:9], 0x0
	s_load_dword s13, s[0:1], 0x88
	v_bfe_u32 v7, v0, 10, 10
	v_and_b32_e32 v6, 0x3ff, v0
	s_waitcnt lgkmcnt(0)
	s_lshl_b64 s[4:5], s[4:5], 2
	s_add_u32 s3, s18, s4
	s_addc_u32 s9, s19, s5
	s_lshl_b32 s24, s2, 5
	s_ashr_i32 s25, s24, 31
	s_mul_i32 s4, s24, s7
	s_mul_hi_u32 s5, s24, s6
	s_add_i32 s4, s5, s4
	s_mul_i32 s5, s25, s6
	s_add_i32 s5, s4, s5
	s_mul_i32 s4, s24, s6
	s_lshl_b64 s[4:5], s[4:5], 2
	s_add_u32 s8, s3, s4
	s_addc_u32 s9, s9, s5
	s_mov_b64 s[18:19], -1
	s_andn2_b64 vcc, exec, s[20:21]
	v_cmp_eq_u32_e64 s[4:5], 0, v7
	s_cbranch_vccnz .LBB145_21
; %bb.15:
	s_and_saveexec_b64 s[18:19], s[4:5]
	s_cbranch_execz .LBB145_20
; %bb.16:
	v_cmp_gt_i32_e64 s[4:5], s13, v6
	v_cmp_le_i32_e32 vcc, s13, v6
	s_and_saveexec_b64 s[20:21], vcc
	s_cbranch_execz .LBB145_18
; %bb.17:
	s_load_dword s3, s[0:1], 0x90
	s_waitcnt lgkmcnt(0)
	s_add_i32 s3, s3, -1
	s_cmp_lt_u32 s2, s3
	s_cselect_b64 s[28:29], -1, 0
	s_andn2_b64 s[4:5], s[4:5], exec
	s_and_b64 s[28:29], s[28:29], exec
	s_or_b64 s[4:5], s[4:5], s[28:29]
.LBB145_18:
	s_or_b64 exec, exec, s[20:21]
	s_and_b64 exec, exec, s[4:5]
	s_cbranch_execz .LBB145_20
; %bb.19:
	v_mad_u64_u32 v[0:1], s[4:5], v6, s6, 0
	v_mov_b32_e32 v2, v1
	v_mad_u64_u32 v[2:3], s[4:5], v6, s7, v[2:3]
	v_mov_b32_e32 v1, v2
	v_lshl_add_u64 v[0:1], v[0:1], 2, s[8:9]
	global_load_dword v2, v[0:1], off
	s_waitcnt vmcnt(0)
	v_mul_f32_e32 v2, s12, v2
	global_store_dword v[0:1], v2, off
.LBB145_20:
	s_or_b64 exec, exec, s[18:19]
	s_mov_b64 s[18:19], 0
.LBB145_21:
	s_andn2_b64 vcc, exec, s[18:19]
	s_cbranch_vccnz .LBB145_81
; %bb.22:
	s_mul_i32 s3, s24, s11
	s_mul_hi_u32 s4, s24, s10
	s_add_i32 s3, s4, s3
	s_mul_i32 s4, s25, s10
	s_add_i32 s5, s3, s4
	s_load_dword s3, s[0:1], 0x90
	s_mul_i32 s4, s24, s10
	s_lshl_b64 s[0:1], s[4:5], 2
	s_add_u32 s4, s22, s0
	s_addc_u32 s5, s23, s1
	s_waitcnt lgkmcnt(0)
	s_add_i32 s3, s3, -1
	s_cmp_lg_u32 s2, s3
	s_cselect_b64 s[2:3], -1, 0
	v_mov_b32_e32 v8, 0
	v_cmp_eq_u32_e64 s[0:1], 0, v7
	s_and_b64 vcc, exec, s[2:3]
	s_cbranch_vccz .LBB145_27
; %bb.23:
	s_and_saveexec_b64 s[18:19], s[0:1]
	s_cbranch_execz .LBB145_26
; %bb.24:
	v_mad_u64_u32 v[0:1], s[20:21], v6, s10, 0
	v_mov_b32_e32 v2, v1
	v_mad_u64_u32 v[2:3], s[20:21], v6, s11, v[2:3]
	v_mov_b32_e32 v1, v2
	v_lshl_add_u64 v[0:1], v[0:1], 2, s[4:5]
	flat_load_dword v0, v[0:1]
	v_cmp_eq_f32_e64 s[20:21], s12, 0
	v_lshlrev_b32_e32 v1, 2, v6
	v_mov_b32_e32 v8, 0
	s_and_b64 vcc, exec, s[20:21]
	s_waitcnt vmcnt(0) lgkmcnt(0)
	ds_write_b32 v1, v0 offset:5120
	s_cbranch_vccnz .LBB145_26
; %bb.25:
	v_mad_u64_u32 v[0:1], s[20:21], v6, s6, 0
	v_mov_b32_e32 v2, v1
	v_mad_u64_u32 v[2:3], s[20:21], v6, s7, v[2:3]
	v_mov_b32_e32 v1, v2
	v_lshl_add_u64 v[0:1], v[0:1], 2, s[8:9]
	global_load_dword v0, v[0:1], off
	s_waitcnt vmcnt(0)
	v_mul_f32_e32 v8, s12, v0
.LBB145_26:
	s_or_b64 exec, exec, s[18:19]
	s_cbranch_execz .LBB145_28
	s_branch .LBB145_36
.LBB145_27:
                                        ; implicit-def: $vgpr8
.LBB145_28:
	v_mov_b32_e32 v8, 0
	s_and_saveexec_b64 s[18:19], s[0:1]
	s_cbranch_execz .LBB145_35
; %bb.29:
	v_cmp_le_i32_e32 vcc, s13, v6
                                        ; implicit-def: $sgpr22
	s_and_saveexec_b64 s[20:21], vcc
	s_xor_b64 s[20:21], exec, s[20:21]
	s_cbranch_execz .LBB145_31
; %bb.30:
	v_lshlrev_b32_e32 v0, 2, v6
	v_mov_b32_e32 v1, 0
	ds_write_b32 v0, v1 offset:5120
	s_mov_b32 s22, 0
.LBB145_31:
	s_or_saveexec_b64 s[20:21], s[20:21]
	v_mov_b32_e32 v8, s22
	s_xor_b64 exec, exec, s[20:21]
	s_cbranch_execz .LBB145_34
; %bb.32:
	v_mad_u64_u32 v[0:1], s[22:23], v6, s10, 0
	v_mov_b32_e32 v2, v1
	v_mad_u64_u32 v[2:3], s[10:11], v6, s11, v[2:3]
	v_mov_b32_e32 v1, v2
	v_lshl_add_u64 v[0:1], v[0:1], 2, s[4:5]
	flat_load_dword v0, v[0:1]
	v_cmp_eq_f32_e64 s[4:5], s12, 0
	v_lshlrev_b32_e32 v1, 2, v6
	v_mov_b32_e32 v8, 0
	s_and_b64 vcc, exec, s[4:5]
	s_waitcnt vmcnt(0) lgkmcnt(0)
	ds_write_b32 v1, v0 offset:5120
	s_cbranch_vccnz .LBB145_34
; %bb.33:
	v_mad_u64_u32 v[0:1], s[4:5], v6, s6, 0
	v_mov_b32_e32 v2, v1
	v_mad_u64_u32 v[2:3], s[4:5], v6, s7, v[2:3]
	v_mov_b32_e32 v1, v2
	v_lshl_add_u64 v[0:1], v[0:1], 2, s[8:9]
	global_load_dword v0, v[0:1], off
	s_waitcnt vmcnt(0)
	v_mul_f32_e32 v8, s12, v0
.LBB145_34:
	s_or_b64 exec, exec, s[20:21]
.LBB145_35:
	s_or_b64 exec, exec, s[18:19]
.LBB145_36:
	s_add_u32 s4, s16, 1
	s_addc_u32 s5, s17, 0
	s_mul_i32 s10, s4, s25
	s_mul_hi_u32 s11, s4, s24
	s_add_i32 s10, s11, s10
	s_mul_i32 s5, s5, s24
	s_add_i32 s5, s10, s5
	s_mul_i32 s4, s4, s24
	v_mad_u64_u32 v[2:3], s[18:19], v7, s16, 0
	s_lshl_b64 s[10:11], s[4:5], 2
	v_mov_b32_e32 v1, 0
	v_mov_b32_e32 v0, v3
	s_add_u32 s4, s14, s10
	v_mad_u64_u32 v[4:5], s[18:19], v7, s17, v[0:1]
	s_addc_u32 s5, s15, s11
	v_mov_b32_e32 v3, v4
	v_lshl_add_u64 v[2:3], v[2:3], 2, s[4:5]
	v_lshlrev_b32_e32 v0, 2, v6
	v_lshl_add_u32 v10, v7, 5, v6
	v_lshl_add_u64 v[2:3], v[2:3], 0, v[0:1]
	s_andn2_b64 vcc, exec, s[2:3]
	v_lshlrev_b32_e32 v9, 2, v10
	s_cbranch_vccnz .LBB145_38
; %bb.37:
	flat_load_dword v1, v[2:3]
	s_lshl_b64 s[4:5], s[16:17], 4
	v_lshl_add_u64 v[4:5], v[2:3], 0, s[4:5]
	s_mul_i32 s18, s17, 0x50
	s_mul_i32 s20, s17, 0x70
	s_waitcnt vmcnt(0) lgkmcnt(0)
	ds_write_b32 v9, v1
	flat_load_dword v1, v[4:5]
	v_lshl_add_u64 v[4:5], v[4:5], 0, s[4:5]
	v_mad_u64_u32 v[12:13], s[4:5], s16, 48, v[2:3]
	v_mov_b32_e32 v14, v13
	v_mad_u64_u32 v[14:15], s[4:5], s17, 48, v[14:15]
	v_mov_b32_e32 v13, v14
	s_lshl_b64 s[4:5], s[16:17], 5
	s_waitcnt vmcnt(0) lgkmcnt(0)
	ds_write_b32 v9, v1 offset:512
	flat_load_dword v1, v[4:5]
	v_lshl_add_u64 v[4:5], v[4:5], 0, s[4:5]
	s_waitcnt vmcnt(0) lgkmcnt(0)
	ds_write_b32 v9, v1 offset:1024
	flat_load_dword v1, v[12:13]
	s_waitcnt vmcnt(0) lgkmcnt(0)
	ds_write_b32 v9, v1 offset:1536
	flat_load_dword v1, v[4:5]
	v_mov_b32_e32 v4, 0x50
	v_mad_u64_u32 v[4:5], s[4:5], s16, v4, v[2:3]
	v_add_u32_e32 v5, s18, v5
	s_mul_i32 s18, s17, 0x60
	s_waitcnt vmcnt(0) lgkmcnt(0)
	ds_write_b32 v9, v1 offset:2048
	flat_load_dword v1, v[4:5]
	v_mov_b32_e32 v4, 0x60
	v_mad_u64_u32 v[4:5], s[4:5], s16, v4, v[2:3]
	v_add_u32_e32 v5, s18, v5
	s_waitcnt vmcnt(0) lgkmcnt(0)
	ds_write_b32 v9, v1 offset:2560
	flat_load_dword v11, v[4:5]
	v_mov_b32_e32 v4, 0x70
	v_mad_u64_u32 v[4:5], s[4:5], s16, v4, v[2:3]
	v_add_u32_e32 v1, 0x380, v10
	v_add_u32_e32 v5, s20, v5
	s_mov_b64 s[4:5], -1
	s_waitcnt vmcnt(0) lgkmcnt(0)
	ds_write_b32 v9, v11 offset:3072
	s_cbranch_execz .LBB145_39
	s_branch .LBB145_57
.LBB145_38:
	s_mov_b64 s[4:5], 0
                                        ; implicit-def: $vgpr4_vgpr5
                                        ; implicit-def: $vgpr1
.LBB145_39:
	v_mov_b32_e32 v1, 0
	v_cmp_gt_i32_e32 vcc, s13, v6
	ds_write2st64_b32 v9, v1, v1 offset1:2
	ds_write2st64_b32 v9, v1, v1 offset0:4 offset1:6
	ds_write2st64_b32 v9, v1, v1 offset0:8 offset1:10
	;; [unrolled: 1-line block ×3, first 2 shown]
                                        ; implicit-def: $vgpr4_vgpr5
                                        ; implicit-def: $vgpr1
	s_and_saveexec_b64 s[18:19], vcc
	s_cbranch_execz .LBB145_56
; %bb.40:
	s_cmp_lt_u32 s13, 4
	s_mov_b32 s24, 0
	s_cbranch_scc1 .LBB145_53
; %bb.41:
	s_lshr_b32 s24, s13, 2
	s_cmp_lt_u32 s13, 8
	s_cbranch_scc1 .LBB145_45
; %bb.42:
	s_add_i32 s22, s24, -2
	s_cmp_lt_u32 s22, 2
	s_cbranch_scc1 .LBB145_46
; %bb.43:
	s_lshr_b32 s21, s22, 1
	s_add_i32 s21, s21, 1
	s_mov_b32 s20, 1
	s_and_b32 s23, s21, -2
	s_mov_b32 s21, 0
.LBB145_44:                             ; =>This Inner Loop Header: Depth=1
	s_lshl_b32 s25, s21, 2
	s_lshl_b32 s27, s20, 2
	s_mul_i32 s29, s17, s27
	s_mul_hi_u32 s31, s16, s27
	s_mul_i32 s28, s16, s27
	s_mul_i32 s27, s17, s25
	s_mul_hi_u32 s33, s16, s25
	s_mul_i32 s30, s16, s25
	s_add_i32 s29, s31, s29
	s_add_i32 s31, s33, s27
	v_lshl_add_u64 v[4:5], s[30:31], 2, v[2:3]
	v_lshl_add_u64 v[12:13], s[28:29], 2, v[2:3]
	flat_load_dword v1, v[4:5]
	flat_load_dword v11, v[12:13]
	s_lshl_b32 s25, s20, 7
	s_lshl_b32 s27, s21, 7
	s_add_i32 s33, s20, 2
	s_add_i32 s34, s21, 2
	v_add_lshl_u32 v14, s27, v10, 2
	v_add_lshl_u32 v15, s25, v10, 2
	s_lshl_b32 s25, s34, 2
	s_lshl_b32 s27, s33, 2
	s_mul_i32 s29, s17, s27
	s_mul_hi_u32 s31, s16, s27
	s_mul_i32 s28, s16, s27
	s_mul_i32 s27, s17, s25
	s_mul_hi_u32 s35, s16, s25
	s_mul_i32 s30, s16, s25
	s_add_i32 s29, s31, s29
	s_add_i32 s31, s35, s27
	v_lshl_add_u64 v[4:5], s[30:31], 2, v[2:3]
	v_lshl_add_u64 v[12:13], s[28:29], 2, v[2:3]
	s_add_i32 s21, s21, 4
	s_add_i32 s20, s20, 4
	s_add_i32 s23, s23, -2
	s_lshl_b32 s25, s33, 7
	s_lshl_b32 s27, s34, 7
	s_cmp_lg_u32 s23, 0
	s_waitcnt vmcnt(0) lgkmcnt(0)
	ds_write_b32 v14, v1
	ds_write_b32 v15, v11
	flat_load_dword v1, v[4:5]
	flat_load_dword v11, v[12:13]
	v_add_lshl_u32 v4, s27, v10, 2
	v_add_lshl_u32 v5, s25, v10, 2
	s_waitcnt vmcnt(0) lgkmcnt(0)
	ds_write_b32 v4, v1
	ds_write_b32 v5, v11
	s_cbranch_scc1 .LBB145_44
	s_branch .LBB145_47
.LBB145_45:
	s_mov_b64 s[22:23], -1
	s_mov_b32 s20, 0
	s_branch .LBB145_50
.LBB145_46:
	s_mov_b32 s21, 0
	s_mov_b32 s20, 1
.LBB145_47:
	s_bitcmp1_b32 s22, 1
	s_cbranch_scc1 .LBB145_49
; %bb.48:
	s_lshl_b32 s22, s20, 2
	s_lshl_b32 s25, s21, 2
	s_mul_i32 s23, s17, s22
	s_mul_hi_u32 s27, s16, s22
	s_add_i32 s23, s27, s23
	s_mul_i32 s27, s17, s25
	s_mul_hi_u32 s28, s16, s25
	s_add_i32 s29, s28, s27
	s_mul_i32 s28, s16, s25
	s_mul_i32 s22, s16, s22
	v_lshl_add_u64 v[4:5], s[28:29], 2, v[2:3]
	v_lshl_add_u64 v[12:13], s[22:23], 2, v[2:3]
	flat_load_dword v1, v[4:5]
	flat_load_dword v11, v[12:13]
	s_lshl_b32 s21, s21, 7
	s_lshl_b32 s20, s20, 7
	v_add_lshl_u32 v4, s21, v10, 2
	v_add_lshl_u32 v5, s20, v10, 2
	s_waitcnt vmcnt(0) lgkmcnt(0)
	ds_write_b32 v4, v1
	ds_write_b32 v5, v11
.LBB145_49:
	s_and_b32 s20, s24, 0x3ffffffe
	s_cmp_lg_u32 s24, s20
	s_cselect_b64 s[22:23], -1, 0
.LBB145_50:
	s_and_b64 vcc, exec, s[22:23]
	s_cbranch_vccz .LBB145_53
; %bb.51:
	s_lshl_b32 s21, s20, 9
	v_lshlrev_b32_e32 v1, 7, v7
	v_add3_u32 v11, s21, v1, v0
	s_mov_b32 s21, 0
	v_lshlrev_b32_e32 v4, 2, v7
	v_mov_b32_e32 v5, 0
	v_lshl_add_u64 v[12:13], s[20:21], 4, v[4:5]
	v_mov_b64_e32 v[14:15], s[10:11]
	v_mul_lo_u32 v1, s16, v13
	v_mul_lo_u32 v4, s17, v12
	v_mad_u64_u32 v[12:13], s[10:11], s16, v12, v[14:15]
	v_add3_u32 v13, v4, v13, v1
	v_mov_b32_e32 v1, v5
	v_lshl_add_u64 v[4:5], v[12:13], 0, v[0:1]
	s_sub_i32 s22, s24, s20
	v_lshl_add_u64 v[4:5], s[14:15], 0, v[4:5]
	s_lshl_b64 s[10:11], s[16:17], 4
.LBB145_52:                             ; =>This Inner Loop Header: Depth=1
	flat_load_dword v1, v[4:5]
	s_add_i32 s22, s22, -1
	v_lshl_add_u64 v[4:5], v[4:5], 0, s[10:11]
	s_cmp_lg_u32 s22, 0
	s_waitcnt vmcnt(0) lgkmcnt(0)
	ds_write_b32 v11, v1
	v_add_u32_e32 v11, 0x200, v11
	s_cbranch_scc1 .LBB145_52
.LBB145_53:
	s_and_b32 s10, s13, 3
	v_cmp_gt_u32_e32 vcc, s10, v7
	s_mov_b64 s[14:15], s[4:5]
                                        ; implicit-def: $vgpr4_vgpr5
                                        ; implicit-def: $vgpr1
	s_and_saveexec_b64 s[10:11], vcc
; %bb.54:
	s_lshl_b32 s14, s24, 2
	s_mul_i32 s15, s14, s17
	s_mul_hi_u32 s17, s14, s16
	s_add_i32 s15, s17, s15
	s_mul_i32 s14, s14, s16
	v_lshl_add_u64 v[4:5], s[14:15], 2, v[2:3]
	v_lshl_add_u32 v1, s24, 7, v10
	s_or_b64 s[14:15], s[4:5], exec
; %bb.55:
	s_or_b64 exec, exec, s[10:11]
	s_andn2_b64 s[4:5], s[4:5], exec
	s_and_b64 s[10:11], s[14:15], exec
	s_or_b64 s[4:5], s[4:5], s[10:11]
.LBB145_56:
	s_or_b64 exec, exec, s[18:19]
.LBB145_57:
	s_and_saveexec_b64 s[10:11], s[4:5]
	s_cbranch_execz .LBB145_59
; %bb.58:
	flat_load_dword v2, v[4:5]
	v_lshlrev_b32_e32 v1, 2, v1
	s_waitcnt vmcnt(0) lgkmcnt(0)
	ds_write_b32 v1, v2
.LBB145_59:
	s_or_b64 exec, exec, s[10:11]
	v_cmp_ge_u32_e32 vcc, v6, v7
	v_lshlrev_b32_e32 v2, 5, v6
	s_waitcnt lgkmcnt(0)
	s_barrier
	s_and_saveexec_b64 s[4:5], vcc
	s_xor_b64 s[4:5], exec, s[4:5]
; %bb.60:
	v_lshlrev_b32_e32 v2, 5, v6
; %bb.61:
	s_andn2_saveexec_b64 s[4:5], s[4:5]
	s_cbranch_execz .LBB145_63
; %bb.62:
	v_add_lshl_u32 v1, v2, v7, 2
	ds_read_b32 v1, v1
	s_waitcnt lgkmcnt(0)
	ds_write_b32 v9, v1
.LBB145_63:
	s_or_b64 exec, exec, s[4:5]
	v_sub_u32_e32 v1, v6, v7
	v_sub_u32_e32 v3, 0, v1
	v_max_i32_e32 v4, v1, v3
	v_cmp_gt_u32_e32 vcc, 4, v4
	v_lshlrev_b32_e32 v1, 5, v7
	v_add_lshl_u32 v3, v2, v7, 2
	s_and_saveexec_b64 s[4:5], vcc
	s_cbranch_execnz .LBB145_82
; %bb.64:
	s_or_b64 exec, exec, s[4:5]
	v_cmp_gt_u32_e32 vcc, 8, v4
	s_and_saveexec_b64 s[4:5], vcc
	s_cbranch_execnz .LBB145_83
.LBB145_65:
	s_or_b64 exec, exec, s[4:5]
	v_cmp_gt_u32_e32 vcc, 12, v4
	s_and_saveexec_b64 s[4:5], vcc
	s_cbranch_execz .LBB145_67
.LBB145_66:
	ds_read_b32 v2, v3 offset:48
	v_add_lshl_u32 v5, v1, v6, 2
	s_waitcnt lgkmcnt(0)
	ds_write_b32 v5, v2 offset:1536
.LBB145_67:
	s_or_b64 exec, exec, s[4:5]
	v_add_u32_e32 v2, 16, v7
	v_cmp_gt_u32_e32 vcc, 16, v4
	v_lshlrev_b32_e32 v2, 5, v2
	s_and_saveexec_b64 s[4:5], vcc
	s_cbranch_execnz .LBB145_84
; %bb.68:
	s_or_b64 exec, exec, s[4:5]
	v_cmp_gt_u32_e32 vcc, 20, v4
	s_and_saveexec_b64 s[4:5], vcc
	s_cbranch_execnz .LBB145_85
.LBB145_69:
	s_or_b64 exec, exec, s[4:5]
	v_cmp_gt_u32_e32 vcc, 24, v4
	s_and_saveexec_b64 s[4:5], vcc
	s_cbranch_execz .LBB145_71
.LBB145_70:
	ds_read_b32 v5, v3 offset:96
	s_waitcnt lgkmcnt(0)
	ds_write_b32 v9, v5 offset:3072
.LBB145_71:
	s_or_b64 exec, exec, s[4:5]
	v_cmp_lt_u32_e32 vcc, 27, v4
	v_add_u32_e32 v4, 28, v7
                                        ; implicit-def: $vgpr5
	s_and_saveexec_b64 s[4:5], vcc
	s_xor_b64 s[4:5], exec, s[4:5]
; %bb.72:
	v_add_u32_e32 v4, 28, v7
	v_lshl_add_u32 v5, v4, 5, v6
                                        ; implicit-def: $vgpr3
; %bb.73:
	s_andn2_saveexec_b64 s[4:5], s[4:5]
	s_cbranch_execz .LBB145_75
; %bb.74:
	ds_read_b32 v3, v3 offset:112
	v_lshl_add_u32 v5, v4, 5, v6
	v_lshlrev_b32_e32 v10, 2, v5
	s_waitcnt lgkmcnt(0)
	ds_write_b32 v10, v3
.LBB145_75:
	s_or_b64 exec, exec, s[4:5]
	v_lshlrev_b32_e32 v7, 2, v7
	s_waitcnt lgkmcnt(0)
	s_barrier
	ds_read_b32 v3, v9
	v_add_u32_e32 v16, 0x1400, v7
	v_add_lshl_u32 v1, v1, v6, 2
	ds_read2_b32 v[10:11], v16 offset1:4
	ds_read2_b32 v[12:13], v16 offset0:8 offset1:12
	ds_read2st64_b32 v[14:15], v1 offset0:2 offset1:4
	v_lshlrev_b32_e32 v5, 2, v5
	v_lshlrev_b32_e32 v4, 2, v4
	ds_read_b32 v17, v5
	ds_read_b32 v18, v4 offset:5120
	ds_read2st64_b32 v[4:5], v1 offset0:6 offset1:10
	s_waitcnt lgkmcnt(5)
	v_fma_f32 v10, v3, v10, 0
	s_waitcnt lgkmcnt(3)
	v_fmac_f32_e32 v10, v14, v11
	v_add_lshl_u32 v11, v2, v6, 2
	ds_read2_b32 v[2:3], v16 offset0:16 offset1:20
	ds_read_b32 v11, v11
	ds_read_b32 v1, v1 offset:3072
	ds_read_b32 v7, v7 offset:5216
	v_fmac_f32_e32 v10, v15, v12
	s_waitcnt lgkmcnt(4)
	v_fmac_f32_e32 v10, v4, v13
	s_waitcnt lgkmcnt(2)
	v_fmac_f32_e32 v10, v11, v2
	v_fmac_f32_e32 v10, v5, v3
	s_waitcnt lgkmcnt(0)
	v_fmac_f32_e32 v10, v1, v7
	v_fmac_f32_e32 v10, v17, v18
	ds_write_b32 v9, v10 offset:4096
	s_waitcnt lgkmcnt(0)
	s_barrier
	s_and_saveexec_b64 s[4:5], s[0:1]
	s_cbranch_execz .LBB145_81
; %bb.76:
	v_add_u32_e32 v2, 0x1000, v0
	ds_read2_b32 v[0:1], v2 offset1:32
	ds_read2_b32 v[2:3], v2 offset0:64 offset1:96
	v_cmp_neq_f32_e64 vcc, s12, 0
	s_mov_b64 s[0:1], -1
	s_waitcnt lgkmcnt(1)
	v_add_f32_e32 v0, 0, v0
	v_add_f32_e32 v0, v0, v1
	s_waitcnt lgkmcnt(0)
	v_add_f32_e32 v0, v0, v2
	v_add_f32_e32 v0, v0, v3
	v_mul_f32_e32 v1, s26, v0
	v_fmac_f32_e32 v8, s26, v0
	v_cndmask_b32_e32 v0, v1, v8, vcc
	s_and_b64 vcc, exec, s[2:3]
	s_cbranch_vccz .LBB145_78
; %bb.77:
	v_mad_u64_u32 v[2:3], s[0:1], v6, s6, 0
	v_mov_b32_e32 v4, v3
	v_mad_u64_u32 v[4:5], s[0:1], v6, s7, v[4:5]
	v_mov_b32_e32 v3, v4
	v_lshl_add_u64 v[2:3], v[2:3], 2, s[8:9]
	global_store_dword v[2:3], v0, off
	s_mov_b64 s[0:1], 0
.LBB145_78:
	s_andn2_b64 vcc, exec, s[0:1]
	s_cbranch_vccnz .LBB145_81
; %bb.79:
	v_cmp_gt_i32_e32 vcc, s13, v6
	s_and_b64 exec, exec, vcc
	s_cbranch_execz .LBB145_81
; %bb.80:
	v_mad_u64_u32 v[2:3], s[0:1], v6, s6, 0
	v_mov_b32_e32 v4, v3
	v_mad_u64_u32 v[4:5], s[0:1], v6, s7, v[4:5]
	v_mov_b32_e32 v3, v4
	v_lshl_add_u64 v[2:3], v[2:3], 2, s[8:9]
	global_store_dword v[2:3], v0, off
.LBB145_81:
	s_endpgm
.LBB145_82:
	ds_read_b32 v2, v3 offset:16
	v_add_lshl_u32 v5, v1, v6, 2
	s_waitcnt lgkmcnt(0)
	ds_write_b32 v5, v2 offset:512
	s_or_b64 exec, exec, s[4:5]
	v_cmp_gt_u32_e32 vcc, 8, v4
	s_and_saveexec_b64 s[4:5], vcc
	s_cbranch_execz .LBB145_65
.LBB145_83:
	ds_read_b32 v2, v3 offset:32
	v_add_lshl_u32 v5, v1, v6, 2
	s_waitcnt lgkmcnt(0)
	ds_write_b32 v5, v2 offset:1024
	s_or_b64 exec, exec, s[4:5]
	v_cmp_gt_u32_e32 vcc, 12, v4
	s_and_saveexec_b64 s[4:5], vcc
	s_cbranch_execnz .LBB145_66
	s_branch .LBB145_67
.LBB145_84:
	ds_read_b32 v5, v3 offset:64
	v_add_lshl_u32 v10, v2, v6, 2
	s_waitcnt lgkmcnt(0)
	ds_write_b32 v10, v5
	s_or_b64 exec, exec, s[4:5]
	v_cmp_gt_u32_e32 vcc, 20, v4
	s_and_saveexec_b64 s[4:5], vcc
	s_cbranch_execz .LBB145_69
.LBB145_85:
	ds_read_b32 v5, v3 offset:80
	s_waitcnt lgkmcnt(0)
	ds_write_b32 v9, v5 offset:2560
	s_or_b64 exec, exec, s[4:5]
	v_cmp_gt_u32_e32 vcc, 24, v4
	s_and_saveexec_b64 s[4:5], vcc
	s_cbranch_execnz .LBB145_70
	s_branch .LBB145_71
	.section	.rodata,"a",@progbits
	.p2align	6, 0x0
	.amdhsa_kernel _ZL58rocblas_symv_kernel_lower_double_buffered_diagonal_genericILi32ELi4E24rocblas_internal_val_ptrIfEPKPKfPKPfEvbiT1_lT2_lllSA_lllS9_lT3_lllii
		.amdhsa_group_segment_fixed_size 5248
		.amdhsa_private_segment_fixed_size 0
		.amdhsa_kernarg_size 400
		.amdhsa_user_sgpr_count 2
		.amdhsa_user_sgpr_dispatch_ptr 0
		.amdhsa_user_sgpr_queue_ptr 0
		.amdhsa_user_sgpr_kernarg_segment_ptr 1
		.amdhsa_user_sgpr_dispatch_id 0
		.amdhsa_user_sgpr_kernarg_preload_length 0
		.amdhsa_user_sgpr_kernarg_preload_offset 0
		.amdhsa_user_sgpr_private_segment_size 0
		.amdhsa_uses_dynamic_stack 0
		.amdhsa_enable_private_segment 0
		.amdhsa_system_sgpr_workgroup_id_x 1
		.amdhsa_system_sgpr_workgroup_id_y 0
		.amdhsa_system_sgpr_workgroup_id_z 1
		.amdhsa_system_sgpr_workgroup_info 0
		.amdhsa_system_vgpr_workitem_id 1
		.amdhsa_next_free_vgpr 19
		.amdhsa_next_free_sgpr 36
		.amdhsa_accum_offset 20
		.amdhsa_reserve_vcc 1
		.amdhsa_float_round_mode_32 0
		.amdhsa_float_round_mode_16_64 0
		.amdhsa_float_denorm_mode_32 3
		.amdhsa_float_denorm_mode_16_64 3
		.amdhsa_dx10_clamp 1
		.amdhsa_ieee_mode 1
		.amdhsa_fp16_overflow 0
		.amdhsa_tg_split 0
		.amdhsa_exception_fp_ieee_invalid_op 0
		.amdhsa_exception_fp_denorm_src 0
		.amdhsa_exception_fp_ieee_div_zero 0
		.amdhsa_exception_fp_ieee_overflow 0
		.amdhsa_exception_fp_ieee_underflow 0
		.amdhsa_exception_fp_ieee_inexact 0
		.amdhsa_exception_int_div_zero 0
	.end_amdhsa_kernel
	.section	.text._ZL58rocblas_symv_kernel_lower_double_buffered_diagonal_genericILi32ELi4E24rocblas_internal_val_ptrIfEPKPKfPKPfEvbiT1_lT2_lllSA_lllS9_lT3_lllii,"axG",@progbits,_ZL58rocblas_symv_kernel_lower_double_buffered_diagonal_genericILi32ELi4E24rocblas_internal_val_ptrIfEPKPKfPKPfEvbiT1_lT2_lllSA_lllS9_lT3_lllii,comdat
.Lfunc_end145:
	.size	_ZL58rocblas_symv_kernel_lower_double_buffered_diagonal_genericILi32ELi4E24rocblas_internal_val_ptrIfEPKPKfPKPfEvbiT1_lT2_lllSA_lllS9_lT3_lllii, .Lfunc_end145-_ZL58rocblas_symv_kernel_lower_double_buffered_diagonal_genericILi32ELi4E24rocblas_internal_val_ptrIfEPKPKfPKPfEvbiT1_lT2_lllSA_lllS9_lT3_lllii
                                        ; -- End function
	.section	.AMDGPU.csdata,"",@progbits
; Kernel info:
; codeLenInByte = 3184
; NumSgprs: 42
; NumVgprs: 19
; NumAgprs: 0
; TotalNumVgprs: 19
; ScratchSize: 0
; MemoryBound: 0
; FloatMode: 240
; IeeeMode: 1
; LDSByteSize: 5248 bytes/workgroup (compile time only)
; SGPRBlocks: 5
; VGPRBlocks: 2
; NumSGPRsForWavesPerEU: 42
; NumVGPRsForWavesPerEU: 19
; AccumOffset: 20
; Occupancy: 6
; WaveLimiterHint : 1
; COMPUTE_PGM_RSRC2:SCRATCH_EN: 0
; COMPUTE_PGM_RSRC2:USER_SGPR: 2
; COMPUTE_PGM_RSRC2:TRAP_HANDLER: 0
; COMPUTE_PGM_RSRC2:TGID_X_EN: 1
; COMPUTE_PGM_RSRC2:TGID_Y_EN: 0
; COMPUTE_PGM_RSRC2:TGID_Z_EN: 1
; COMPUTE_PGM_RSRC2:TIDIG_COMP_CNT: 1
; COMPUTE_PGM_RSRC3_GFX90A:ACCUM_OFFSET: 4
; COMPUTE_PGM_RSRC3_GFX90A:TG_SPLIT: 0
	.section	.text._ZL62rocblas_symv_kernel_lower_double_buffered_non_diagonal_genericILi32ELi4ELi4E24rocblas_internal_val_ptrIfEPKPKfPKPfEvbiT2_lT3_lllSA_lllT4_lllii,"axG",@progbits,_ZL62rocblas_symv_kernel_lower_double_buffered_non_diagonal_genericILi32ELi4ELi4E24rocblas_internal_val_ptrIfEPKPKfPKPfEvbiT2_lT3_lllSA_lllT4_lllii,comdat
	.globl	_ZL62rocblas_symv_kernel_lower_double_buffered_non_diagonal_genericILi32ELi4ELi4E24rocblas_internal_val_ptrIfEPKPKfPKPfEvbiT2_lT3_lllSA_lllT4_lllii ; -- Begin function _ZL62rocblas_symv_kernel_lower_double_buffered_non_diagonal_genericILi32ELi4ELi4E24rocblas_internal_val_ptrIfEPKPKfPKPfEvbiT2_lT3_lllSA_lllT4_lllii
	.p2align	8
	.type	_ZL62rocblas_symv_kernel_lower_double_buffered_non_diagonal_genericILi32ELi4ELi4E24rocblas_internal_val_ptrIfEPKPKfPKPfEvbiT2_lT3_lllSA_lllT4_lllii,@function
_ZL62rocblas_symv_kernel_lower_double_buffered_non_diagonal_genericILi32ELi4ELi4E24rocblas_internal_val_ptrIfEPKPKfPKPfEvbiT2_lT3_lllSA_lllT4_lllii: ; @_ZL62rocblas_symv_kernel_lower_double_buffered_non_diagonal_genericILi32ELi4ELi4E24rocblas_internal_val_ptrIfEPKPKfPKPfEvbiT2_lT3_lllSA_lllT4_lllii
; %bb.0:
	s_load_dword s5, s[0:1], 0x0
	s_load_dwordx8 s[8:15], s[0:1], 0x8
	s_load_dwordx2 s[6:7], s[0:1], 0x28
	s_waitcnt lgkmcnt(0)
	s_bitcmp0_b32 s5, 0
	s_cbranch_scc0 .LBB146_2
; %bb.1:
	s_mul_i32 s5, s4, s11
	s_mul_hi_u32 s11, s4, s10
	s_add_i32 s11, s11, s5
	s_mul_i32 s10, s4, s10
	s_lshl_b64 s[10:11], s[10:11], 2
	s_add_u32 s10, s8, s10
	s_addc_u32 s11, s9, s11
	s_load_dword s30, s[10:11], 0x0
	s_cbranch_execz .LBB146_3
	s_branch .LBB146_4
.LBB146_2:
                                        ; implicit-def: $sgpr30
.LBB146_3:
	s_waitcnt lgkmcnt(0)
	s_mov_b32 s30, s8
.LBB146_4:
	s_waitcnt lgkmcnt(0)
	v_cmp_eq_f32_e64 s[8:9], s30, 0
	s_and_b64 vcc, exec, s[8:9]
	s_cbranch_vccnz .LBB146_33
; %bb.5:
	s_load_dwordx2 s[8:9], s[0:1], 0x80
	s_waitcnt lgkmcnt(0)
	v_cvt_f32_u32_e32 v1, s9
	s_add_i32 s26, s8, -1
	s_cmp_eq_u32 s2, s26
	v_rcp_iflag_f32_e32 v1, v1
	s_nop 0
	v_mul_f32_e32 v1, 0x4f7ffffe, v1
	v_cvt_u32_f32_e32 v1, v1
	s_nop 0
	v_readfirstlane_b32 s5, v1
	s_cbranch_scc1 .LBB146_33
; %bb.6:
	s_not_b32 s16, s2
	s_add_i32 s26, s26, s16
	s_sub_i32 s16, 0, s9
	s_mul_i32 s16, s16, s5
	s_mul_hi_u32 s16, s5, s16
	s_add_i32 s5, s5, s16
	s_mul_hi_u32 s27, s26, s5
	s_load_dwordx4 s[20:23], s[0:1], 0x38
	s_load_dwordx2 s[16:17], s[0:1], 0x48
	s_mov_b32 s5, 0
	s_lshl_b64 s[4:5], s[4:5], 3
	s_add_u32 s12, s12, s4
	s_addc_u32 s13, s13, s5
	s_load_dwordx2 s[10:11], s[0:1], 0x58
	s_waitcnt lgkmcnt(0)
	s_add_u32 s18, s20, s4
	s_addc_u32 s19, s21, s5
	s_load_dwordx2 s[18:19], s[18:19], 0x0
	v_and_b32_e32 v34, 0x3ff, v0
	s_add_u32 s24, s10, s4
	s_addc_u32 s25, s11, s5
	s_lshl_b64 s[4:5], s[22:23], 2
	s_waitcnt lgkmcnt(0)
	s_add_u32 s18, s18, s4
	s_addc_u32 s19, s19, s5
	s_lshl_b32 s22, s2, 5
	s_ashr_i32 s23, s22, 31
	s_mul_i32 s4, s22, s17
	s_mul_hi_u32 s5, s22, s16
	s_add_i32 s4, s5, s4
	s_mul_i32 s5, s23, s16
	s_add_i32 s5, s4, s5
	s_mul_i32 s4, s22, s16
	s_lshl_b64 s[4:5], s[4:5], 2
	v_bfe_u32 v0, v0, 10, 10
	s_add_u32 s10, s18, s4
	s_addc_u32 s11, s19, s5
	v_cmp_eq_u32_e64 s[4:5], 0, v0
	s_and_saveexec_b64 s[20:21], s[4:5]
	s_cbranch_execz .LBB146_8
; %bb.7:
	v_mad_u64_u32 v[2:3], s[28:29], v34, s16, 0
	v_mov_b32_e32 v4, v3
	v_mad_u64_u32 v[4:5], s[28:29], v34, s17, v[4:5]
	v_mov_b32_e32 v3, v4
	v_lshl_add_u64 v[2:3], v[2:3], 2, s[10:11]
	global_load_dword v1, v[2:3], off
	v_lshlrev_b32_e32 v2, 2, v34
	s_waitcnt vmcnt(0)
	ds_write_b32 v2, v1 offset:3072
.LBB146_8:
	s_or_b64 exec, exec, s[20:21]
	s_mul_i32 s20, s27, s9
	s_sub_i32 s20, s26, s20
	s_add_i32 s21, s27, 1
	s_sub_i32 s28, s20, s9
	s_cmp_ge_u32 s20, s9
	s_cselect_b32 s21, s21, s27
	s_cselect_b32 s20, s28, s20
	s_add_i32 s27, s21, 1
	s_cmp_ge_u32 s20, s9
	s_cselect_b32 s27, s27, s21
	s_add_i32 s28, s9, -1
	s_cmp_eq_u32 s3, s28
	s_cselect_b64 s[20:21], -1, 0
	s_cmp_lg_u32 s3, s28
	s_mov_b32 s31, s27
	s_cbranch_scc1 .LBB146_10
; %bb.9:
	s_mul_i32 s9, s27, s9
	s_sub_i32 s9, s26, s9
	s_add_i32 s31, s9, s27
.LBB146_10:
	s_cmp_lg_u32 s3, s28
	s_cselect_b64 s[28:29], -1, 0
	s_cmp_eq_u32 s31, 0
	s_cselect_b64 s[34:35], -1, 0
	s_and_b64 s[28:29], s[28:29], s[34:35]
	s_and_b64 vcc, exec, s[28:29]
	s_cbranch_vccnz .LBB146_33
; %bb.11:
	s_load_dwordx2 s[34:35], s[12:13], 0x0
	s_load_dwordx2 s[28:29], s[24:25], 0x0
	s_mul_i32 s3, s3, s27
	s_lshl_b32 s26, s3, 5
	s_ashr_i32 s27, s26, 31
	s_lshl_b64 s[12:13], s[14:15], 2
	s_waitcnt lgkmcnt(0)
	s_add_u32 s3, s34, s12
	s_addc_u32 s9, s35, s13
	s_add_u32 s12, s6, 1
	s_addc_u32 s13, s7, 0
	s_mul_i32 s14, s12, s23
	s_mul_hi_u32 s15, s12, s22
	s_add_i32 s14, s15, s14
	s_mul_i32 s13, s13, s22
	s_add_i32 s13, s14, s13
	s_mul_i32 s12, s12, s22
	s_lshl_b64 s[12:13], s[12:13], 2
	s_add_u32 s3, s3, s12
	s_addc_u32 s9, s9, s13
	s_lshl_b64 s[24:25], s[26:27], 2
	s_add_u32 s12, s3, s24
	s_addc_u32 s13, s9, s25
	s_mul_i32 s3, s26, s17
	s_mul_hi_u32 s9, s26, s16
	s_add_i32 s3, s9, s3
	s_mul_i32 s9, s27, s16
	s_add_i32 s15, s3, s9
	s_mul_i32 s14, s26, s16
	v_lshl_add_u32 v0, v0, 5, v34
	s_lshl_b64 s[14:15], s[14:15], 2
	v_lshrrev_b32_e32 v35, 4, v0
	s_add_u32 s33, s10, s14
	v_and_b32_e32 v4, 15, v34
	v_lshlrev_b32_e32 v36, 2, v35
	v_mov_b32_e32 v5, 0
	s_addc_u32 s34, s11, s15
	v_mad_u64_u32 v[8:9], s[10:11], v36, s6, v[4:5]
	v_mov_b32_e32 v2, v9
	v_mad_u64_u32 v[2:3], s[10:11], v36, s7, v[2:3]
	s_lshl_b64 s[14:15], s[16:17], 5
	s_add_i32 s3, s8, -2
	v_mov_b32_e32 v9, v2
	s_cmp_ge_u32 s2, s3
	s_barrier
	s_cbranch_scc1 .LBB146_13
; %bb.12:
	v_lshl_add_u64 v[2:3], v[8:9], 2, s[12:13]
	global_load_dword v41, v[2:3], off offset:128
	v_lshl_add_u64 v[6:7], s[6:7], 2, v[2:3]
	v_lshl_add_u64 v[10:11], s[6:7], 3, v[2:3]
	v_mad_u64_u32 v[2:3], s[8:9], s6, 12, v[2:3]
	global_load_dword v42, v[6:7], off offset:128
	global_load_dword v43, v[10:11], off offset:128
	v_mov_b32_e32 v6, v3
	v_mad_u64_u32 v[6:7], s[8:9], s7, 12, v[6:7]
	v_mov_b32_e32 v3, v6
	global_load_dword v44, v[2:3], off offset:128
	v_mad_u64_u32 v[2:3], s[8:9], v4, s16, 0
	s_lshl_b64 s[2:3], s[14:15], 2
	v_mov_b32_e32 v6, v3
	s_add_u32 s2, s33, s2
	v_mad_u64_u32 v[6:7], s[8:9], v4, s17, v[6:7]
	s_addc_u32 s3, s34, s3
	v_mov_b32_e32 v3, v6
	v_lshl_add_u64 v[2:3], v[2:3], 2, s[2:3]
	global_load_dword v5, v[2:3], off
	s_branch .LBB146_14
.LBB146_13:
                                        ; implicit-def: $vgpr41
                                        ; implicit-def: $vgpr42
                                        ; implicit-def: $vgpr43
                                        ; implicit-def: $vgpr44
.LBB146_14:
	s_load_dwordx4 s[8:11], s[0:1], 0x60
	v_mov_b32_e32 v6, 0
	v_lshlrev_b32_e32 v37, 2, v4
	s_waitcnt lgkmcnt(0)
	s_lshl_b64 s[2:3], s[8:9], 2
	s_mul_i32 s8, s22, s11
	s_mul_hi_u32 s9, s22, s10
	s_add_u32 s28, s28, s2
	s_mul_i32 s35, s23, s10
	s_addc_u32 s29, s29, s3
	s_add_i32 s2, s9, s8
	s_add_i32 s3, s2, s35
	s_mul_i32 s2, s22, s10
	s_lshl_b64 s[2:3], s[2:3], 2
	s_add_u32 s2, s28, s2
	s_mul_i32 s8, s26, s11
	s_mul_hi_u32 s9, s26, s10
	s_addc_u32 s3, s29, s3
	s_add_i32 s8, s9, s8
	s_mul_i32 s9, s27, s10
	s_add_i32 s9, s8, s9
	s_mul_i32 s8, s26, s10
	s_lshl_b64 s[8:9], s[8:9], 2
	s_add_u32 s26, s2, s8
	s_addc_u32 s27, s3, s9
	s_cmp_lt_i32 s31, 1
	s_cbranch_scc1 .LBB146_22
; %bb.15:
	v_mad_u64_u32 v[12:13], s[28:29], v34, s10, 0
	v_mov_b32_e32 v2, v13
	v_mad_u64_u32 v[2:3], s[28:29], v34, s11, v[2:3]
	v_mov_b32_e32 v13, v2
	;; [unrolled: 2-line block ×3, first 2 shown]
	v_lshl_or_b32 v1, v35, 7, v37
	v_mad_u64_u32 v[6:7], s[28:29], s7, v35, v[6:7]
	v_add_u32_e32 v45, 0x800, v1
	v_mov_b32_e32 v1, 0xc00
	v_mov_b32_e32 v3, v6
	v_lshlrev_b32_e32 v6, 2, v4
	v_mov_b32_e32 v7, 0
	v_lshl_add_u32 v46, v36, 2, v1
	v_mov_b32_e32 v1, 0x800
	v_lshl_add_u64 v[14:15], v[2:3], 4, v[6:7]
	v_and_b32_e32 v2, 0xfff0, v0
	v_lshl_add_u32 v47, v34, 2, v1
	v_or_b32_e32 v1, 8, v2
	v_mad_u64_u32 v[16:17], s[28:29], s6, v1, v[6:7]
	v_mov_b32_e32 v0, v17
	v_mad_u64_u32 v[0:1], s[28:29], s7, v1, v[0:1]
	v_or_b32_e32 v1, 12, v2
	v_mad_u64_u32 v[18:19], s[28:29], s6, v1, v[6:7]
	v_mov_b32_e32 v17, v0
	v_mov_b32_e32 v0, v19
	v_mad_u64_u32 v[0:1], s[28:29], s7, v1, v[0:1]
	s_lshl_b64 s[8:9], s[10:11], 7
	v_or_b32_e32 v1, 4, v2
	s_lshl_b64 s[22:23], s[22:23], 2
	v_mad_u64_u32 v[20:21], s[28:29], s6, v1, v[6:7]
	s_add_u32 s24, s24, s22
	v_mov_b32_e32 v19, v0
	v_mov_b32_e32 v0, v21
	s_addc_u32 s25, s25, s23
	v_mad_u64_u32 v[0:1], s[28:29], s7, v1, v[0:1]
	s_mul_i32 s22, s16, s25
	s_mul_hi_u32 s23, s16, s24
	v_mov_b32_e32 v21, v0
	s_add_i32 s22, s23, s22
	s_mul_i32 s23, s17, s24
	s_mul_i32 s29, s16, s24
	v_lshl_add_u64 v[0:1], s[24:25], 0, v[6:7]
	s_mov_b64 s[24:25], 0xc0
	v_lshl_add_u64 v[2:3], v[0:1], 0, s[24:25]
	v_mad_u64_u32 v[22:23], s[24:25], s16, v2, 0
	s_mov_b64 s[24:25], 0x100
	s_nop 0
	v_lshl_add_u64 v[0:1], v[0:1], 0, s[24:25]
	v_mul_lo_u32 v6, s17, v2
	v_mul_lo_u32 v3, s16, v3
	;; [unrolled: 1-line block ×4, first 2 shown]
	v_mad_u64_u32 v[24:25], s[24:25], s16, v0, 0
	s_add_i32 s28, s22, s23
	s_lshl_b64 s[22:23], s[16:17], 7
	v_add3_u32 v23, v23, v3, v6
	v_add3_u32 v25, v25, v1, v2
	v_mov_b64_e32 v[10:11], s[26:27]
	v_mov_b32_e32 v39, v7
	v_mov_b32_e32 v38, v7
	;; [unrolled: 1-line block ×3, first 2 shown]
	s_waitcnt vmcnt(4)
	v_mov_b32_e32 v49, v41
	s_waitcnt vmcnt(3)
	v_mov_b32_e32 v50, v42
	s_waitcnt vmcnt(2)
	v_mov_b32_e32 v51, v43
	s_waitcnt vmcnt(1)
	v_mov_b32_e32 v52, v44
.LBB146_16:                             ; =>This Inner Loop Header: Depth=1
	v_lshl_add_u64 v[0:1], s[18:19], 0, v[22:23]
	v_lshl_add_u64 v[26:27], s[12:13], 0, v[14:15]
	global_load_dword v40, v[0:1], off
	v_lshl_add_u64 v[30:31], s[12:13], 0, v[20:21]
	v_lshl_add_u64 v[28:29], s[12:13], 0, v[16:17]
	;; [unrolled: 1-line block ×3, first 2 shown]
	global_load_dword v56, v[26:27], off offset:192
	global_load_dword v55, v[30:31], off offset:192
	;; [unrolled: 1-line block ×4, first 2 shown]
	ds_read_b128 v[0:3], v46
	s_cmp_eq_u32 s31, 1
	s_waitcnt vmcnt(5)
	v_mov_b32_e32 v48, v5
	s_cbranch_scc1 .LBB146_18
; %bb.17:                               ;   in Loop: Header=BB146_16 Depth=1
	global_load_dword v49, v[26:27], off offset:256
	global_load_dword v50, v[30:31], off offset:256
	;; [unrolled: 1-line block ×4, first 2 shown]
	v_lshl_add_u64 v[26:27], s[18:19], 0, v[24:25]
	global_load_dword v48, v[26:27], off
.LBB146_18:                             ;   in Loop: Header=BB146_16 Depth=1
	s_waitcnt lgkmcnt(0)
	v_fma_f32 v26, v41, v0, 0
	s_waitcnt vmcnt(3)
	v_fma_f32 v0, v56, v0, 0
	v_fmac_f32_e32 v26, v42, v1
	s_waitcnt vmcnt(2)
	v_fmac_f32_e32 v0, v55, v1
	v_fmac_f32_e32 v26, v43, v2
	s_waitcnt vmcnt(1)
	v_fmac_f32_e32 v0, v54, v2
	;; [unrolled: 3-line block ×3, first 2 shown]
	s_barrier
	ds_write2_b32 v45, v26, v0 offset1:16
	s_waitcnt lgkmcnt(0)
	s_barrier
	s_and_saveexec_b64 s[24:25], s[4:5]
	s_cbranch_execz .LBB146_20
; %bb.19:                               ;   in Loop: Header=BB146_16 Depth=1
	ds_read2_b32 v[0:1], v47 offset1:32
	ds_read2_b32 v[2:3], v47 offset0:64 offset1:96
	ds_read2_b32 v[26:27], v47 offset0:128 offset1:160
	;; [unrolled: 1-line block ×3, first 2 shown]
	v_lshl_add_u64 v[10:11], v[10:11], 0, s[8:9]
	s_waitcnt lgkmcnt(3)
	v_add_f32_e32 v0, 0, v0
	v_add_f32_e32 v0, v0, v1
	s_waitcnt lgkmcnt(2)
	v_add_f32_e32 v0, v0, v2
	v_add_f32_e32 v0, v0, v3
	;; [unrolled: 3-line block ×4, first 2 shown]
	v_lshl_add_u64 v[0:1], v[12:13], 2, v[10:11]
	v_mul_f32_e32 v2, s30, v2
	global_atomic_add_f32 v[0:1], v2, off
.LBB146_20:                             ;   in Loop: Header=BB146_16 Depth=1
	s_or_b64 exec, exec, s[24:25]
	s_add_u32 s12, s12, 0x80
	s_addc_u32 s13, s13, 0
	s_add_i32 s31, s31, -1
	s_add_u32 s18, s18, s22
	s_addc_u32 s19, s19, s23
	s_add_u32 s33, s18, s29
	v_fmac_f32_e32 v7, v5, v41
	v_fmac_f32_e32 v39, v5, v42
	v_fmac_f32_e32 v38, v5, v43
	v_fmac_f32_e32 v6, v5, v44
	s_addc_u32 s34, s19, s28
	v_fmac_f32_e32 v7, v40, v56
	v_fmac_f32_e32 v39, v40, v55
	;; [unrolled: 1-line block ×3, first 2 shown]
	s_cmp_eq_u32 s31, 0
	v_fmac_f32_e32 v6, v40, v53
	s_cbranch_scc1 .LBB146_23
; %bb.21:                               ;   in Loop: Header=BB146_16 Depth=1
	v_mov_b32_e32 v5, v48
	v_mov_b32_e32 v41, v49
	;; [unrolled: 1-line block ×5, first 2 shown]
	s_branch .LBB146_16
.LBB146_22:
	v_mov_b64_e32 v[10:11], s[26:27]
	v_mov_b32_e32 v38, 0
	v_mov_b32_e32 v39, 0
	;; [unrolled: 1-line block ×4, first 2 shown]
	s_waitcnt vmcnt(0)
	v_mov_b32_e32 v48, v5
.LBB146_23:
	s_and_b64 vcc, exec, s[20:21]
	s_cbranch_vccz .LBB146_31
; %bb.24:
	s_load_dword s18, s[0:1], 0x78
	s_lshl_b64 s[0:1], s[14:15], 2
	s_add_u32 s0, s33, s0
	v_mov_b32_e32 v0, 0
	s_addc_u32 s1, s34, s1
	s_waitcnt lgkmcnt(0)
	v_cmp_gt_i32_e32 vcc, s18, v4
	v_mov_b32_e32 v3, 0
	v_mov_b32_e32 v5, 0
	;; [unrolled: 1-line block ×4, first 2 shown]
	s_and_saveexec_b64 s[8:9], vcc
	s_cbranch_execz .LBB146_26
; %bb.25:
	v_lshl_add_u64 v[14:15], v[8:9], 2, s[12:13]
	v_lshl_add_u64 v[16:17], s[6:7], 2, v[14:15]
	;; [unrolled: 1-line block ×3, first 2 shown]
	global_load_dword v3, v[14:15], off offset:128
	global_load_dword v5, v[16:17], off offset:128
	;; [unrolled: 1-line block ×3, first 2 shown]
	v_mad_u64_u32 v[14:15], s[14:15], s6, 12, v[14:15]
	v_mov_b32_e32 v2, v15
	s_waitcnt vmcnt(2)
	v_mad_u64_u32 v[16:17], s[14:15], s7, 12, v[2:3]
	v_mov_b32_e32 v15, v16
	v_mad_u64_u32 v[16:17], s[14:15], v4, s16, 0
	v_mov_b32_e32 v2, v17
	;; [unrolled: 2-line block ×3, first 2 shown]
	v_lshl_add_u64 v[16:17], v[16:17], 2, s[0:1]
	global_load_dword v14, v[14:15], off offset:128
	s_nop 0
	global_load_dword v48, v[16:17], off
.LBB146_26:
	s_or_b64 exec, exec, s[8:9]
	v_or_b32_e32 v15, 16, v4
	v_cmp_gt_i32_e32 vcc, s18, v15
	v_mov_b32_e32 v1, 0
	v_mov_b32_e32 v2, 0
	;; [unrolled: 1-line block ×3, first 2 shown]
	s_and_saveexec_b64 s[8:9], vcc
	s_cbranch_execz .LBB146_28
; %bb.27:
	v_lshl_add_u64 v[8:9], v[8:9], 2, s[12:13]
	s_mov_b64 s[12:13], 0x80
	v_lshl_add_u64 v[16:17], v[8:9], 0, s[12:13]
	v_lshl_add_u64 v[18:19], s[6:7], 2, v[16:17]
	;; [unrolled: 1-line block ×3, first 2 shown]
	global_load_dword v0, v[8:9], off offset:192
	global_load_dword v1, v[18:19], off offset:64
	global_load_dword v2, v[20:21], off offset:64
	v_mad_u64_u32 v[8:9], s[12:13], s6, 12, v[16:17]
	v_mov_b32_e32 v16, v9
	v_mad_u64_u32 v[16:17], s[6:7], s7, 12, v[16:17]
	v_mov_b32_e32 v9, v16
	global_load_dword v13, v[8:9], off offset:64
	v_mad_u64_u32 v[8:9], s[6:7], v15, s16, 0
	v_mov_b32_e32 v16, v9
	v_mad_u64_u32 v[16:17], s[6:7], v15, s17, v[16:17]
	v_mov_b32_e32 v9, v16
	v_lshl_add_u64 v[8:9], v[8:9], 2, s[0:1]
	global_load_dword v40, v[8:9], off
.LBB146_28:
	s_or_b64 exec, exec, s[8:9]
	v_lshlrev_b32_e32 v8, 2, v36
	ds_read_b128 v[16:19], v8 offset:3072
	s_waitcnt vmcnt(0)
	v_fmac_f32_e32 v7, v48, v3
	v_fmac_f32_e32 v39, v48, v5
	v_cmp_gt_i32_e32 vcc, s18, v34
	v_fmac_f32_e32 v38, v48, v12
	s_waitcnt lgkmcnt(0)
	v_fma_f32 v8, v0, v16, 0
	v_fma_f32 v3, v3, v16, 0
	v_fmac_f32_e32 v8, v1, v17
	v_fmac_f32_e32 v3, v5, v17
	;; [unrolled: 1-line block ×4, first 2 shown]
	v_lshl_or_b32 v5, v35, 7, v37
	v_fmac_f32_e32 v6, v48, v14
	v_fmac_f32_e32 v8, v13, v19
	;; [unrolled: 1-line block ×3, first 2 shown]
	v_add_u32_e32 v5, 0x800, v5
	s_and_b64 s[6:7], s[4:5], vcc
	s_barrier
	ds_write2_b32 v5, v3, v8 offset1:16
	s_waitcnt lgkmcnt(0)
	s_barrier
	s_and_saveexec_b64 s[0:1], s[6:7]
	s_cbranch_execz .LBB146_30
; %bb.29:
	v_lshlrev_b32_e32 v3, 2, v34
	v_add_u32_e32 v3, 0x800, v3
	ds_read2_b32 v[8:9], v3 offset1:32
	ds_read2_b32 v[14:15], v3 offset0:64 offset1:96
	ds_read2_b32 v[16:17], v3 offset0:128 offset1:160
	s_lshl_b64 s[6:7], s[10:11], 7
	v_lshl_add_u64 v[10:11], v[10:11], 0, s[6:7]
	s_waitcnt lgkmcnt(2)
	v_add_f32_e32 v5, 0, v8
	v_add_f32_e32 v5, v5, v9
	ds_read2_b32 v[8:9], v3 offset0:192 offset1:224
	s_waitcnt lgkmcnt(2)
	v_add_f32_e32 v3, v5, v14
	v_add_f32_e32 v3, v3, v15
	s_waitcnt lgkmcnt(1)
	v_add_f32_e32 v3, v3, v16
	v_add_f32_e32 v3, v3, v17
	s_waitcnt lgkmcnt(0)
	v_add_f32_e32 v3, v3, v8
	v_add_f32_e32 v3, v3, v9
	v_mad_u64_u32 v[8:9], s[6:7], v34, s10, 0
	v_mov_b32_e32 v12, v9
	v_mad_u64_u32 v[14:15], s[6:7], v34, s11, v[12:13]
	v_mov_b32_e32 v9, v14
	v_lshl_add_u64 v[8:9], v[8:9], 2, v[10:11]
	v_mul_f32_e32 v3, s30, v3
	global_atomic_add_f32 v[8:9], v3, off
.LBB146_30:
	s_or_b64 exec, exec, s[0:1]
	v_fmac_f32_e32 v7, v40, v0
	v_fmac_f32_e32 v39, v40, v1
	;; [unrolled: 1-line block ×4, first 2 shown]
.LBB146_31:
	v_lshl_or_b32 v0, v35, 8, v37
	ds_write2_b32 v0, v7, v39 offset1:16
	ds_write2_b32 v0, v38, v6 offset0:32 offset1:48
	s_waitcnt lgkmcnt(0)
	s_barrier
	s_and_saveexec_b64 s[0:1], s[4:5]
	s_cbranch_execz .LBB146_33
; %bb.32:
	v_lshlrev_b32_e32 v0, 4, v34
	v_or_b32_e32 v1, v4, v0
	v_add_u32_e32 v3, 1, v34
	v_add_u32_e32 v4, 2, v34
	;; [unrolled: 1-line block ×7, first 2 shown]
	v_and_or_b32 v3, v3, 15, v0
	v_and_or_b32 v4, v4, 15, v0
	;; [unrolled: 1-line block ×7, first 2 shown]
	v_lshlrev_b32_e32 v2, 2, v1
	v_lshlrev_b32_e32 v3, 2, v3
	;; [unrolled: 1-line block ×8, first 2 shown]
	ds_read_b32 v2, v2
	ds_read_b32 v3, v3
	;; [unrolled: 1-line block ×8, first 2 shown]
	s_waitcnt lgkmcnt(7)
	v_add_f32_e32 v2, 0, v2
	s_waitcnt lgkmcnt(6)
	v_add_f32_e32 v2, v2, v3
	;; [unrolled: 2-line block ×8, first 2 shown]
	v_add_u32_e32 v3, 9, v34
	v_add_u32_e32 v4, 10, v34
	v_add_u32_e32 v5, 11, v34
	v_add_u32_e32 v6, 12, v34
	v_add_u32_e32 v7, 13, v34
	v_add_u32_e32 v8, 14, v34
	v_add_u32_e32 v9, -1, v34
	v_xor_b32_e32 v1, 8, v1
	v_and_or_b32 v3, v3, 15, v0
	v_and_or_b32 v4, v4, 15, v0
	v_and_or_b32 v5, v5, 15, v0
	v_and_or_b32 v6, v6, 15, v0
	v_and_or_b32 v7, v7, 15, v0
	v_and_or_b32 v8, v8, 15, v0
	v_and_or_b32 v0, v9, 15, v0
	v_lshlrev_b32_e32 v1, 2, v1
	v_lshlrev_b32_e32 v3, 2, v3
	;; [unrolled: 1-line block ×8, first 2 shown]
	ds_read_b32 v1, v1
	ds_read_b32 v3, v3
	;; [unrolled: 1-line block ×8, first 2 shown]
	s_waitcnt lgkmcnt(7)
	v_add_f32_e32 v1, v2, v1
	s_waitcnt lgkmcnt(6)
	v_add_f32_e32 v1, v1, v3
	;; [unrolled: 2-line block ×8, first 2 shown]
	v_mad_u64_u32 v[0:1], s[0:1], v34, s10, 0
	v_mov_b32_e32 v2, v1
	v_mad_u64_u32 v[2:3], s[0:1], v34, s11, v[2:3]
	v_mov_b32_e32 v1, v2
	v_lshl_add_u64 v[0:1], v[0:1], 2, s[2:3]
	v_mul_f32_e32 v2, s30, v4
	global_atomic_add_f32 v[0:1], v2, off
.LBB146_33:
	s_endpgm
	.section	.rodata,"a",@progbits
	.p2align	6, 0x0
	.amdhsa_kernel _ZL62rocblas_symv_kernel_lower_double_buffered_non_diagonal_genericILi32ELi4ELi4E24rocblas_internal_val_ptrIfEPKPKfPKPfEvbiT2_lT3_lllSA_lllT4_lllii
		.amdhsa_group_segment_fixed_size 3200
		.amdhsa_private_segment_fixed_size 0
		.amdhsa_kernarg_size 384
		.amdhsa_user_sgpr_count 2
		.amdhsa_user_sgpr_dispatch_ptr 0
		.amdhsa_user_sgpr_queue_ptr 0
		.amdhsa_user_sgpr_kernarg_segment_ptr 1
		.amdhsa_user_sgpr_dispatch_id 0
		.amdhsa_user_sgpr_kernarg_preload_length 0
		.amdhsa_user_sgpr_kernarg_preload_offset 0
		.amdhsa_user_sgpr_private_segment_size 0
		.amdhsa_uses_dynamic_stack 0
		.amdhsa_enable_private_segment 0
		.amdhsa_system_sgpr_workgroup_id_x 1
		.amdhsa_system_sgpr_workgroup_id_y 1
		.amdhsa_system_sgpr_workgroup_id_z 1
		.amdhsa_system_sgpr_workgroup_info 0
		.amdhsa_system_vgpr_workitem_id 1
		.amdhsa_next_free_vgpr 57
		.amdhsa_next_free_sgpr 36
		.amdhsa_accum_offset 60
		.amdhsa_reserve_vcc 1
		.amdhsa_float_round_mode_32 0
		.amdhsa_float_round_mode_16_64 0
		.amdhsa_float_denorm_mode_32 3
		.amdhsa_float_denorm_mode_16_64 3
		.amdhsa_dx10_clamp 1
		.amdhsa_ieee_mode 1
		.amdhsa_fp16_overflow 0
		.amdhsa_tg_split 0
		.amdhsa_exception_fp_ieee_invalid_op 0
		.amdhsa_exception_fp_denorm_src 0
		.amdhsa_exception_fp_ieee_div_zero 0
		.amdhsa_exception_fp_ieee_overflow 0
		.amdhsa_exception_fp_ieee_underflow 0
		.amdhsa_exception_fp_ieee_inexact 0
		.amdhsa_exception_int_div_zero 0
	.end_amdhsa_kernel
	.section	.text._ZL62rocblas_symv_kernel_lower_double_buffered_non_diagonal_genericILi32ELi4ELi4E24rocblas_internal_val_ptrIfEPKPKfPKPfEvbiT2_lT3_lllSA_lllT4_lllii,"axG",@progbits,_ZL62rocblas_symv_kernel_lower_double_buffered_non_diagonal_genericILi32ELi4ELi4E24rocblas_internal_val_ptrIfEPKPKfPKPfEvbiT2_lT3_lllSA_lllT4_lllii,comdat
.Lfunc_end146:
	.size	_ZL62rocblas_symv_kernel_lower_double_buffered_non_diagonal_genericILi32ELi4ELi4E24rocblas_internal_val_ptrIfEPKPKfPKPfEvbiT2_lT3_lllSA_lllT4_lllii, .Lfunc_end146-_ZL62rocblas_symv_kernel_lower_double_buffered_non_diagonal_genericILi32ELi4ELi4E24rocblas_internal_val_ptrIfEPKPKfPKPfEvbiT2_lT3_lllSA_lllT4_lllii
                                        ; -- End function
	.section	.AMDGPU.csdata,"",@progbits
; Kernel info:
; codeLenInByte = 3096
; NumSgprs: 42
; NumVgprs: 57
; NumAgprs: 0
; TotalNumVgprs: 57
; ScratchSize: 0
; MemoryBound: 0
; FloatMode: 240
; IeeeMode: 1
; LDSByteSize: 3200 bytes/workgroup (compile time only)
; SGPRBlocks: 5
; VGPRBlocks: 7
; NumSGPRsForWavesPerEU: 42
; NumVGPRsForWavesPerEU: 57
; AccumOffset: 60
; Occupancy: 8
; WaveLimiterHint : 1
; COMPUTE_PGM_RSRC2:SCRATCH_EN: 0
; COMPUTE_PGM_RSRC2:USER_SGPR: 2
; COMPUTE_PGM_RSRC2:TRAP_HANDLER: 0
; COMPUTE_PGM_RSRC2:TGID_X_EN: 1
; COMPUTE_PGM_RSRC2:TGID_Y_EN: 1
; COMPUTE_PGM_RSRC2:TGID_Z_EN: 1
; COMPUTE_PGM_RSRC2:TIDIG_COMP_CNT: 1
; COMPUTE_PGM_RSRC3_GFX90A:ACCUM_OFFSET: 14
; COMPUTE_PGM_RSRC3_GFX90A:TG_SPLIT: 0
	.section	.text._ZL26rocblas_hemvn_kernel_lowerILb0ELi64ELi4ELi33ELi32ELi16ElPKfPKS1_PfEviT6_lT7_lT5_lS6_lS7_lS5_lT8_i,"axG",@progbits,_ZL26rocblas_hemvn_kernel_lowerILb0ELi64ELi4ELi33ELi32ELi16ElPKfPKS1_PfEviT6_lT7_lT5_lS6_lS7_lS5_lT8_i,comdat
	.globl	_ZL26rocblas_hemvn_kernel_lowerILb0ELi64ELi4ELi33ELi32ELi16ElPKfPKS1_PfEviT6_lT7_lT5_lS6_lS7_lS5_lT8_i ; -- Begin function _ZL26rocblas_hemvn_kernel_lowerILb0ELi64ELi4ELi33ELi32ELi16ElPKfPKS1_PfEviT6_lT7_lT5_lS6_lS7_lS5_lT8_i
	.p2align	8
	.type	_ZL26rocblas_hemvn_kernel_lowerILb0ELi64ELi4ELi33ELi32ELi16ElPKfPKS1_PfEviT6_lT7_lT5_lS6_lS7_lS5_lT8_i,@function
_ZL26rocblas_hemvn_kernel_lowerILb0ELi64ELi4ELi33ELi32ELi16ElPKfPKS1_PfEviT6_lT7_lT5_lS6_lS7_lS5_lT8_i: ; @_ZL26rocblas_hemvn_kernel_lowerILb0ELi64ELi4ELi33ELi32ELi16ElPKfPKS1_PfEviT6_lT7_lT5_lS6_lS7_lS5_lT8_i
; %bb.0:
	s_load_dwordx2 s[4:5], s[0:1], 0x84
	s_add_u32 s12, s0, 0x78
	s_mov_b32 s26, s3
	s_addc_u32 s13, s1, 0
	s_waitcnt lgkmcnt(0)
	s_and_b32 s3, s5, 0xffff
	s_lshr_b32 s5, s4, 16
	s_and_b32 s4, s4, 0xffff
	s_mul_i32 s4, s5, s4
	s_mul_i32 s4, s4, s3
	s_cmpk_lg_i32 s4, 0x100
	s_cbranch_scc1 .LBB147_80
; %bb.1:
	s_load_dwordx8 s[4:11], s[0:1], 0x8
	s_load_dwordx4 s[16:19], s[0:1], 0x58
	s_waitcnt lgkmcnt(0)
	s_mul_i32 s3, s26, s7
	s_mul_hi_u32 s7, s26, s6
	s_mul_i32 s6, s26, s6
	s_add_i32 s7, s7, s3
	s_lshl_b64 s[6:7], s[6:7], 2
	s_add_u32 s4, s4, s6
	s_addc_u32 s5, s5, s7
	s_mul_i32 s14, s26, s19
	s_load_dword s3, s[4:5], 0x0
	s_mul_hi_u32 s4, s26, s18
	s_add_i32 s5, s4, s14
	s_mul_i32 s4, s26, s18
	s_lshl_b64 s[4:5], s[4:5], 2
	s_add_u32 s4, s16, s4
	s_addc_u32 s5, s17, s5
	s_load_dword s6, s[4:5], 0x0
	s_waitcnt lgkmcnt(0)
	v_cmp_eq_f32_e64 s[4:5], s3, 0
	v_cmp_eq_f32_e64 s[6:7], s6, 1.0
	s_and_b64 s[6:7], s[4:5], s[6:7]
	s_and_b64 vcc, exec, s[6:7]
	s_cbranch_vccnz .LBB147_80
; %bb.2:
	s_load_dwordx2 s[22:23], s[0:1], 0x28
	s_mov_b32 s27, 0
	v_cmp_neq_f32_e64 s[16:17], s3, 0
	s_mov_b64 s[14:15], 0
	s_and_b64 vcc, exec, s[4:5]
	s_mov_b64 s[6:7], 0
	s_cbranch_vccnz .LBB147_4
; %bb.3:
	s_lshl_b64 s[4:5], s[26:27], 3
	s_add_u32 s4, s8, s4
	s_addc_u32 s5, s9, s5
	s_load_dwordx2 s[4:5], s[4:5], 0x0
	s_lshl_b64 s[6:7], s[10:11], 2
	s_waitcnt lgkmcnt(0)
	s_add_u32 s6, s4, s6
	s_addc_u32 s7, s5, s7
.LBB147_4:
	s_load_dwordx4 s[8:11], s[0:1], 0x38
	s_load_dwordx2 s[20:21], s[0:1], 0x48
	v_cndmask_b32_e64 v1, 0, 1, s[16:17]
	v_cmp_ne_u32_e64 s[4:5], 1, v1
	s_andn2_b64 vcc, exec, s[16:17]
	s_cbranch_vccnz .LBB147_6
; %bb.5:
	s_lshl_b64 s[14:15], s[26:27], 3
	s_waitcnt lgkmcnt(0)
	s_add_u32 s8, s8, s14
	s_addc_u32 s9, s9, s15
	s_load_dwordx2 s[8:9], s[8:9], 0x0
	s_lshl_b64 s[10:11], s[10:11], 2
	s_waitcnt lgkmcnt(0)
	s_add_u32 s14, s8, s10
	s_addc_u32 s15, s9, s11
.LBB147_6:
	s_and_b64 vcc, exec, s[4:5]
	s_cbranch_vccnz .LBB147_80
; %bb.7:
	s_load_dword s27, s[12:13], 0x0
	s_load_dwordx2 s[34:35], s[0:1], 0x68
	s_load_dword s3, s[0:1], 0x0
	v_and_b32_e32 v18, 0x3ff, v0
	s_lshl_b32 s30, s2, 6
	s_waitcnt lgkmcnt(0)
	s_add_i32 s0, s27, -1
	v_add_u32_e32 v4, s30, v18
	s_ashr_i32 s33, s3, 31
	s_lshr_b32 s1, s33, 26
	s_add_i32 s1, s3, s1
	s_andn2_b32 s1, s1, 63
	s_sub_i32 s1, s3, s1
	s_cmp_eq_u32 s2, s0
	v_ashrrev_i32_e32 v5, 31, v4
	v_bfe_u32 v16, v0, 10, 10
	s_cselect_b32 s28, s1, 0
	v_mul_lo_u32 v2, v5, s20
	v_mul_lo_u32 v3, v4, s21
	v_mad_u64_u32 v[0:1], s[0:1], v4, s20, 0
	v_add3_u32 v1, v1, v3, v2
	v_lshl_add_u64 v[6:7], v[0:1], 2, s[14:15]
	v_cmp_ne_u32_e64 s[0:1], 0, v16
	v_cmp_eq_u32_e64 s[16:17], 0, v16
	s_and_saveexec_b64 s[4:5], s[16:17]
	s_cbranch_execz .LBB147_11
; %bb.8:
	s_cmp_eq_u32 s28, 0
	s_cselect_b64 s[8:9], -1, 0
	v_cmp_gt_i32_e32 vcc, s28, v18
	s_or_b64 s[10:11], s[8:9], vcc
	v_mov_b32_e32 v0, 0
	s_and_saveexec_b64 s[8:9], s[10:11]
	s_cbranch_execz .LBB147_10
; %bb.9:
	flat_load_dword v0, v[6:7]
.LBB147_10:
	s_or_b64 exec, exec, s[8:9]
	v_lshlrev_b32_e32 v1, 2, v18
	s_waitcnt vmcnt(0) lgkmcnt(0)
	ds_write_b32 v1, v0 offset:4544
.LBB147_11:
	s_or_b64 exec, exec, s[4:5]
	s_ashr_i32 s31, s30, 31
	v_lshl_add_u32 v19, v16, 6, v18
	s_lshl_b64 s[4:5], s[30:31], 2
	v_and_b32_e32 v0, 31, v18
	v_lshrrev_b32_e32 v14, 5, v19
	s_add_u32 s6, s6, s4
	v_mov_b32_e32 v1, 0
	s_addc_u32 s7, s7, s5
	v_mad_u64_u32 v[8:9], s[4:5], v14, s22, v[0:1]
	v_mov_b32_e32 v2, v9
	v_mad_u64_u32 v[2:3], s[4:5], v14, s23, v[2:3]
	s_mul_i32 s4, s30, s23
	s_mul_hi_u32 s5, s30, s22
	s_add_i32 s4, s5, s4
	s_mul_i32 s5, s31, s22
	s_add_i32 s5, s4, s5
	s_mul_i32 s4, s30, s22
	s_lshl_b64 s[36:37], s[4:5], 2
	s_add_u32 s4, s36, s6
	s_addc_u32 s5, s37, s7
	s_cmp_lg_u32 s28, 0
	v_mov_b32_e32 v9, v2
	s_cselect_b64 s[38:39], -1, 0
	s_cmp_eq_u32 s28, 0
	v_lshl_add_u64 v[2:3], v[8:9], 2, s[4:5]
	s_cselect_b64 s[18:19], -1, 0
	s_and_b64 vcc, exec, s[38:39]
	s_cbranch_vccnz .LBB147_13
; %bb.12:
	flat_load_dword v1, v[2:3]
	v_mul_u32_u24_e32 v10, 33, v14
	s_lshl_b64 s[4:5], s[22:23], 5
	v_add_lshl_u32 v12, v10, v0, 2
	v_lshl_add_u64 v[10:11], v[2:3], 0, s[4:5]
	s_mul_i32 s6, s23, 0x60
	s_waitcnt vmcnt(0) lgkmcnt(0)
	ds_write_b32 v12, v1
	flat_load_dword v1, v[10:11]
	v_lshl_add_u64 v[10:11], v[10:11], 0, s[4:5]
	s_waitcnt vmcnt(0) lgkmcnt(0)
	ds_write_b32 v12, v1 offset:1056
	flat_load_dword v1, v[10:11]
	v_mov_b32_e32 v10, 0x60
	v_mad_u64_u32 v[10:11], s[4:5], s22, v10, v[2:3]
	v_add_u32_e32 v11, s6, v11
	s_waitcnt vmcnt(0) lgkmcnt(0)
	ds_write_b32 v12, v1 offset:2112
	flat_load_dword v1, v[10:11]
	s_waitcnt vmcnt(0) lgkmcnt(0)
	ds_write_b32 v12, v1 offset:3168
	s_cbranch_execz .LBB147_14
	s_branch .LBB147_23
.LBB147_13:
.LBB147_14:
	v_lshlrev_b32_e32 v10, 2, v0
	v_sub_co_u32_e32 v12, vcc, v2, v10
	s_ashr_i32 s29, s28, 31
	s_nop 0
	v_subbrev_co_u32_e32 v13, vcc, 0, v3, vcc
	v_lshl_add_u64 v[12:13], s[28:29], 2, v[12:13]
	v_lshl_add_u64 v[12:13], v[12:13], 0, -4
	v_cmp_gt_i32_e32 vcc, s28, v0
	v_mov_b32_e32 v11, 0
	v_cmp_gt_i32_e64 s[4:5], s28, v14
	v_cndmask_b32_e32 v13, v13, v3, vcc
	v_cndmask_b32_e32 v12, v12, v2, vcc
	v_mov_b32_e32 v15, 0
	s_and_saveexec_b64 s[6:7], s[4:5]
	s_cbranch_execz .LBB147_16
; %bb.15:
	flat_load_dword v15, v[12:13]
.LBB147_16:
	s_or_b64 exec, exec, s[6:7]
	v_mul_u32_u24_e32 v1, 33, v14
	v_add_lshl_u32 v1, v1, v0, 2
	s_waitcnt vmcnt(0) lgkmcnt(0)
	ds_write_b32 v1, v15
	v_add_u32_e32 v15, 8, v14
	v_cmp_gt_i32_e64 s[4:5], s28, v15
	s_and_saveexec_b64 s[6:7], s[4:5]
	s_cbranch_execz .LBB147_18
; %bb.17:
	s_lshl_b64 s[4:5], s[22:23], 5
	v_lshl_add_u64 v[20:21], v[12:13], 0, s[4:5]
	flat_load_dword v11, v[20:21]
.LBB147_18:
	s_or_b64 exec, exec, s[6:7]
	s_waitcnt vmcnt(0) lgkmcnt(0)
	ds_write_b32 v1, v11 offset:1056
	v_add_u32_e32 v11, 16, v14
	v_cmp_gt_i32_e64 s[4:5], s28, v11
	v_mov_b32_e32 v11, 0
	v_mov_b32_e32 v15, 0
	s_and_saveexec_b64 s[6:7], s[4:5]
	s_cbranch_execz .LBB147_20
; %bb.19:
	s_lshl_b64 s[4:5], s[22:23], 6
	v_lshl_add_u64 v[20:21], v[12:13], 0, s[4:5]
	flat_load_dword v15, v[20:21]
.LBB147_20:
	s_or_b64 exec, exec, s[6:7]
	s_waitcnt vmcnt(0) lgkmcnt(0)
	ds_write_b32 v1, v15 offset:2112
	v_add_u32_e32 v15, 24, v14
	v_cmp_gt_i32_e64 s[4:5], s28, v15
	s_and_saveexec_b64 s[6:7], s[4:5]
	s_cbranch_execz .LBB147_22
; %bb.21:
	v_mov_b32_e32 v11, 0x60
	v_mad_u64_u32 v[20:21], s[4:5], s22, v11, v[12:13]
	s_mul_i32 s4, s23, 0x60
	s_nop 0
	v_add_u32_e32 v21, s4, v21
	flat_load_dword v11, v[20:21]
.LBB147_22:
	s_or_b64 exec, exec, s[6:7]
	s_waitcnt vmcnt(0) lgkmcnt(0)
	ds_write_b32 v1, v11 offset:3168
	v_mov_b32_e32 v11, 0
	v_lshl_add_u64 v[10:11], v[12:13], 0, v[10:11]
	s_lshl_b64 s[4:5], s[28:29], 2
	v_mov_b32_e32 v1, s5
	v_subrev_co_u32_e64 v10, s[4:5], s4, v10
	s_nop 1
	v_subb_co_u32_e64 v11, s[4:5], v11, v1, s[4:5]
	v_lshl_add_u64 v[10:11], v[10:11], 0, 4
	v_cndmask_b32_e32 v3, v11, v3, vcc
	v_cndmask_b32_e32 v2, v10, v2, vcc
.LBB147_23:
	v_lshlrev_b32_e32 v1, 2, v14
	v_mul_u32_u24_e32 v20, 33, v0
	v_cmp_lt_u32_e64 s[6:7], v1, v0
	v_add_lshl_u32 v12, v1, v20, 2
	s_waitcnt lgkmcnt(0)
	s_barrier
	s_and_saveexec_b64 s[4:5], s[6:7]
	s_cbranch_execz .LBB147_25
; %bb.24:
	v_mul_u32_u24_e32 v10, 0x84, v14
	v_add_lshl_u32 v10, v10, v0, 2
	ds_read_b32 v10, v10
	s_waitcnt lgkmcnt(0)
	ds_write_b32 v12, v10
.LBB147_25:
	s_or_b64 exec, exec, s[4:5]
	v_or_b32_e32 v10, 1, v1
	v_cmp_lt_u32_e64 s[8:9], v10, v0
	s_and_saveexec_b64 s[4:5], s[8:9]
	s_cbranch_execz .LBB147_27
; %bb.26:
	v_mul_u32_u24_e32 v10, 33, v10
	v_add_lshl_u32 v10, v10, v0, 2
	ds_read_b32 v10, v10
	s_waitcnt lgkmcnt(0)
	ds_write_b32 v12, v10 offset:4
.LBB147_27:
	s_or_b64 exec, exec, s[4:5]
	v_or_b32_e32 v10, 2, v1
	v_cmp_lt_u32_e64 s[10:11], v10, v0
	s_and_saveexec_b64 s[4:5], s[10:11]
	s_cbranch_execz .LBB147_29
; %bb.28:
	v_mul_u32_u24_e32 v10, 33, v10
	v_add_lshl_u32 v10, v10, v0, 2
	ds_read_b32 v10, v10
	s_waitcnt lgkmcnt(0)
	ds_write_b32 v12, v10 offset:8
.LBB147_29:
	s_or_b64 exec, exec, s[4:5]
	v_or_b32_e32 v10, 3, v1
	v_cmp_lt_u32_e64 s[12:13], v10, v0
	v_mad_u32_u24 v10, v10, 33, v0
	v_lshlrev_b32_e32 v15, 2, v10
	s_and_saveexec_b64 s[4:5], s[12:13]
	s_cbranch_execz .LBB147_31
; %bb.30:
	ds_read_b32 v10, v15
	s_waitcnt lgkmcnt(0)
	ds_write_b32 v12, v10 offset:12
.LBB147_31:
	s_or_b64 exec, exec, s[4:5]
	v_mul_u32_u24_e32 v10, 0x84, v14
	v_add_u32_e32 v23, 0xfffffef8, v15
	s_waitcnt lgkmcnt(0)
	s_barrier
	v_add_lshl_u32 v22, v10, v0, 2
	v_lshlrev_b32_e32 v13, 2, v1
	ds_read2_b32 v[10:11], v23 offset1:33
	ds_read_b32 v28, v22
	ds_read_b128 v[24:27], v13 offset:4544
	ds_read_b32 v31, v15
	v_add_lshl_u32 v21, v14, v20, 2
	s_waitcnt lgkmcnt(3)
	v_mov_b32_e32 v29, v10
	v_mov_b32_e32 v30, v11
	s_waitcnt lgkmcnt(1)
	v_pk_mul_f32 v[24:25], v[28:29], v[24:25]
	v_cmp_gt_u32_e64 s[4:5], 32, v19
	v_add_f32_e32 v10, 0, v24
	v_add_f32_e32 v17, v10, v25
	s_waitcnt lgkmcnt(0)
	v_pk_mul_f32 v[10:11], v[30:31], v[26:27]
	s_nop 0
	v_add_f32_e32 v10, v17, v10
	v_add_f32_e32 v10, v10, v11
	v_mov_b32_e32 v17, 0
	s_barrier
	ds_write_b32 v21, v10
	s_waitcnt lgkmcnt(0)
	s_barrier
	s_and_saveexec_b64 s[14:15], s[4:5]
	s_cbranch_execz .LBB147_33
; %bb.32:
	v_lshlrev_b32_e32 v17, 2, v20
	ds_read2_b32 v[10:11], v17 offset1:1
	ds_read2_b32 v[24:25], v17 offset0:2 offset1:3
	ds_read2_b32 v[26:27], v17 offset0:4 offset1:5
	;; [unrolled: 1-line block ×3, first 2 shown]
	s_waitcnt lgkmcnt(3)
	v_add_f32_e32 v10, v10, v11
	s_waitcnt lgkmcnt(2)
	v_add_f32_e32 v10, v10, v24
	v_add_f32_e32 v10, v10, v25
	s_waitcnt lgkmcnt(1)
	v_add_f32_e32 v10, v10, v26
	;; [unrolled: 3-line block ×3, first 2 shown]
	v_add_f32_e32 v17, v10, v29
.LBB147_33:
	s_or_b64 exec, exec, s[14:15]
	s_lshl_b64 s[24:25], s[22:23], 7
	v_lshl_add_u64 v[10:11], v[2:3], 0, s[24:25]
	s_mov_b64 s[42:43], 0x80
	v_cndmask_b32_e64 v2, 0, 1, s[18:19]
	s_lshl_b64 s[40:41], s[22:23], 5
	v_cmp_ne_u32_e64 s[14:15], 1, v2
	s_andn2_b64 vcc, exec, s[18:19]
	v_lshl_add_u64 v[2:3], v[10:11], 0, s[42:43]
	s_barrier
	s_cbranch_vccnz .LBB147_35
; %bb.34:
	flat_load_dword v26, v[10:11] offset:128
	v_mul_u32_u24_e32 v27, 33, v14
	v_add_lshl_u32 v27, v27, v0, 2
	v_lshl_add_u64 v[24:25], v[10:11], 0, s[40:41]
	s_mul_i32 s29, s23, 0x60
	s_waitcnt vmcnt(0) lgkmcnt(0)
	ds_write_b32 v27, v26
	flat_load_dword v26, v[24:25] offset:128
	v_lshl_add_u64 v[24:25], v[24:25], 0, s[40:41]
	s_waitcnt vmcnt(0) lgkmcnt(0)
	ds_write_b32 v27, v26 offset:1056
	flat_load_dword v24, v[24:25] offset:128
	v_mov_b32_e32 v25, 0x60
	v_mad_u64_u32 v[10:11], s[18:19], s22, v25, v[10:11]
	v_add_u32_e32 v11, s29, v11
	s_waitcnt vmcnt(0) lgkmcnt(0)
	ds_write_b32 v27, v24 offset:2112
	flat_load_dword v10, v[10:11] offset:128
	s_waitcnt vmcnt(0) lgkmcnt(0)
	ds_write_b32 v27, v10 offset:3168
	s_cbranch_execz .LBB147_36
	s_branch .LBB147_45
.LBB147_35:
.LBB147_36:
	v_or_b32_e32 v24, 32, v0
	v_lshlrev_b32_e32 v10, 2, v24
	v_sub_co_u32_e32 v10, vcc, v2, v10
	s_ashr_i32 s29, s28, 31
	s_nop 0
	v_subbrev_co_u32_e32 v11, vcc, 0, v3, vcc
	v_lshl_add_u64 v[10:11], s[28:29], 2, v[10:11]
	v_lshl_add_u64 v[10:11], v[10:11], 0, -4
	v_cmp_gt_i32_e32 vcc, s28, v24
	s_sub_i32 s44, s28, 32
	v_mov_b32_e32 v25, 0
	v_cndmask_b32_e32 v11, v11, v3, vcc
	v_cndmask_b32_e32 v10, v10, v2, vcc
	v_cmp_gt_i32_e64 s[18:19], s44, v14
	v_mov_b32_e32 v26, 0
	s_and_saveexec_b64 s[42:43], s[18:19]
	s_cbranch_execz .LBB147_38
; %bb.37:
	flat_load_dword v26, v[10:11]
.LBB147_38:
	s_or_b64 exec, exec, s[42:43]
	v_mul_u32_u24_e32 v24, 33, v14
	v_add_lshl_u32 v24, v24, v0, 2
	s_waitcnt vmcnt(0) lgkmcnt(0)
	ds_write_b32 v24, v26
	v_add_u32_e32 v26, 8, v14
	v_cmp_gt_i32_e64 s[18:19], s44, v26
	s_and_saveexec_b64 s[42:43], s[18:19]
	s_cbranch_execz .LBB147_40
; %bb.39:
	v_lshl_add_u64 v[26:27], v[10:11], 0, s[40:41]
	flat_load_dword v25, v[26:27]
.LBB147_40:
	s_or_b64 exec, exec, s[42:43]
	s_waitcnt vmcnt(0) lgkmcnt(0)
	ds_write_b32 v24, v25 offset:1056
	v_add_u32_e32 v25, 16, v14
	v_cmp_gt_i32_e64 s[18:19], s44, v25
	v_mov_b32_e32 v25, 0
	v_mov_b32_e32 v26, 0
	s_and_saveexec_b64 s[42:43], s[18:19]
	s_cbranch_execz .LBB147_42
; %bb.41:
	s_lshl_b64 s[18:19], s[22:23], 6
	v_lshl_add_u64 v[26:27], v[10:11], 0, s[18:19]
	flat_load_dword v26, v[26:27]
.LBB147_42:
	s_or_b64 exec, exec, s[42:43]
	s_waitcnt vmcnt(0) lgkmcnt(0)
	ds_write_b32 v24, v26 offset:2112
	v_add_u32_e32 v26, 24, v14
	v_cmp_gt_i32_e64 s[18:19], s44, v26
	s_and_saveexec_b64 s[42:43], s[18:19]
	s_cbranch_execz .LBB147_44
; %bb.43:
	v_mov_b32_e32 v25, 0x60
	v_mad_u64_u32 v[26:27], s[18:19], s22, v25, v[10:11]
	s_mul_i32 s18, s23, 0x60
	s_nop 0
	v_add_u32_e32 v27, s18, v27
	flat_load_dword v25, v[26:27]
.LBB147_44:
	s_or_b64 exec, exec, s[42:43]
	s_waitcnt vmcnt(0) lgkmcnt(0)
	ds_write_b32 v24, v25 offset:3168
	v_lshlrev_b32_e32 v24, 2, v0
	v_mov_b32_e32 v25, 0
	v_lshl_add_u64 v[10:11], v[10:11], 0, v[24:25]
	s_lshl_b64 s[18:19], s[28:29], 2
	v_mov_b32_e32 v24, s19
	v_subrev_co_u32_e64 v10, s[18:19], s18, v10
	s_nop 1
	v_subb_co_u32_e64 v11, s[18:19], v11, v24, s[18:19]
	s_mov_b64 s[18:19], 0x84
	s_nop 0
	v_lshl_add_u64 v[10:11], v[10:11], 0, s[18:19]
	v_cndmask_b32_e32 v3, v11, v3, vcc
	v_cndmask_b32_e32 v2, v10, v2, vcc
.LBB147_45:
	v_add_u32_e32 v13, 0x11c0, v13
	s_waitcnt lgkmcnt(0)
	s_barrier
	s_and_saveexec_b64 s[18:19], s[6:7]
	s_cbranch_execnz .LBB147_54
; %bb.46:
	s_or_b64 exec, exec, s[18:19]
	s_and_saveexec_b64 s[6:7], s[8:9]
	s_cbranch_execnz .LBB147_55
.LBB147_47:
	s_or_b64 exec, exec, s[6:7]
	s_and_saveexec_b64 s[6:7], s[10:11]
	s_cbranch_execnz .LBB147_56
.LBB147_48:
	s_or_b64 exec, exec, s[6:7]
	s_and_saveexec_b64 s[6:7], s[12:13]
	s_cbranch_execz .LBB147_50
.LBB147_49:
	ds_read_b32 v10, v15
	s_waitcnt lgkmcnt(0)
	ds_write_b32 v12, v10 offset:12
.LBB147_50:
	s_or_b64 exec, exec, s[6:7]
	s_waitcnt lgkmcnt(0)
	s_barrier
	ds_read_b32 v22, v22
	ds_read_b128 v[24:27], v13 offset:128
	ds_read2_b32 v[10:11], v23 offset1:33
	ds_read_b32 v15, v15
	v_cmp_eq_u32_e64 s[6:7], 1, v14
	s_waitcnt lgkmcnt(0)
	v_fma_f32 v22, v22, v24, 0
	v_fmac_f32_e32 v22, v10, v25
	v_fmac_f32_e32 v22, v11, v26
	;; [unrolled: 1-line block ×3, first 2 shown]
	s_barrier
	ds_write_b32 v21, v22
	s_waitcnt lgkmcnt(0)
	s_barrier
	s_and_saveexec_b64 s[8:9], s[6:7]
	s_cbranch_execz .LBB147_52
; %bb.51:
	v_lshlrev_b32_e32 v15, 2, v20
	ds_read2_b32 v[10:11], v15 offset1:1
	ds_read2_b32 v[22:23], v15 offset0:2 offset1:3
	ds_read2_b32 v[24:25], v15 offset0:4 offset1:5
	;; [unrolled: 1-line block ×3, first 2 shown]
	s_waitcnt lgkmcnt(3)
	v_add_f32_e32 v10, v10, v11
	s_waitcnt lgkmcnt(2)
	v_add_f32_e32 v10, v10, v22
	v_add_f32_e32 v10, v10, v23
	s_waitcnt lgkmcnt(1)
	v_add_f32_e32 v10, v10, v24
	;; [unrolled: 3-line block ×3, first 2 shown]
	v_add_f32_e32 v17, v10, v27
.LBB147_52:
	s_or_b64 exec, exec, s[8:9]
	s_lshl_b64 s[8:9], s[40:41], 2
	v_mov_b32_e32 v11, s9
	v_subrev_co_u32_e64 v10, s[8:9], s8, v2
	s_and_b64 vcc, exec, s[14:15]
	s_nop 0
	v_subb_co_u32_e64 v11, s[8:9], v3, v11, s[8:9]
	s_barrier
	s_cbranch_vccnz .LBB147_57
; %bb.53:
	flat_load_dword v22, v[10:11]
	v_mad_u32_u24 v15, v14, 33, v0
	v_lshlrev_b32_e32 v28, 2, v15
	v_lshl_add_u64 v[2:3], v[10:11], 0, s[40:41]
	s_mul_i32 s10, s23, 0x60
	v_add_u32_e32 v23, 16, v14
	v_add_u32_e32 v24, 24, v14
	;; [unrolled: 1-line block ×5, first 2 shown]
	s_waitcnt vmcnt(0) lgkmcnt(0)
	ds_write_b32 v28, v22
	flat_load_dword v22, v[2:3]
	v_lshl_add_u64 v[2:3], v[2:3], 0, s[40:41]
	s_waitcnt vmcnt(0) lgkmcnt(0)
	ds_write_b32 v28, v22 offset:1056
	flat_load_dword v22, v[2:3]
	v_mov_b32_e32 v2, 0x60
	v_mad_u64_u32 v[2:3], s[8:9], s22, v2, v[10:11]
	v_add_u32_e32 v3, s10, v3
	s_waitcnt vmcnt(0) lgkmcnt(0)
	ds_write_b32 v28, v22 offset:2112
	flat_load_dword v2, v[2:3]
	v_add_u32_e32 v22, 8, v14
	s_waitcnt vmcnt(0) lgkmcnt(0)
	ds_write_b32 v28, v2 offset:3168
	s_cbranch_execz .LBB147_58
	s_branch .LBB147_67
.LBB147_54:
	ds_read_b32 v10, v22
	s_waitcnt lgkmcnt(0)
	ds_write_b32 v12, v10
	s_or_b64 exec, exec, s[18:19]
	s_and_saveexec_b64 s[6:7], s[8:9]
	s_cbranch_execz .LBB147_47
.LBB147_55:
	ds_read_b32 v10, v23
	s_waitcnt lgkmcnt(0)
	ds_write_b32 v12, v10 offset:4
	s_or_b64 exec, exec, s[6:7]
	s_and_saveexec_b64 s[6:7], s[10:11]
	s_cbranch_execz .LBB147_48
.LBB147_56:
	ds_read_b32 v10, v23 offset:132
	s_waitcnt lgkmcnt(0)
	ds_write_b32 v12, v10 offset:8
	s_or_b64 exec, exec, s[6:7]
	s_and_saveexec_b64 s[6:7], s[12:13]
	s_cbranch_execnz .LBB147_49
	s_branch .LBB147_50
.LBB147_57:
                                        ; implicit-def: $vgpr15
                                        ; implicit-def: $vgpr22
                                        ; implicit-def: $vgpr27
                                        ; implicit-def: $vgpr23
                                        ; implicit-def: $vgpr25
                                        ; implicit-def: $vgpr24
                                        ; implicit-def: $vgpr26
.LBB147_58:
	v_or_b32_e32 v15, 32, v0
	v_lshlrev_b32_e32 v2, 2, v15
	v_sub_co_u32_e32 v2, vcc, v10, v2
	s_ashr_i32 s29, s28, 31
	s_nop 0
	v_subbrev_co_u32_e32 v3, vcc, 0, v11, vcc
	v_lshl_add_u64 v[2:3], s[28:29], 2, v[2:3]
	v_lshl_add_u64 v[2:3], v[2:3], 0, -4
	v_cmp_gt_i32_e32 vcc, s28, v15
	v_mov_b32_e32 v23, 0
	v_cmp_gt_i32_e64 s[8:9], s28, v14
	v_cndmask_b32_e32 v3, v3, v11, vcc
	v_cndmask_b32_e32 v2, v2, v10, vcc
	v_mov_b32_e32 v22, 0
	s_and_saveexec_b64 s[10:11], s[8:9]
	s_cbranch_execz .LBB147_60
; %bb.59:
	flat_load_dword v22, v[2:3]
.LBB147_60:
	s_or_b64 exec, exec, s[10:11]
	v_mad_u32_u24 v15, v14, 33, v0
	v_lshlrev_b32_e32 v28, 2, v15
	s_waitcnt vmcnt(0) lgkmcnt(0)
	ds_write_b32 v28, v22
	v_add_u32_e32 v22, 8, v14
	v_cmp_gt_i32_e64 s[8:9], s28, v22
	s_and_saveexec_b64 s[10:11], s[8:9]
	s_cbranch_execz .LBB147_62
; %bb.61:
	v_lshl_add_u64 v[24:25], v[2:3], 0, s[40:41]
	flat_load_dword v23, v[24:25]
.LBB147_62:
	s_or_b64 exec, exec, s[10:11]
	s_waitcnt vmcnt(0) lgkmcnt(0)
	ds_write_b32 v28, v23 offset:1056
	v_add_u32_e32 v23, 16, v14
	v_cmp_gt_i32_e64 s[8:9], s28, v23
	v_mov_b32_e32 v29, 0
	v_mov_b32_e32 v24, 0
	s_and_saveexec_b64 s[10:11], s[8:9]
	s_cbranch_execz .LBB147_64
; %bb.63:
	s_lshl_b64 s[8:9], s[22:23], 6
	v_lshl_add_u64 v[24:25], v[2:3], 0, s[8:9]
	flat_load_dword v24, v[24:25]
.LBB147_64:
	s_or_b64 exec, exec, s[10:11]
	s_waitcnt vmcnt(0) lgkmcnt(0)
	ds_write_b32 v28, v24 offset:2112
	v_add_u32_e32 v24, 24, v14
	v_cmp_gt_i32_e64 s[8:9], s28, v24
	s_and_saveexec_b64 s[10:11], s[8:9]
	s_cbranch_execz .LBB147_66
; %bb.65:
	v_mov_b32_e32 v14, 0x60
	v_mad_u64_u32 v[26:27], s[8:9], s22, v14, v[2:3]
	s_mul_i32 s8, s23, 0x60
	s_nop 0
	v_add_u32_e32 v27, s8, v27
	flat_load_dword v29, v[26:27]
.LBB147_66:
	s_or_b64 exec, exec, s[10:11]
	s_waitcnt vmcnt(0) lgkmcnt(0)
	ds_write_b32 v28, v29 offset:3168
	v_lshlrev_b32_e32 v28, 2, v0
	v_mov_b32_e32 v29, 0
	v_lshl_add_u64 v[2:3], v[2:3], 0, v[28:29]
	s_lshl_b64 s[8:9], s[28:29], 2
	v_mov_b32_e32 v0, s9
	v_subrev_co_u32_e64 v2, s[8:9], s8, v2
	v_add_u32_e32 v27, 0x108, v15
	s_nop 0
	v_subb_co_u32_e64 v3, s[8:9], v3, v0, s[8:9]
	s_mov_b64 s[8:9], 0x84
	s_nop 0
	v_lshl_add_u64 v[2:3], v[2:3], 0, s[8:9]
	v_add_u32_e32 v25, 0x210, v15
	v_add_u32_e32 v26, 0x318, v15
	v_cndmask_b32_e32 v11, v3, v11, vcc
	v_cndmask_b32_e32 v10, v2, v10, vcc
.LBB147_67:
	s_waitcnt lgkmcnt(0)
	s_barrier
	v_lshlrev_b32_e32 v0, 2, v15
	ds_read_b32 v28, v1 offset:4544
	v_lshlrev_b32_e32 v1, 2, v27
	ds_read_b32 v27, v0
	ds_read_b32 v29, v1
	v_lshlrev_b32_e32 v0, 2, v22
	v_lshlrev_b32_e32 v1, 2, v25
	;; [unrolled: 1-line block ×5, first 2 shown]
	s_waitcnt lgkmcnt(1)
	v_fma_f32 v27, v27, v28, 0
	ds_read_b32 v22, v0 offset:4544
	ds_read_b32 v23, v1
	ds_read_b32 v24, v2 offset:4544
	ds_read_b32 v25, v3
	ds_read_b32 v26, v14 offset:4544
	ds_read2_b32 v[14:15], v12 offset1:1
	ds_read_b128 v[0:3], v13 offset:128
	ds_read2_b32 v[12:13], v12 offset0:2 offset1:3
	s_waitcnt lgkmcnt(7)
	v_fmac_f32_e32 v27, v29, v22
	s_waitcnt lgkmcnt(5)
	v_fmac_f32_e32 v27, v23, v24
	;; [unrolled: 2-line block ×3, first 2 shown]
	s_waitcnt lgkmcnt(0)
	s_barrier
	ds_write_b32 v21, v27
	s_waitcnt lgkmcnt(0)
	s_barrier
	s_and_saveexec_b64 s[8:9], s[6:7]
	s_cbranch_execz .LBB147_69
; %bb.68:
	v_lshlrev_b32_e32 v28, 2, v20
	ds_read2_b32 v[22:23], v28 offset1:1
	ds_read2_b32 v[24:25], v28 offset0:2 offset1:3
	ds_read2_b32 v[26:27], v28 offset0:4 offset1:5
	;; [unrolled: 1-line block ×3, first 2 shown]
	s_waitcnt lgkmcnt(3)
	v_add_f32_e32 v17, v17, v22
	v_add_f32_e32 v17, v17, v23
	s_waitcnt lgkmcnt(2)
	v_add_f32_e32 v17, v17, v24
	v_add_f32_e32 v17, v17, v25
	;; [unrolled: 3-line block ×4, first 2 shown]
.LBB147_69:
	s_or_b64 exec, exec, s[8:9]
	v_fma_f32 v0, v14, v0, 0
	v_fmac_f32_e32 v0, v15, v1
	v_fmac_f32_e32 v0, v12, v2
	;; [unrolled: 1-line block ×3, first 2 shown]
	s_barrier
	ds_write_b32 v21, v0
	s_waitcnt lgkmcnt(0)
	s_barrier
	s_and_saveexec_b64 s[6:7], s[4:5]
	s_cbranch_execz .LBB147_71
; %bb.70:
	v_lshlrev_b32_e32 v14, 2, v20
	ds_read2_b32 v[0:1], v14 offset1:1
	ds_read2_b32 v[2:3], v14 offset0:2 offset1:3
	ds_read2_b32 v[12:13], v14 offset0:4 offset1:5
	;; [unrolled: 1-line block ×3, first 2 shown]
	s_waitcnt lgkmcnt(3)
	v_add_f32_e32 v0, v17, v0
	v_add_f32_e32 v0, v0, v1
	s_waitcnt lgkmcnt(2)
	v_add_f32_e32 v0, v0, v2
	v_add_f32_e32 v0, v0, v3
	;; [unrolled: 3-line block ×4, first 2 shown]
.LBB147_71:
	s_or_b64 exec, exec, s[6:7]
	s_mul_hi_u32 s4, s3, s26
	s_mul_i32 s33, s33, s26
	s_add_i32 s4, s4, s33
	s_mul_i32 s6, s3, s26
	s_mul_i32 s4, s4, s27
	s_mul_hi_u32 s5, s6, s27
	s_add_i32 s5, s5, s4
	s_mul_i32 s4, s6, s27
	s_lshl_b64 s[4:5], s[4:5], 2
	s_add_u32 s6, s34, s4
	s_mul_i32 s4, s2, s3
	s_addc_u32 s7, s35, s5
	s_ashr_i32 s5, s4, 31
	s_lshl_b64 s[4:5], s[4:5], 2
	s_add_u32 s6, s6, s4
	v_cmp_le_i32_e32 vcc, s28, v18
	s_addc_u32 s7, s7, s5
	s_and_b64 vcc, s[38:39], vcc
	s_cmp_lt_i32 s2, 1
	v_lshlrev_b32_e32 v0, 2, v18
	s_barrier
	s_cbranch_scc1 .LBB147_78
; %bb.72:
	s_mul_i32 s3, s30, s21
	s_mul_hi_u32 s4, s30, s20
	s_add_i32 s3, s4, s3
	s_mul_i32 s4, s31, s20
	s_add_i32 s5, s3, s4
	s_mul_i32 s4, s30, s20
	s_lshl_b64 s[4:5], s[4:5], 2
	v_mov_b32_e32 v1, s5
	v_subrev_co_u32_e64 v2, s[4:5], s4, v6
	v_mov_b32_e32 v6, s37
	s_nop 0
	v_subb_co_u32_e64 v3, s[4:5], v7, v1, s[4:5]
	v_subrev_co_u32_e64 v10, s[4:5], s36, v10
	v_lshlrev_b32_e32 v1, 2, v16
	s_nop 0
	v_subb_co_u32_e64 v11, s[4:5], v11, v6, s[4:5]
	v_lshlrev_b64 v[6:7], 2, v[8:9]
	v_sub_co_u32_e64 v6, s[4:5], v10, v6
	s_ashr_i32 s29, s28, 31
	s_nop 0
	v_subb_co_u32_e64 v7, s[4:5], v11, v7, s[4:5]
	v_mad_u64_u32 v[8:9], s[4:5], v1, s22, 0
	v_mov_b32_e32 v10, v9
	v_mad_u64_u32 v[10:11], s[4:5], v1, s23, v[10:11]
	v_mov_b32_e32 v9, v10
	s_movk_i32 s4, 0xff80
	v_lshl_add_u64 v[6:7], v[8:9], 2, v[6:7]
	s_mov_b32 s5, -1
	v_lshl_add_u64 v[8:9], v[6:7], 0, s[4:5]
	v_lshl_add_u64 v[6:7], s[28:29], 2, v[8:9]
	v_lshl_add_u64 v[10:11], v[6:7], 0, -4
	v_mov_b32_e32 v7, 0
	v_mov_b32_e32 v1, v7
	v_lshl_add_u64 v[8:9], v[8:9], 0, v[0:1]
	v_lshrrev_b32_e32 v6, 2, v19
	v_and_b32_e32 v21, 48, v18
	v_and_b32_e32 v20, 15, v18
	v_cndmask_b32_e32 v9, v9, v11, vcc
	v_and_b32_e32 v6, 0x7ffc, v6
	v_lshlrev_b32_e32 v11, 2, v21
	s_movk_i32 s3, 0x10c
	v_or_b32_e32 v12, 60, v0
	v_and_b32_e32 v13, 0x1fff0, v19
	v_mad_u32_u24 v11, v20, s3, v11
	v_mad_u32_u24 v12, v20, s3, v12
	;; [unrolled: 1-line block ×4, first 2 shown]
	s_mul_i32 s3, s23, 12
	s_mul_hi_u32 s14, s22, 12
	s_add_i32 s15, s14, s3
	s_mul_i32 s3, s23, 0x48
	s_mul_hi_u32 s26, s22, 0x48
	s_add_i32 s27, s26, s3
	;; [unrolled: 3-line block ×8, first 2 shown]
	s_mul_i32 s3, s23, 0xc4
	s_mul_hi_u32 s33, s22, 0xc4
	s_movk_i32 s8, 0x430
	s_add_i32 s43, s33, s3
	s_mul_i32 s3, s23, 0x84
	s_mul_hi_u32 s33, s22, 0x84
	v_mov_b32_e32 v14, 0x10c0
	v_mad_u32_u24 v15, v16, s8, v0
	s_lshl_b64 s[8:9], s[22:23], 2
	s_lshl_b64 s[10:11], s[22:23], 3
	;; [unrolled: 1-line block ×4, first 2 shown]
	s_add_i32 s45, s33, s3
	s_mul_i32 s3, s23, 0x44
	s_mul_hi_u32 s23, s22, 0x44
	v_cndmask_b32_e32 v8, v8, v10, vcc
	v_add_u32_e32 v1, 0x10c0, v0
	v_add_u32_e32 v10, 0x11c0, v0
	v_cmp_gt_u32_e64 s[4:5], 64, v19
	v_lshl_add_u32 v14, v16, 4, v14
	s_mul_i32 s14, s22, 12
	s_mul_i32 s26, s22, 0x48
	;; [unrolled: 1-line block ×10, first 2 shown]
	s_add_i32 s23, s23, s3
	s_mulk_i32 s22, 0x44
	v_or_b32_e32 v19, v21, v20
	s_mov_b32 s3, 0
	s_branch .LBB147_74
.LBB147_73:                             ;   in Loop: Header=BB147_74 Depth=1
	s_or_b64 exec, exec, s[46:47]
	v_fmac_f32_e32 v17, v20, v24
	v_fmac_f32_e32 v17, v22, v25
	;; [unrolled: 1-line block ×15, first 2 shown]
	s_add_i32 s3, s3, 64
	s_add_i32 s2, s2, -1
	v_fmac_f32_e32 v17, v44, v51
	s_cmp_eq_u32 s2, 0
	v_lshl_add_u64 v[8:9], v[8:9], 0, s[12:13]
	s_barrier
	s_cbranch_scc1 .LBB147_78
.LBB147_74:                             ; =>This Inner Loop Header: Depth=1
	s_and_saveexec_b64 s[46:47], s[16:17]
	s_cbranch_execz .LBB147_76
; %bb.75:                               ;   in Loop: Header=BB147_74 Depth=1
	s_mul_i32 s33, s3, s21
	s_mul_hi_u32 s48, s3, s20
	s_add_i32 s49, s48, s33
	s_mul_i32 s48, s3, s20
	v_lshl_add_u64 v[20:21], s[48:49], 2, v[2:3]
	flat_load_dword v6, v[20:21]
	s_waitcnt vmcnt(0) lgkmcnt(0)
	ds_write_b32 v1, v6
.LBB147_76:                             ;   in Loop: Header=BB147_74 Depth=1
	s_or_b64 exec, exec, s[46:47]
	s_waitcnt lgkmcnt(0)
	s_barrier
	flat_load_dword v20, v[8:9]
	v_lshl_add_u64 v[24:25], v[8:9], 0, s[8:9]
	v_lshl_add_u64 v[26:27], v[8:9], 0, s[10:11]
	flat_load_dword v22, v[24:25]
	flat_load_dword v21, v[26:27]
	v_lshl_add_u64 v[24:25], v[8:9], 0, s[14:15]
	flat_load_dword v23, v[24:25]
	ds_read_b32 v6, v10
	ds_read_b32 v24, v14
	v_lshl_add_u64 v[32:33], v[8:9], 0, s[18:19]
	v_lshl_add_u64 v[34:35], v[8:9], 0, s[22:23]
	v_lshl_add_u64 v[36:37], v[8:9], 0, s[26:27]
	v_lshl_add_u64 v[38:39], v[8:9], 0, s[28:29]
	v_lshl_add_u64 v[40:41], v[8:9], 0, s[24:25]
	v_lshl_add_u64 v[42:43], v[8:9], 0, s[44:45]
	v_lshl_add_u64 v[44:45], v[8:9], 0, s[30:31]
	v_lshl_add_u64 v[46:47], v[8:9], 0, s[34:35]
	v_lshl_add_u64 v[56:57], v[8:9], 0, s[36:37]
	v_lshl_add_u64 v[58:59], v[8:9], 0, s[42:43]
	v_lshl_add_u64 v[60:61], v[8:9], 0, s[38:39]
	v_lshl_add_u64 v[62:63], v[8:9], 0, s[40:41]
	s_waitcnt vmcnt(0) lgkmcnt(0)
	v_mul_f32_e32 v25, v20, v6
	ds_write_b32 v15, v25
	v_mul_f32_e32 v26, v22, v6
	v_mul_f32_e32 v27, v21, v6
	ds_read_b32 v25, v14 offset:4
	ds_write_b32 v15, v26 offset:268
	v_mul_f32_e32 v6, v23, v6
	ds_read_b32 v26, v14 offset:8
	ds_write_b32 v15, v27 offset:536
	ds_read_b32 v27, v14 offset:12
	ds_write_b32 v15, v6 offset:804
	s_waitcnt lgkmcnt(0)
	s_barrier
	ds_read2_b32 v[48:49], v13 offset1:1
	ds_read2_b32 v[50:51], v13 offset0:2 offset1:3
	s_waitcnt lgkmcnt(0)
	s_barrier
	flat_load_dword v31, v[32:33]
	flat_load_dword v30, v[34:35]
	;; [unrolled: 1-line block ×4, first 2 shown]
	ds_read_b32 v6, v10
	ds_read_b32 v32, v14 offset:64
	s_waitcnt vmcnt(0) lgkmcnt(0)
	v_mul_f32_e32 v33, v31, v6
	v_mul_f32_e32 v34, v30, v6
	ds_write_b32 v15, v33
	v_mul_f32_e32 v35, v29, v6
	ds_read_b32 v33, v14 offset:68
	ds_write_b32 v15, v34 offset:268
	v_mul_f32_e32 v6, v28, v6
	ds_read_b32 v34, v14 offset:72
	ds_write_b32 v15, v35 offset:536
	ds_read_b32 v35, v14 offset:76
	ds_write_b32 v15, v6 offset:804
	s_waitcnt lgkmcnt(0)
	s_barrier
	ds_read2_b32 v[52:53], v13 offset1:1
	ds_read2_b32 v[54:55], v13 offset0:2 offset1:3
	s_waitcnt lgkmcnt(0)
	s_barrier
	flat_load_dword v39, v[40:41]
	flat_load_dword v38, v[42:43]
	;; [unrolled: 1-line block ×4, first 2 shown]
	ds_read_b32 v6, v10
	ds_read_b32 v40, v14 offset:128
	s_waitcnt vmcnt(0) lgkmcnt(0)
	v_mul_f32_e32 v41, v39, v6
	v_mul_f32_e32 v42, v38, v6
	ds_write_b32 v15, v41
	v_mul_f32_e32 v43, v37, v6
	ds_read_b32 v41, v14 offset:132
	ds_write_b32 v15, v42 offset:268
	v_mul_f32_e32 v6, v36, v6
	ds_read_b32 v42, v14 offset:136
	ds_write_b32 v15, v43 offset:536
	ds_read_b32 v43, v14 offset:140
	ds_write_b32 v15, v6 offset:804
	s_waitcnt lgkmcnt(0)
	s_barrier
	ds_read2_b32 v[64:65], v13 offset1:1
	ds_read2_b32 v[66:67], v13 offset0:2 offset1:3
	s_waitcnt lgkmcnt(0)
	s_barrier
	flat_load_dword v47, v[56:57]
	flat_load_dword v46, v[58:59]
	;; [unrolled: 1-line block ×4, first 2 shown]
	v_add_f32_e32 v6, 0, v48
	v_add_f32_e32 v48, 0, v52
	;; [unrolled: 1-line block ×6, first 2 shown]
	ds_read_b32 v49, v10
	ds_read_b32 v48, v14 offset:192
	v_add_f32_e32 v6, v6, v50
	v_add_f32_e32 v50, 0, v64
	;; [unrolled: 1-line block ×6, first 2 shown]
	s_waitcnt vmcnt(0) lgkmcnt(0)
	v_mul_f32_e32 v50, v47, v49
	v_mul_f32_e32 v51, v46, v49
	ds_write_b32 v15, v50
	v_mul_f32_e32 v52, v45, v49
	v_mul_f32_e32 v53, v44, v49
	ds_read_b32 v49, v14 offset:196
	ds_write_b32 v15, v51 offset:268
	ds_read_b32 v50, v14 offset:200
	ds_write_b32 v15, v52 offset:536
	;; [unrolled: 2-line block ×3, first 2 shown]
	s_waitcnt lgkmcnt(0)
	s_barrier
	ds_read2_b32 v[52:53], v13 offset1:1
	ds_read2_b32 v[54:55], v13 offset0:2 offset1:3
	s_waitcnt lgkmcnt(0)
	s_barrier
	ds_write2_b32 v18, v6, v56 offset1:16
	v_add_f32_e32 v6, 0, v52
	v_add_f32_e32 v6, v6, v53
	;; [unrolled: 1-line block ×4, first 2 shown]
	ds_write2_b32 v18, v57, v6 offset0:32 offset1:48
	s_waitcnt lgkmcnt(0)
	s_barrier
	s_and_saveexec_b64 s[46:47], s[4:5]
	s_cbranch_execz .LBB147_73
; %bb.77:                               ;   in Loop: Header=BB147_74 Depth=1
	ds_read2_b32 v[52:53], v11 offset1:1
	ds_read2_b32 v[54:55], v11 offset0:2 offset1:3
	ds_read2_b32 v[56:57], v11 offset0:4 offset1:5
	;; [unrolled: 1-line block ×3, first 2 shown]
	s_waitcnt lgkmcnt(3)
	v_add_f32_e32 v6, v52, v53
	s_waitcnt lgkmcnt(2)
	v_add_f32_e32 v6, v6, v54
	v_add_f32_e32 v6, v6, v55
	ds_read2_b32 v[52:53], v11 offset0:8 offset1:9
	s_waitcnt lgkmcnt(2)
	v_add_f32_e32 v6, v6, v56
	v_add_f32_e32 v6, v6, v57
	s_waitcnt lgkmcnt(1)
	v_add_f32_e32 v6, v6, v58
	v_add_f32_e32 v6, v6, v59
	ds_read2_b32 v[54:55], v11 offset0:10 offset1:11
	ds_read2_b32 v[56:57], v11 offset0:12 offset1:13
	ds_read_b32 v58, v11 offset:56
	s_waitcnt lgkmcnt(3)
	v_add_f32_e32 v6, v6, v52
	v_add_f32_e32 v6, v6, v53
	s_waitcnt lgkmcnt(2)
	v_add_f32_e32 v6, v6, v54
	ds_read_b32 v52, v12
	v_add_f32_e32 v6, v6, v55
	s_waitcnt lgkmcnt(2)
	v_add_f32_e32 v6, v6, v56
	v_add_f32_e32 v6, v6, v57
	s_waitcnt lgkmcnt(1)
	v_add_f32_e32 v6, v6, v58
	s_waitcnt lgkmcnt(0)
	v_add_f32_e32 v54, v6, v52
	v_add_u32_e32 v6, s3, v19
	v_lshl_add_u64 v[52:53], v[6:7], 2, s[6:7]
	global_store_dword v[52:53], v54, off
	s_branch .LBB147_73
.LBB147_78:
	s_movk_i32 s2, 0x10c
	s_or_b64 s[0:1], s[0:1], vcc
	v_mad_u32_u24 v1, v16, s2, v0
	s_xor_b64 s[0:1], s[0:1], -1
	ds_write_b32 v1, v17
	s_waitcnt lgkmcnt(0)
	s_barrier
	s_and_saveexec_b64 s[2:3], s[0:1]
	s_cbranch_execz .LBB147_80
; %bb.79:
	ds_read2_b32 v[2:3], v0 offset1:67
	ds_read2_b32 v[0:1], v0 offset0:134 offset1:201
	s_waitcnt lgkmcnt(1)
	v_add_f32_e32 v2, v2, v3
	s_waitcnt lgkmcnt(0)
	v_add_f32_e32 v0, v2, v0
	v_add_f32_e32 v2, v0, v1
	v_lshl_add_u64 v[0:1], v[4:5], 2, s[6:7]
	global_store_dword v[0:1], v2, off
.LBB147_80:
	s_endpgm
	.section	.rodata,"a",@progbits
	.p2align	6, 0x0
	.amdhsa_kernel _ZL26rocblas_hemvn_kernel_lowerILb0ELi64ELi4ELi33ELi32ELi16ElPKfPKS1_PfEviT6_lT7_lT5_lS6_lS7_lS5_lT8_i
		.amdhsa_group_segment_fixed_size 4800
		.amdhsa_private_segment_fixed_size 0
		.amdhsa_kernarg_size 376
		.amdhsa_user_sgpr_count 2
		.amdhsa_user_sgpr_dispatch_ptr 0
		.amdhsa_user_sgpr_queue_ptr 0
		.amdhsa_user_sgpr_kernarg_segment_ptr 1
		.amdhsa_user_sgpr_dispatch_id 0
		.amdhsa_user_sgpr_kernarg_preload_length 0
		.amdhsa_user_sgpr_kernarg_preload_offset 0
		.amdhsa_user_sgpr_private_segment_size 0
		.amdhsa_uses_dynamic_stack 0
		.amdhsa_enable_private_segment 0
		.amdhsa_system_sgpr_workgroup_id_x 1
		.amdhsa_system_sgpr_workgroup_id_y 0
		.amdhsa_system_sgpr_workgroup_id_z 1
		.amdhsa_system_sgpr_workgroup_info 0
		.amdhsa_system_vgpr_workitem_id 1
		.amdhsa_next_free_vgpr 68
		.amdhsa_next_free_sgpr 50
		.amdhsa_accum_offset 68
		.amdhsa_reserve_vcc 1
		.amdhsa_float_round_mode_32 0
		.amdhsa_float_round_mode_16_64 0
		.amdhsa_float_denorm_mode_32 3
		.amdhsa_float_denorm_mode_16_64 3
		.amdhsa_dx10_clamp 1
		.amdhsa_ieee_mode 1
		.amdhsa_fp16_overflow 0
		.amdhsa_tg_split 0
		.amdhsa_exception_fp_ieee_invalid_op 0
		.amdhsa_exception_fp_denorm_src 0
		.amdhsa_exception_fp_ieee_div_zero 0
		.amdhsa_exception_fp_ieee_overflow 0
		.amdhsa_exception_fp_ieee_underflow 0
		.amdhsa_exception_fp_ieee_inexact 0
		.amdhsa_exception_int_div_zero 0
	.end_amdhsa_kernel
	.section	.text._ZL26rocblas_hemvn_kernel_lowerILb0ELi64ELi4ELi33ELi32ELi16ElPKfPKS1_PfEviT6_lT7_lT5_lS6_lS7_lS5_lT8_i,"axG",@progbits,_ZL26rocblas_hemvn_kernel_lowerILb0ELi64ELi4ELi33ELi32ELi16ElPKfPKS1_PfEviT6_lT7_lT5_lS6_lS7_lS5_lT8_i,comdat
.Lfunc_end147:
	.size	_ZL26rocblas_hemvn_kernel_lowerILb0ELi64ELi4ELi33ELi32ELi16ElPKfPKS1_PfEviT6_lT7_lT5_lS6_lS7_lS5_lT8_i, .Lfunc_end147-_ZL26rocblas_hemvn_kernel_lowerILb0ELi64ELi4ELi33ELi32ELi16ElPKfPKS1_PfEviT6_lT7_lT5_lS6_lS7_lS5_lT8_i
                                        ; -- End function
	.section	.AMDGPU.csdata,"",@progbits
; Kernel info:
; codeLenInByte = 5712
; NumSgprs: 56
; NumVgprs: 68
; NumAgprs: 0
; TotalNumVgprs: 68
; ScratchSize: 0
; MemoryBound: 0
; FloatMode: 240
; IeeeMode: 1
; LDSByteSize: 4800 bytes/workgroup (compile time only)
; SGPRBlocks: 6
; VGPRBlocks: 8
; NumSGPRsForWavesPerEU: 56
; NumVGPRsForWavesPerEU: 68
; AccumOffset: 68
; Occupancy: 7
; WaveLimiterHint : 1
; COMPUTE_PGM_RSRC2:SCRATCH_EN: 0
; COMPUTE_PGM_RSRC2:USER_SGPR: 2
; COMPUTE_PGM_RSRC2:TRAP_HANDLER: 0
; COMPUTE_PGM_RSRC2:TGID_X_EN: 1
; COMPUTE_PGM_RSRC2:TGID_Y_EN: 0
; COMPUTE_PGM_RSRC2:TGID_Z_EN: 1
; COMPUTE_PGM_RSRC2:TIDIG_COMP_CNT: 1
; COMPUTE_PGM_RSRC3_GFX90A:ACCUM_OFFSET: 16
; COMPUTE_PGM_RSRC3_GFX90A:TG_SPLIT: 0
	.section	.text._ZL36rocblas_hemvn_kernel_lower_block_sumILi64ElPKfPKPffEviT1_lS5_lT2_lT0_lPT3_i,"axG",@progbits,_ZL36rocblas_hemvn_kernel_lower_block_sumILi64ElPKfPKPffEviT1_lS5_lT2_lT0_lPT3_i,comdat
	.globl	_ZL36rocblas_hemvn_kernel_lower_block_sumILi64ElPKfPKPffEviT1_lS5_lT2_lT0_lPT3_i ; -- Begin function _ZL36rocblas_hemvn_kernel_lower_block_sumILi64ElPKfPKPffEviT1_lS5_lT2_lT0_lPT3_i
	.p2align	8
	.type	_ZL36rocblas_hemvn_kernel_lower_block_sumILi64ElPKfPKPffEviT1_lS5_lT2_lT0_lPT3_i,@function
_ZL36rocblas_hemvn_kernel_lower_block_sumILi64ElPKfPKPffEviT1_lS5_lT2_lT0_lPT3_i: ; @_ZL36rocblas_hemvn_kernel_lower_block_sumILi64ElPKfPKPffEviT1_lS5_lT2_lT0_lPT3_i
; %bb.0:
	s_load_dwordx8 s[4:11], s[0:1], 0x8
	s_mov_b32 s12, s3
	s_waitcnt lgkmcnt(0)
	s_mul_i32 s3, s3, s7
	s_mul_hi_u32 s7, s12, s6
	s_add_i32 s7, s7, s3
	s_mul_i32 s6, s12, s6
	s_lshl_b64 s[6:7], s[6:7], 2
	s_add_u32 s4, s4, s6
	s_addc_u32 s5, s5, s7
	s_load_dword s3, s[4:5], 0x0
	s_mul_i32 s4, s12, s11
	s_mul_hi_u32 s5, s12, s10
	s_add_i32 s5, s5, s4
	s_mul_i32 s4, s12, s10
	s_lshl_b64 s[4:5], s[4:5], 2
	s_add_u32 s4, s8, s4
	s_addc_u32 s5, s9, s5
	s_load_dword s20, s[4:5], 0x0
	s_waitcnt lgkmcnt(0)
	v_cmp_eq_f32_e64 s[4:5], s3, 0
	v_cmp_eq_f32_e64 s[6:7], s20, 1.0
	s_and_b64 s[4:5], s[4:5], s[6:7]
	s_and_b64 vcc, exec, s[4:5]
	s_cbranch_vccnz .LBB148_19
; %bb.1:
	s_load_dwordx2 s[8:9], s[0:1], 0x28
	s_mov_b32 s13, 0
	s_lshl_b64 s[10:11], s[12:13], 3
	s_load_dword s14, s[0:1], 0x0
	s_load_dwordx4 s[4:7], s[0:1], 0x30
	v_lshl_or_b32 v2, s2, 6, v0
	s_waitcnt lgkmcnt(0)
	s_add_u32 s8, s8, s10
	s_addc_u32 s9, s9, s11
	s_load_dwordx2 s[8:9], s[8:9], 0x0
	s_lshl_b64 s[4:5], s[4:5], 2
	v_cmp_neq_f32_e64 s[10:11], s3, 0
	s_waitcnt lgkmcnt(0)
	s_add_u32 s8, s8, s4
	s_addc_u32 s9, s9, s5
	s_and_b64 vcc, exec, s[10:11]
	v_cmp_gt_i32_e64 s[4:5], s14, v2
	s_cbranch_vccnz .LBB148_6
; %bb.2:
	s_mov_b64 s[16:17], 0
	s_mov_b64 s[10:11], 0
                                        ; implicit-def: $vgpr3
                                        ; implicit-def: $vgpr0_vgpr1
	s_and_saveexec_b64 s[18:19], s[4:5]
	s_cbranch_execz .LBB148_7
; %bb.3:
	v_ashrrev_i32_e32 v0, 31, v2
	v_cmp_eq_f32_e64 s[4:5], s20, 0
	v_mul_lo_u32 v4, v2, s7
	v_mul_lo_u32 v5, v0, s6
	v_mad_u64_u32 v[0:1], s[10:11], v2, s6, 0
	v_mov_b32_e32 v3, 0
	v_add3_u32 v1, v1, v4, v5
	s_and_b64 vcc, exec, s[4:5]
	s_cbranch_vccnz .LBB148_5
; %bb.4:
	v_lshl_add_u64 v[4:5], v[0:1], 2, s[8:9]
	global_load_dword v3, v[4:5], off
	s_waitcnt vmcnt(0)
	v_mul_f32_e32 v3, s20, v3
.LBB148_5:
	s_mov_b64 s[10:11], exec
	s_or_b64 exec, exec, s[18:19]
	s_and_b64 vcc, exec, s[16:17]
	s_cbranch_vccnz .LBB148_8
	s_branch .LBB148_17
.LBB148_6:
	s_mov_b64 s[10:11], 0
                                        ; implicit-def: $vgpr3
                                        ; implicit-def: $vgpr0_vgpr1
	s_cbranch_execnz .LBB148_8
	s_branch .LBB148_17
.LBB148_7:
	s_or_b64 exec, exec, s[18:19]
	s_and_b64 vcc, exec, s[16:17]
	s_cbranch_vccz .LBB148_17
.LBB148_8:
	v_cmp_gt_i32_e32 vcc, s14, v2
                                        ; implicit-def: $vgpr3
                                        ; implicit-def: $vgpr0_vgpr1
	s_and_saveexec_b64 s[4:5], vcc
	s_cbranch_execz .LBB148_16
; %bb.9:
	s_load_dword s13, s[0:1], 0x58
	v_mov_b32_e32 v4, 0
	s_waitcnt lgkmcnt(0)
	s_cmp_ge_i32 s2, s13
	s_cbranch_scc1 .LBB148_12
; %bb.10:
	s_ashr_i32 s15, s14, 31
	s_mul_i32 s16, s2, s14
	s_load_dwordx2 s[0:1], s[0:1], 0x48
	v_add_u32_e32 v0, s16, v2
	s_mul_hi_u32 s16, s14, s12
	s_mul_i32 s17, s15, s12
	s_add_i32 s16, s16, s17
	s_mul_i32 s12, s14, s12
	s_mul_i32 s16, s16, s13
	s_mul_hi_u32 s17, s12, s13
	s_add_i32 s17, s17, s16
	s_mul_i32 s16, s12, s13
	s_lshl_b64 s[16:17], s[16:17], 2
	s_waitcnt lgkmcnt(0)
	s_add_u32 s0, s0, s16
	v_ashrrev_i32_e32 v1, 31, v0
	s_addc_u32 s1, s1, s17
	v_lshl_add_u64 v[0:1], v[0:1], 2, s[0:1]
	s_lshl_b64 s[0:1], s[14:15], 2
	v_mov_b32_e32 v4, 0
.LBB148_11:                             ; =>This Inner Loop Header: Depth=1
	global_load_dword v3, v[0:1], off
	s_add_i32 s2, s2, 1
	v_lshl_add_u64 v[0:1], v[0:1], 0, s[0:1]
	s_cmp_ge_i32 s2, s13
	s_waitcnt vmcnt(0)
	v_add_f32_e32 v4, v4, v3
	s_cbranch_scc0 .LBB148_11
.LBB148_12:
	v_cmp_eq_f32_e64 s[0:1], s20, 0
	v_ashrrev_i32_e32 v0, 31, v2
	s_and_b64 vcc, exec, s[0:1]
	v_mul_lo_u32 v5, v2, s7
	v_mul_lo_u32 v6, v0, s6
	s_cbranch_vccz .LBB148_20
; %bb.13:
	v_mad_u64_u32 v[0:1], s[0:1], v2, s6, 0
	v_mul_f32_e32 v3, s3, v4
	v_add3_u32 v1, v1, v5, v6
	s_cbranch_execnz .LBB148_15
.LBB148_14:
	v_mad_u64_u32 v[0:1], s[0:1], v2, s6, 0
	v_add3_u32 v1, v1, v5, v6
	v_lshl_add_u64 v[2:3], v[0:1], 2, s[8:9]
	global_load_dword v2, v[2:3], off
	s_waitcnt vmcnt(0)
	v_mul_f32_e32 v3, s20, v2
	v_fmac_f32_e32 v3, s3, v4
.LBB148_15:
	s_or_b64 s[10:11], s[10:11], exec
.LBB148_16:
	s_or_b64 exec, exec, s[4:5]
.LBB148_17:
	s_and_saveexec_b64 s[0:1], s[10:11]
	s_cbranch_execz .LBB148_19
; %bb.18:
	v_lshl_add_u64 v[0:1], v[0:1], 2, s[8:9]
	global_store_dword v[0:1], v3, off
.LBB148_19:
	s_endpgm
.LBB148_20:
                                        ; implicit-def: $vgpr3
                                        ; implicit-def: $vgpr0_vgpr1
	s_branch .LBB148_14
	.section	.rodata,"a",@progbits
	.p2align	6, 0x0
	.amdhsa_kernel _ZL36rocblas_hemvn_kernel_lower_block_sumILi64ElPKfPKPffEviT1_lS5_lT2_lT0_lPT3_i
		.amdhsa_group_segment_fixed_size 0
		.amdhsa_private_segment_fixed_size 0
		.amdhsa_kernarg_size 344
		.amdhsa_user_sgpr_count 2
		.amdhsa_user_sgpr_dispatch_ptr 0
		.amdhsa_user_sgpr_queue_ptr 0
		.amdhsa_user_sgpr_kernarg_segment_ptr 1
		.amdhsa_user_sgpr_dispatch_id 0
		.amdhsa_user_sgpr_kernarg_preload_length 0
		.amdhsa_user_sgpr_kernarg_preload_offset 0
		.amdhsa_user_sgpr_private_segment_size 0
		.amdhsa_uses_dynamic_stack 0
		.amdhsa_enable_private_segment 0
		.amdhsa_system_sgpr_workgroup_id_x 1
		.amdhsa_system_sgpr_workgroup_id_y 0
		.amdhsa_system_sgpr_workgroup_id_z 1
		.amdhsa_system_sgpr_workgroup_info 0
		.amdhsa_system_vgpr_workitem_id 0
		.amdhsa_next_free_vgpr 7
		.amdhsa_next_free_sgpr 21
		.amdhsa_accum_offset 8
		.amdhsa_reserve_vcc 1
		.amdhsa_float_round_mode_32 0
		.amdhsa_float_round_mode_16_64 0
		.amdhsa_float_denorm_mode_32 3
		.amdhsa_float_denorm_mode_16_64 3
		.amdhsa_dx10_clamp 1
		.amdhsa_ieee_mode 1
		.amdhsa_fp16_overflow 0
		.amdhsa_tg_split 0
		.amdhsa_exception_fp_ieee_invalid_op 0
		.amdhsa_exception_fp_denorm_src 0
		.amdhsa_exception_fp_ieee_div_zero 0
		.amdhsa_exception_fp_ieee_overflow 0
		.amdhsa_exception_fp_ieee_underflow 0
		.amdhsa_exception_fp_ieee_inexact 0
		.amdhsa_exception_int_div_zero 0
	.end_amdhsa_kernel
	.section	.text._ZL36rocblas_hemvn_kernel_lower_block_sumILi64ElPKfPKPffEviT1_lS5_lT2_lT0_lPT3_i,"axG",@progbits,_ZL36rocblas_hemvn_kernel_lower_block_sumILi64ElPKfPKPffEviT1_lS5_lT2_lT0_lPT3_i,comdat
.Lfunc_end148:
	.size	_ZL36rocblas_hemvn_kernel_lower_block_sumILi64ElPKfPKPffEviT1_lS5_lT2_lT0_lPT3_i, .Lfunc_end148-_ZL36rocblas_hemvn_kernel_lower_block_sumILi64ElPKfPKPffEviT1_lS5_lT2_lT0_lPT3_i
                                        ; -- End function
	.section	.AMDGPU.csdata,"",@progbits
; Kernel info:
; codeLenInByte = 664
; NumSgprs: 27
; NumVgprs: 7
; NumAgprs: 0
; TotalNumVgprs: 7
; ScratchSize: 0
; MemoryBound: 0
; FloatMode: 240
; IeeeMode: 1
; LDSByteSize: 0 bytes/workgroup (compile time only)
; SGPRBlocks: 3
; VGPRBlocks: 0
; NumSGPRsForWavesPerEU: 27
; NumVGPRsForWavesPerEU: 7
; AccumOffset: 8
; Occupancy: 8
; WaveLimiterHint : 1
; COMPUTE_PGM_RSRC2:SCRATCH_EN: 0
; COMPUTE_PGM_RSRC2:USER_SGPR: 2
; COMPUTE_PGM_RSRC2:TRAP_HANDLER: 0
; COMPUTE_PGM_RSRC2:TGID_X_EN: 1
; COMPUTE_PGM_RSRC2:TGID_Y_EN: 0
; COMPUTE_PGM_RSRC2:TGID_Z_EN: 1
; COMPUTE_PGM_RSRC2:TIDIG_COMP_CNT: 0
; COMPUTE_PGM_RSRC3_GFX90A:ACCUM_OFFSET: 1
; COMPUTE_PGM_RSRC3_GFX90A:TG_SPLIT: 0
	.section	.text._ZL26rocblas_hemvn_kernel_lowerILb0ELi64ELi4ELi33ELi32ELi16EiPKfPKS1_PfEviT6_lT7_lT5_lS6_lS7_lS5_lT8_i,"axG",@progbits,_ZL26rocblas_hemvn_kernel_lowerILb0ELi64ELi4ELi33ELi32ELi16EiPKfPKS1_PfEviT6_lT7_lT5_lS6_lS7_lS5_lT8_i,comdat
	.globl	_ZL26rocblas_hemvn_kernel_lowerILb0ELi64ELi4ELi33ELi32ELi16EiPKfPKS1_PfEviT6_lT7_lT5_lS6_lS7_lS5_lT8_i ; -- Begin function _ZL26rocblas_hemvn_kernel_lowerILb0ELi64ELi4ELi33ELi32ELi16EiPKfPKS1_PfEviT6_lT7_lT5_lS6_lS7_lS5_lT8_i
	.p2align	8
	.type	_ZL26rocblas_hemvn_kernel_lowerILb0ELi64ELi4ELi33ELi32ELi16EiPKfPKS1_PfEviT6_lT7_lT5_lS6_lS7_lS5_lT8_i,@function
_ZL26rocblas_hemvn_kernel_lowerILb0ELi64ELi4ELi33ELi32ELi16EiPKfPKS1_PfEviT6_lT7_lT5_lS6_lS7_lS5_lT8_i: ; @_ZL26rocblas_hemvn_kernel_lowerILb0ELi64ELi4ELi33ELi32ELi16EiPKfPKS1_PfEviT6_lT7_lT5_lS6_lS7_lS5_lT8_i
; %bb.0:
	s_load_dwordx2 s[4:5], s[0:1], 0x84
	s_add_u32 s12, s0, 0x78
	s_mov_b32 s20, s3
	s_addc_u32 s13, s1, 0
	s_waitcnt lgkmcnt(0)
	s_and_b32 s3, s5, 0xffff
	s_lshr_b32 s5, s4, 16
	s_and_b32 s4, s4, 0xffff
	s_mul_i32 s4, s5, s4
	s_mul_i32 s4, s4, s3
	s_cmpk_lg_i32 s4, 0x100
	s_cbranch_scc1 .LBB149_80
; %bb.1:
	s_load_dwordx8 s[4:11], s[0:1], 0x8
	s_load_dwordx4 s[16:19], s[0:1], 0x58
	s_waitcnt lgkmcnt(0)
	s_mul_i32 s3, s20, s7
	s_mul_hi_u32 s7, s20, s6
	s_mul_i32 s6, s20, s6
	s_add_i32 s7, s7, s3
	s_lshl_b64 s[6:7], s[6:7], 2
	s_add_u32 s4, s4, s6
	s_addc_u32 s5, s5, s7
	s_mul_i32 s14, s20, s19
	s_load_dword s3, s[4:5], 0x0
	s_mul_hi_u32 s4, s20, s18
	s_add_i32 s5, s4, s14
	s_mul_i32 s4, s20, s18
	s_lshl_b64 s[4:5], s[4:5], 2
	s_add_u32 s4, s16, s4
	s_addc_u32 s5, s17, s5
	s_load_dword s6, s[4:5], 0x0
	s_waitcnt lgkmcnt(0)
	v_cmp_eq_f32_e64 s[4:5], s3, 0
	v_cmp_eq_f32_e64 s[6:7], s6, 1.0
	s_and_b64 s[6:7], s[4:5], s[6:7]
	s_and_b64 vcc, exec, s[6:7]
	s_cbranch_vccnz .LBB149_80
; %bb.2:
	s_mov_b32 s21, 0
	v_cmp_neq_f32_e64 s[16:17], s3, 0
	s_mov_b64 s[14:15], 0
	s_and_b64 vcc, exec, s[4:5]
	s_mov_b64 s[6:7], 0
	s_cbranch_vccnz .LBB149_4
; %bb.3:
	s_lshl_b64 s[4:5], s[20:21], 3
	s_add_u32 s4, s8, s4
	s_addc_u32 s5, s9, s5
	s_load_dwordx2 s[4:5], s[4:5], 0x0
	s_lshl_b64 s[6:7], s[10:11], 2
	s_waitcnt lgkmcnt(0)
	s_add_u32 s6, s4, s6
	s_addc_u32 s7, s5, s7
.LBB149_4:
	v_cndmask_b32_e64 v1, 0, 1, s[16:17]
	v_cmp_ne_u32_e64 s[4:5], 1, v1
	s_andn2_b64 vcc, exec, s[16:17]
	s_cbranch_vccnz .LBB149_6
; %bb.5:
	s_load_dwordx4 s[8:11], s[0:1], 0x38
	s_lshl_b64 s[14:15], s[20:21], 3
	s_waitcnt lgkmcnt(0)
	s_add_u32 s8, s8, s14
	s_addc_u32 s9, s9, s15
	s_load_dwordx2 s[8:9], s[8:9], 0x0
	s_lshl_b64 s[10:11], s[10:11], 2
	s_waitcnt lgkmcnt(0)
	s_add_u32 s14, s8, s10
	s_addc_u32 s15, s9, s11
.LBB149_6:
	s_and_b64 vcc, exec, s[4:5]
	s_cbranch_vccnz .LBB149_80
; %bb.7:
	s_load_dword s33, s[12:13], 0x0
	s_load_dword s21, s[0:1], 0x0
	s_load_dwordx2 s[28:29], s[0:1], 0x68
	s_load_dword s3, s[0:1], 0x48
	v_and_b32_e32 v17, 0x3ff, v0
	s_lshl_b32 s26, s2, 6
	s_waitcnt lgkmcnt(0)
	s_ashr_i32 s40, s21, 31
	s_lshr_b32 s5, s40, 26
	s_add_i32 s5, s21, s5
	s_andn2_b32 s5, s5, 63
	v_add_u32_e32 v4, s26, v17
	v_bfe_u32 v5, v0, 10, 10
	s_add_i32 s4, s33, -1
	s_sub_i32 s5, s21, s5
	v_mul_lo_u32 v0, v4, s3
	s_cmp_eq_u32 s2, s4
	v_ashrrev_i32_e32 v1, 31, v0
	s_cselect_b32 s24, s5, 0
	v_lshl_add_u64 v[6:7], v[0:1], 2, s[14:15]
	v_cmp_ne_u32_e64 s[16:17], 0, v5
	v_cmp_eq_u32_e64 s[18:19], 0, v5
	s_and_saveexec_b64 s[4:5], s[18:19]
	s_cbranch_execz .LBB149_11
; %bb.8:
	s_cmp_eq_u32 s24, 0
	s_cselect_b64 s[8:9], -1, 0
	v_cmp_gt_i32_e32 vcc, s24, v17
	s_or_b64 s[10:11], s[8:9], vcc
	v_mov_b32_e32 v0, 0
	s_and_saveexec_b64 s[8:9], s[10:11]
	s_cbranch_execz .LBB149_10
; %bb.9:
	flat_load_dword v0, v[6:7]
.LBB149_10:
	s_or_b64 exec, exec, s[8:9]
	v_lshlrev_b32_e32 v1, 2, v17
	s_waitcnt vmcnt(0) lgkmcnt(0)
	ds_write_b32 v1, v0 offset:4544
.LBB149_11:
	s_or_b64 exec, exec, s[4:5]
	s_load_dword s22, s[0:1], 0x28
	s_ashr_i32 s27, s26, 31
	v_lshl_add_u32 v18, v5, 6, v17
	s_lshl_b64 s[0:1], s[26:27], 2
	v_and_b32_e32 v0, 31, v17
	v_lshrrev_b32_e32 v1, 5, v18
	s_add_u32 s4, s6, s0
	s_addc_u32 s5, s7, s1
	s_waitcnt lgkmcnt(0)
	v_mad_u64_u32 v[8:9], s[0:1], v1, s22, v[0:1]
	s_mul_i32 s0, s26, s22
	s_ashr_i32 s1, s0, 31
	s_lshl_b64 s[30:31], s[0:1], 2
	s_add_u32 s0, s30, s4
	s_addc_u32 s1, s31, s5
	s_cmp_lg_u32 s24, 0
	v_ashrrev_i32_e32 v9, 31, v8
	s_cselect_b64 s[34:35], -1, 0
	s_cmp_eq_u32 s24, 0
	v_lshl_add_u64 v[2:3], v[8:9], 2, s[0:1]
	s_cselect_b64 s[36:37], -1, 0
	s_and_b64 vcc, exec, s[34:35]
	s_cbranch_vccnz .LBB149_13
; %bb.12:
	flat_load_dword v12, v[2:3]
	v_mul_u32_u24_e32 v10, 33, v1
	s_lshl_b32 s0, s22, 3
	v_add_lshl_u32 v13, v10, v0, 2
	s_ashr_i32 s1, s0, 31
	v_lshl_add_u64 v[10:11], s[0:1], 2, v[2:3]
	s_ashr_i32 s23, s22, 31
	s_lshl_b64 s[0:1], s[22:23], 5
	s_waitcnt vmcnt(0) lgkmcnt(0)
	ds_write_b32 v13, v12
	flat_load_dword v12, v[10:11]
	v_lshl_add_u64 v[10:11], v[10:11], 0, s[0:1]
	s_waitcnt vmcnt(0) lgkmcnt(0)
	ds_write_b32 v13, v12 offset:1056
	flat_load_dword v12, v[10:11]
	v_lshl_add_u64 v[10:11], v[10:11], 0, s[0:1]
	s_waitcnt vmcnt(0) lgkmcnt(0)
	ds_write_b32 v13, v12 offset:2112
	flat_load_dword v10, v[10:11]
	s_waitcnt vmcnt(0) lgkmcnt(0)
	ds_write_b32 v13, v10 offset:3168
	s_cbranch_execz .LBB149_14
	s_branch .LBB149_23
.LBB149_13:
.LBB149_14:
	v_lshlrev_b32_e32 v10, 2, v0
	v_sub_co_u32_e32 v12, vcc, v2, v10
	s_ashr_i32 s25, s24, 31
	s_nop 0
	v_subbrev_co_u32_e32 v13, vcc, 0, v3, vcc
	v_lshl_add_u64 v[12:13], s[24:25], 2, v[12:13]
	v_lshl_add_u64 v[12:13], v[12:13], 0, -4
	v_cmp_gt_i32_e32 vcc, s24, v0
	v_cmp_gt_i32_e64 s[0:1], s24, v1
	v_mov_b32_e32 v14, 0
	v_cndmask_b32_e32 v13, v13, v3, vcc
	v_cndmask_b32_e32 v12, v12, v2, vcc
	v_mov_b32_e32 v15, 0
	s_and_saveexec_b64 s[4:5], s[0:1]
	s_cbranch_execz .LBB149_16
; %bb.15:
	flat_load_dword v15, v[12:13]
.LBB149_16:
	s_or_b64 exec, exec, s[4:5]
	v_mul_u32_u24_e32 v11, 33, v1
	v_add_lshl_u32 v11, v11, v0, 2
	s_waitcnt vmcnt(0) lgkmcnt(0)
	ds_write_b32 v11, v15
	v_add_u32_e32 v15, 8, v1
	v_cmp_gt_i32_e64 s[0:1], s24, v15
	s_and_saveexec_b64 s[4:5], s[0:1]
	s_cbranch_execz .LBB149_18
; %bb.17:
	s_lshl_b32 s0, s22, 3
	s_ashr_i32 s1, s0, 31
	v_lshl_add_u64 v[14:15], s[0:1], 2, v[12:13]
	flat_load_dword v14, v[14:15]
.LBB149_18:
	s_or_b64 exec, exec, s[4:5]
	s_waitcnt vmcnt(0) lgkmcnt(0)
	ds_write_b32 v11, v14 offset:1056
	v_add_u32_e32 v14, 16, v1
	v_cmp_gt_i32_e64 s[0:1], s24, v14
	v_mov_b32_e32 v14, 0
	v_mov_b32_e32 v15, 0
	s_and_saveexec_b64 s[4:5], s[0:1]
	s_cbranch_execz .LBB149_20
; %bb.19:
	s_lshl_b32 s0, s22, 4
	s_ashr_i32 s1, s0, 31
	v_lshl_add_u64 v[20:21], s[0:1], 2, v[12:13]
	flat_load_dword v15, v[20:21]
.LBB149_20:
	s_or_b64 exec, exec, s[4:5]
	s_waitcnt vmcnt(0) lgkmcnt(0)
	ds_write_b32 v11, v15 offset:2112
	v_add_u32_e32 v15, 24, v1
	v_cmp_gt_i32_e64 s[0:1], s24, v15
	s_and_saveexec_b64 s[4:5], s[0:1]
	s_cbranch_execz .LBB149_22
; %bb.21:
	s_mul_i32 s0, s22, 24
	s_ashr_i32 s1, s0, 31
	v_lshl_add_u64 v[14:15], s[0:1], 2, v[12:13]
	flat_load_dword v14, v[14:15]
.LBB149_22:
	s_or_b64 exec, exec, s[4:5]
	s_waitcnt vmcnt(0) lgkmcnt(0)
	ds_write_b32 v11, v14 offset:3168
	v_mov_b32_e32 v11, 0
	v_lshl_add_u64 v[10:11], v[12:13], 0, v[10:11]
	s_lshl_b64 s[0:1], s[24:25], 2
	v_mov_b32_e32 v12, s1
	v_subrev_co_u32_e64 v10, s[0:1], s0, v10
	s_nop 1
	v_subb_co_u32_e64 v11, s[0:1], v11, v12, s[0:1]
	v_lshl_add_u64 v[10:11], v[10:11], 0, 4
	v_cndmask_b32_e32 v3, v11, v3, vcc
	v_cndmask_b32_e32 v2, v10, v2, vcc
.LBB149_23:
	v_lshlrev_b32_e32 v13, 2, v1
	v_mul_u32_u24_e32 v19, 33, v0
	v_cmp_lt_u32_e64 s[6:7], v13, v0
	v_add_lshl_u32 v12, v13, v19, 2
	s_waitcnt lgkmcnt(0)
	s_barrier
	s_and_saveexec_b64 s[0:1], s[6:7]
	s_cbranch_execz .LBB149_25
; %bb.24:
	v_mul_u32_u24_e32 v10, 0x84, v1
	v_add_lshl_u32 v10, v10, v0, 2
	ds_read_b32 v10, v10
	s_waitcnt lgkmcnt(0)
	ds_write_b32 v12, v10
.LBB149_25:
	s_or_b64 exec, exec, s[0:1]
	v_or_b32_e32 v10, 1, v13
	v_cmp_lt_u32_e64 s[8:9], v10, v0
	s_and_saveexec_b64 s[0:1], s[8:9]
	s_cbranch_execz .LBB149_27
; %bb.26:
	v_mul_u32_u24_e32 v10, 33, v10
	v_add_lshl_u32 v10, v10, v0, 2
	ds_read_b32 v10, v10
	s_waitcnt lgkmcnt(0)
	ds_write_b32 v12, v10 offset:4
.LBB149_27:
	s_or_b64 exec, exec, s[0:1]
	v_or_b32_e32 v10, 2, v13
	v_cmp_lt_u32_e64 s[10:11], v10, v0
	s_and_saveexec_b64 s[0:1], s[10:11]
	s_cbranch_execz .LBB149_29
; %bb.28:
	v_mul_u32_u24_e32 v10, 33, v10
	v_add_lshl_u32 v10, v10, v0, 2
	ds_read_b32 v10, v10
	s_waitcnt lgkmcnt(0)
	ds_write_b32 v12, v10 offset:8
.LBB149_29:
	s_or_b64 exec, exec, s[0:1]
	v_or_b32_e32 v10, 3, v13
	v_cmp_lt_u32_e64 s[12:13], v10, v0
	v_mad_u32_u24 v10, v10, 33, v0
	v_lshlrev_b32_e32 v14, 2, v10
	s_and_saveexec_b64 s[0:1], s[12:13]
	s_cbranch_execz .LBB149_31
; %bb.30:
	ds_read_b32 v10, v14
	s_waitcnt lgkmcnt(0)
	ds_write_b32 v12, v10 offset:12
.LBB149_31:
	s_or_b64 exec, exec, s[0:1]
	v_mul_u32_u24_e32 v10, 0x84, v1
	v_add_u32_e32 v22, 0xfffffef8, v14
	s_waitcnt lgkmcnt(0)
	s_barrier
	v_add_lshl_u32 v15, v10, v0, 2
	v_lshlrev_b32_e32 v21, 2, v13
	ds_read2_b32 v[10:11], v22 offset1:33
	ds_read_b32 v28, v15
	ds_read_b128 v[24:27], v21 offset:4544
	ds_read_b32 v31, v14
	v_add_lshl_u32 v20, v1, v19, 2
	s_waitcnt lgkmcnt(3)
	v_mov_b32_e32 v29, v10
	v_mov_b32_e32 v30, v11
	s_waitcnt lgkmcnt(1)
	v_pk_mul_f32 v[24:25], v[28:29], v[24:25]
	v_cmp_gt_u32_e64 s[4:5], 32, v18
	v_add_f32_e32 v10, 0, v24
	v_add_f32_e32 v16, v10, v25
	s_waitcnt lgkmcnt(0)
	v_pk_mul_f32 v[10:11], v[30:31], v[26:27]
	s_nop 0
	v_add_f32_e32 v10, v16, v10
	v_add_f32_e32 v10, v10, v11
	v_mov_b32_e32 v16, 0
	s_barrier
	ds_write_b32 v20, v10
	s_waitcnt lgkmcnt(0)
	s_barrier
	s_and_saveexec_b64 s[0:1], s[4:5]
	s_cbranch_execz .LBB149_33
; %bb.32:
	v_lshlrev_b32_e32 v16, 2, v19
	ds_read2_b32 v[10:11], v16 offset1:1
	ds_read2_b32 v[24:25], v16 offset0:2 offset1:3
	ds_read2_b32 v[26:27], v16 offset0:4 offset1:5
	;; [unrolled: 1-line block ×3, first 2 shown]
	s_waitcnt lgkmcnt(3)
	v_add_f32_e32 v10, v10, v11
	s_waitcnt lgkmcnt(2)
	v_add_f32_e32 v10, v10, v24
	v_add_f32_e32 v10, v10, v25
	s_waitcnt lgkmcnt(1)
	v_add_f32_e32 v10, v10, v26
	;; [unrolled: 3-line block ×3, first 2 shown]
	v_add_f32_e32 v16, v10, v29
.LBB149_33:
	s_or_b64 exec, exec, s[0:1]
	s_lshl_b32 s38, s22, 5
	s_ashr_i32 s39, s38, 31
	v_lshl_add_u64 v[10:11], s[38:39], 2, v[2:3]
	s_mov_b64 s[0:1], 0x80
	v_cndmask_b32_e64 v2, 0, 1, s[36:37]
	v_cmp_ne_u32_e64 s[14:15], 1, v2
	s_andn2_b64 vcc, exec, s[36:37]
	v_lshl_add_u64 v[2:3], v[10:11], 0, s[0:1]
	s_barrier
	s_cbranch_vccnz .LBB149_35
; %bb.34:
	flat_load_dword v23, v[10:11] offset:128
	v_mul_u32_u24_e32 v24, 33, v1
	s_lshl_b32 s0, s22, 3
	v_add_lshl_u32 v24, v24, v0, 2
	s_ashr_i32 s1, s0, 31
	v_lshl_add_u64 v[10:11], s[0:1], 2, v[10:11]
	s_ashr_i32 s23, s22, 31
	s_lshl_b64 s[0:1], s[22:23], 5
	s_waitcnt vmcnt(0) lgkmcnt(0)
	ds_write_b32 v24, v23
	flat_load_dword v23, v[10:11] offset:128
	v_lshl_add_u64 v[10:11], v[10:11], 0, s[0:1]
	s_waitcnt vmcnt(0) lgkmcnt(0)
	ds_write_b32 v24, v23 offset:1056
	flat_load_dword v23, v[10:11] offset:128
	v_lshl_add_u64 v[10:11], v[10:11], 0, s[0:1]
	s_waitcnt vmcnt(0) lgkmcnt(0)
	ds_write_b32 v24, v23 offset:2112
	flat_load_dword v10, v[10:11] offset:128
	s_waitcnt vmcnt(0) lgkmcnt(0)
	ds_write_b32 v24, v10 offset:3168
	s_cbranch_execz .LBB149_36
	s_branch .LBB149_45
.LBB149_35:
.LBB149_36:
	v_or_b32_e32 v23, 32, v0
	v_lshlrev_b32_e32 v10, 2, v23
	v_sub_co_u32_e32 v10, vcc, v2, v10
	s_ashr_i32 s25, s24, 31
	s_nop 0
	v_subbrev_co_u32_e32 v11, vcc, 0, v3, vcc
	v_lshl_add_u64 v[10:11], s[24:25], 2, v[10:11]
	v_lshl_add_u64 v[10:11], v[10:11], 0, -4
	v_cmp_gt_i32_e32 vcc, s24, v23
	s_sub_i32 s23, s24, 32
	v_mov_b32_e32 v24, 0
	v_cndmask_b32_e32 v11, v11, v3, vcc
	v_cndmask_b32_e32 v10, v10, v2, vcc
	v_cmp_gt_i32_e64 s[0:1], s23, v1
	v_mov_b32_e32 v25, 0
	s_and_saveexec_b64 s[36:37], s[0:1]
	s_cbranch_execz .LBB149_38
; %bb.37:
	flat_load_dword v25, v[10:11]
.LBB149_38:
	s_or_b64 exec, exec, s[36:37]
	v_mul_u32_u24_e32 v23, 33, v1
	v_add_lshl_u32 v23, v23, v0, 2
	s_waitcnt vmcnt(0) lgkmcnt(0)
	ds_write_b32 v23, v25
	v_add_u32_e32 v25, 8, v1
	v_cmp_gt_i32_e64 s[0:1], s23, v25
	s_and_saveexec_b64 s[36:37], s[0:1]
	s_cbranch_execz .LBB149_40
; %bb.39:
	s_lshl_b32 s0, s22, 3
	s_ashr_i32 s1, s0, 31
	v_lshl_add_u64 v[24:25], s[0:1], 2, v[10:11]
	flat_load_dword v24, v[24:25]
.LBB149_40:
	s_or_b64 exec, exec, s[36:37]
	s_waitcnt vmcnt(0) lgkmcnt(0)
	ds_write_b32 v23, v24 offset:1056
	v_add_u32_e32 v24, 16, v1
	v_cmp_gt_i32_e64 s[0:1], s23, v24
	v_mov_b32_e32 v24, 0
	v_mov_b32_e32 v25, 0
	s_and_saveexec_b64 s[36:37], s[0:1]
	s_cbranch_execz .LBB149_42
; %bb.41:
	s_lshl_b32 s0, s22, 4
	s_ashr_i32 s1, s0, 31
	v_lshl_add_u64 v[26:27], s[0:1], 2, v[10:11]
	flat_load_dword v25, v[26:27]
.LBB149_42:
	s_or_b64 exec, exec, s[36:37]
	s_waitcnt vmcnt(0) lgkmcnt(0)
	ds_write_b32 v23, v25 offset:2112
	v_add_u32_e32 v25, 24, v1
	v_cmp_gt_i32_e64 s[0:1], s23, v25
	s_and_saveexec_b64 s[36:37], s[0:1]
	s_cbranch_execz .LBB149_44
; %bb.43:
	s_mul_i32 s0, s22, 24
	s_ashr_i32 s1, s0, 31
	v_lshl_add_u64 v[24:25], s[0:1], 2, v[10:11]
	flat_load_dword v24, v[24:25]
.LBB149_44:
	s_or_b64 exec, exec, s[36:37]
	s_waitcnt vmcnt(0) lgkmcnt(0)
	ds_write_b32 v23, v24 offset:3168
	v_lshlrev_b32_e32 v24, 2, v0
	v_mov_b32_e32 v25, 0
	v_lshl_add_u64 v[10:11], v[10:11], 0, v[24:25]
	s_lshl_b64 s[0:1], s[24:25], 2
	v_mov_b32_e32 v23, s1
	v_subrev_co_u32_e64 v10, s[0:1], s0, v10
	s_nop 1
	v_subb_co_u32_e64 v11, s[0:1], v11, v23, s[0:1]
	s_mov_b64 s[0:1], 0x84
	s_nop 0
	v_lshl_add_u64 v[10:11], v[10:11], 0, s[0:1]
	v_cndmask_b32_e32 v3, v11, v3, vcc
	v_cndmask_b32_e32 v2, v10, v2, vcc
.LBB149_45:
	v_add_u32_e32 v21, 0x11c0, v21
	s_waitcnt lgkmcnt(0)
	s_barrier
	s_and_saveexec_b64 s[0:1], s[6:7]
	s_cbranch_execnz .LBB149_54
; %bb.46:
	s_or_b64 exec, exec, s[0:1]
	s_and_saveexec_b64 s[0:1], s[8:9]
	s_cbranch_execnz .LBB149_55
.LBB149_47:
	s_or_b64 exec, exec, s[0:1]
	s_and_saveexec_b64 s[0:1], s[10:11]
	s_cbranch_execnz .LBB149_56
.LBB149_48:
	s_or_b64 exec, exec, s[0:1]
	s_and_saveexec_b64 s[0:1], s[12:13]
	s_cbranch_execz .LBB149_50
.LBB149_49:
	ds_read_b32 v10, v14
	s_waitcnt lgkmcnt(0)
	ds_write_b32 v12, v10 offset:12
.LBB149_50:
	s_or_b64 exec, exec, s[0:1]
	s_waitcnt lgkmcnt(0)
	s_barrier
	ds_read_b32 v15, v15
	ds_read_b128 v[24:27], v21 offset:128
	ds_read2_b32 v[10:11], v22 offset1:33
	ds_read_b32 v14, v14
	v_cmp_eq_u32_e64 s[6:7], 1, v1
	s_waitcnt lgkmcnt(0)
	v_fma_f32 v15, v15, v24, 0
	v_fmac_f32_e32 v15, v10, v25
	v_fmac_f32_e32 v15, v11, v26
	;; [unrolled: 1-line block ×3, first 2 shown]
	s_barrier
	ds_write_b32 v20, v15
	s_waitcnt lgkmcnt(0)
	s_barrier
	s_and_saveexec_b64 s[0:1], s[6:7]
	s_cbranch_execz .LBB149_52
; %bb.51:
	v_lshlrev_b32_e32 v16, 2, v19
	ds_read2_b32 v[10:11], v16 offset1:1
	ds_read2_b32 v[14:15], v16 offset0:2 offset1:3
	ds_read2_b32 v[22:23], v16 offset0:4 offset1:5
	;; [unrolled: 1-line block ×3, first 2 shown]
	s_waitcnt lgkmcnt(3)
	v_add_f32_e32 v10, v10, v11
	s_waitcnt lgkmcnt(2)
	v_add_f32_e32 v10, v10, v14
	v_add_f32_e32 v10, v10, v15
	s_waitcnt lgkmcnt(1)
	v_add_f32_e32 v10, v10, v22
	;; [unrolled: 3-line block ×3, first 2 shown]
	v_add_f32_e32 v16, v10, v25
.LBB149_52:
	s_or_b64 exec, exec, s[0:1]
	s_lshl_b64 s[0:1], s[38:39], 2
	v_mov_b32_e32 v11, s1
	v_subrev_co_u32_e64 v10, s[0:1], s0, v2
	s_and_b64 vcc, exec, s[14:15]
	s_nop 0
	v_subb_co_u32_e64 v11, s[0:1], v3, v11, s[0:1]
	s_barrier
	s_cbranch_vccnz .LBB149_57
; %bb.53:
	flat_load_dword v15, v[10:11]
	v_mad_u32_u24 v14, v1, 33, v0
	s_lshl_b32 s0, s22, 3
	v_lshlrev_b32_e32 v27, 2, v14
	s_ashr_i32 s1, s0, 31
	v_lshl_add_u64 v[2:3], s[0:1], 2, v[10:11]
	s_ashr_i32 s23, s22, 31
	s_lshl_b64 s[0:1], s[22:23], 5
	v_add_u32_e32 v22, 16, v1
	v_add_u32_e32 v23, 24, v1
	;; [unrolled: 1-line block ×5, first 2 shown]
	s_waitcnt vmcnt(0) lgkmcnt(0)
	ds_write_b32 v27, v15
	flat_load_dword v15, v[2:3]
	v_lshl_add_u64 v[2:3], v[2:3], 0, s[0:1]
	s_waitcnt vmcnt(0) lgkmcnt(0)
	ds_write_b32 v27, v15 offset:1056
	flat_load_dword v15, v[2:3]
	v_lshl_add_u64 v[2:3], v[2:3], 0, s[0:1]
	s_waitcnt vmcnt(0) lgkmcnt(0)
	ds_write_b32 v27, v15 offset:2112
	flat_load_dword v2, v[2:3]
	v_add_u32_e32 v15, 8, v1
	s_waitcnt vmcnt(0) lgkmcnt(0)
	ds_write_b32 v27, v2 offset:3168
	s_cbranch_execz .LBB149_58
	s_branch .LBB149_67
.LBB149_54:
	ds_read_b32 v10, v15
	s_waitcnt lgkmcnt(0)
	ds_write_b32 v12, v10
	s_or_b64 exec, exec, s[0:1]
	s_and_saveexec_b64 s[0:1], s[8:9]
	s_cbranch_execz .LBB149_47
.LBB149_55:
	ds_read_b32 v10, v22
	s_waitcnt lgkmcnt(0)
	ds_write_b32 v12, v10 offset:4
	s_or_b64 exec, exec, s[0:1]
	s_and_saveexec_b64 s[0:1], s[10:11]
	s_cbranch_execz .LBB149_48
.LBB149_56:
	ds_read_b32 v10, v22 offset:132
	s_waitcnt lgkmcnt(0)
	ds_write_b32 v12, v10 offset:8
	s_or_b64 exec, exec, s[0:1]
	s_and_saveexec_b64 s[0:1], s[12:13]
	s_cbranch_execnz .LBB149_49
	s_branch .LBB149_50
.LBB149_57:
                                        ; implicit-def: $vgpr14
                                        ; implicit-def: $vgpr15
                                        ; implicit-def: $vgpr26
                                        ; implicit-def: $vgpr22
                                        ; implicit-def: $vgpr24
                                        ; implicit-def: $vgpr23
                                        ; implicit-def: $vgpr25
.LBB149_58:
	v_or_b32_e32 v14, 32, v0
	v_lshlrev_b32_e32 v2, 2, v14
	v_sub_co_u32_e32 v2, vcc, v10, v2
	s_ashr_i32 s25, s24, 31
	s_nop 0
	v_subbrev_co_u32_e32 v3, vcc, 0, v11, vcc
	v_lshl_add_u64 v[2:3], s[24:25], 2, v[2:3]
	v_lshl_add_u64 v[2:3], v[2:3], 0, -4
	v_cmp_gt_i32_e32 vcc, s24, v14
	v_mov_b32_e32 v22, 0
	v_cmp_gt_i32_e64 s[0:1], s24, v1
	v_cndmask_b32_e32 v3, v3, v11, vcc
	v_cndmask_b32_e32 v2, v2, v10, vcc
	v_mov_b32_e32 v15, 0
	s_and_saveexec_b64 s[8:9], s[0:1]
	s_cbranch_execz .LBB149_60
; %bb.59:
	flat_load_dword v15, v[2:3]
.LBB149_60:
	s_or_b64 exec, exec, s[8:9]
	v_mad_u32_u24 v14, v1, 33, v0
	v_lshlrev_b32_e32 v27, 2, v14
	s_waitcnt vmcnt(0) lgkmcnt(0)
	ds_write_b32 v27, v15
	v_add_u32_e32 v15, 8, v1
	v_cmp_gt_i32_e64 s[0:1], s24, v15
	s_and_saveexec_b64 s[8:9], s[0:1]
	s_cbranch_execz .LBB149_62
; %bb.61:
	s_lshl_b32 s0, s22, 3
	s_ashr_i32 s1, s0, 31
	v_lshl_add_u64 v[22:23], s[0:1], 2, v[2:3]
	flat_load_dword v22, v[22:23]
.LBB149_62:
	s_or_b64 exec, exec, s[8:9]
	s_waitcnt vmcnt(0) lgkmcnt(0)
	ds_write_b32 v27, v22 offset:1056
	v_add_u32_e32 v22, 16, v1
	v_cmp_gt_i32_e64 s[0:1], s24, v22
	v_mov_b32_e32 v28, 0
	v_mov_b32_e32 v23, 0
	s_and_saveexec_b64 s[8:9], s[0:1]
	s_cbranch_execz .LBB149_64
; %bb.63:
	s_lshl_b32 s0, s22, 4
	s_ashr_i32 s1, s0, 31
	v_lshl_add_u64 v[24:25], s[0:1], 2, v[2:3]
	flat_load_dword v23, v[24:25]
.LBB149_64:
	s_or_b64 exec, exec, s[8:9]
	s_waitcnt vmcnt(0) lgkmcnt(0)
	ds_write_b32 v27, v23 offset:2112
	v_add_u32_e32 v23, 24, v1
	v_cmp_gt_i32_e64 s[0:1], s24, v23
	s_and_saveexec_b64 s[8:9], s[0:1]
	s_cbranch_execz .LBB149_66
; %bb.65:
	s_mul_i32 s0, s22, 24
	s_ashr_i32 s1, s0, 31
	v_lshl_add_u64 v[24:25], s[0:1], 2, v[2:3]
	flat_load_dword v28, v[24:25]
.LBB149_66:
	s_or_b64 exec, exec, s[8:9]
	v_lshlrev_b32_e32 v0, 2, v0
	v_mov_b32_e32 v1, 0
	v_lshl_add_u64 v[0:1], v[2:3], 0, v[0:1]
	s_lshl_b64 s[0:1], s[24:25], 2
	v_mov_b32_e32 v2, s1
	v_subrev_co_u32_e64 v0, s[0:1], s0, v0
	v_add_u32_e32 v26, 0x108, v14
	s_nop 0
	v_subb_co_u32_e64 v1, s[0:1], v1, v2, s[0:1]
	s_mov_b64 s[0:1], 0x84
	s_nop 0
	v_lshl_add_u64 v[0:1], v[0:1], 0, s[0:1]
	v_add_u32_e32 v24, 0x210, v14
	v_add_u32_e32 v25, 0x318, v14
	v_cndmask_b32_e32 v11, v1, v11, vcc
	v_cndmask_b32_e32 v10, v0, v10, vcc
	s_waitcnt vmcnt(0) lgkmcnt(0)
	ds_write_b32 v27, v28 offset:3168
.LBB149_67:
	s_waitcnt lgkmcnt(0)
	s_barrier
	v_lshlrev_b32_e32 v0, 2, v14
	ds_read_b32 v27, v13 offset:4544
	v_lshlrev_b32_e32 v1, 2, v26
	ds_read_b32 v26, v0
	ds_read_b32 v28, v1
	v_lshlrev_b32_e32 v0, 2, v15
	v_lshlrev_b32_e32 v1, 2, v24
	;; [unrolled: 1-line block ×5, first 2 shown]
	ds_read_b32 v22, v0 offset:4544
	ds_read_b32 v23, v1
	ds_read_b32 v24, v2 offset:4544
	ds_read_b32 v25, v3
	ds_read_b32 v29, v13 offset:4544
	ds_read2_b32 v[14:15], v12 offset1:1
	ds_read_b128 v[0:3], v21 offset:128
	ds_read2_b32 v[12:13], v12 offset0:2 offset1:3
	s_waitcnt lgkmcnt(9)
	v_fma_f32 v21, v26, v27, 0
	s_waitcnt lgkmcnt(7)
	v_fmac_f32_e32 v21, v28, v22
	s_waitcnt lgkmcnt(5)
	v_fmac_f32_e32 v21, v23, v24
	;; [unrolled: 2-line block ×3, first 2 shown]
	s_waitcnt lgkmcnt(0)
	s_barrier
	ds_write_b32 v20, v21
	s_waitcnt lgkmcnt(0)
	s_barrier
	s_and_saveexec_b64 s[0:1], s[6:7]
	s_cbranch_execz .LBB149_69
; %bb.68:
	v_lshlrev_b32_e32 v21, 2, v19
	ds_read2_b32 v[22:23], v21 offset1:1
	ds_read2_b32 v[24:25], v21 offset0:2 offset1:3
	ds_read2_b32 v[26:27], v21 offset0:4 offset1:5
	;; [unrolled: 1-line block ×3, first 2 shown]
	s_waitcnt lgkmcnt(3)
	v_add_f32_e32 v16, v16, v22
	v_add_f32_e32 v16, v16, v23
	s_waitcnt lgkmcnt(2)
	v_add_f32_e32 v16, v16, v24
	v_add_f32_e32 v16, v16, v25
	;; [unrolled: 3-line block ×4, first 2 shown]
.LBB149_69:
	s_or_b64 exec, exec, s[0:1]
	v_fma_f32 v0, v14, v0, 0
	v_fmac_f32_e32 v0, v15, v1
	v_fmac_f32_e32 v0, v12, v2
	;; [unrolled: 1-line block ×3, first 2 shown]
	s_barrier
	ds_write_b32 v20, v0
	s_waitcnt lgkmcnt(0)
	s_barrier
	s_and_saveexec_b64 s[0:1], s[4:5]
	s_cbranch_execz .LBB149_71
; %bb.70:
	v_lshlrev_b32_e32 v14, 2, v19
	ds_read2_b32 v[0:1], v14 offset1:1
	ds_read2_b32 v[2:3], v14 offset0:2 offset1:3
	ds_read2_b32 v[12:13], v14 offset0:4 offset1:5
	;; [unrolled: 1-line block ×3, first 2 shown]
	s_waitcnt lgkmcnt(3)
	v_add_f32_e32 v0, v16, v0
	v_add_f32_e32 v0, v0, v1
	s_waitcnt lgkmcnt(2)
	v_add_f32_e32 v0, v0, v2
	v_add_f32_e32 v0, v0, v3
	s_waitcnt lgkmcnt(1)
	v_add_f32_e32 v0, v0, v12
	v_add_f32_e32 v0, v0, v13
	s_waitcnt lgkmcnt(0)
	v_add_f32_e32 v0, v0, v14
	v_add_f32_e32 v16, v0, v15
.LBB149_71:
	s_or_b64 exec, exec, s[0:1]
	s_mul_hi_u32 s0, s21, s20
	s_mul_i32 s40, s40, s20
	s_add_i32 s0, s0, s40
	s_mul_i32 s4, s21, s20
	s_mul_i32 s0, s0, s33
	s_mul_hi_u32 s1, s4, s33
	s_add_i32 s1, s1, s0
	s_mul_i32 s0, s4, s33
	s_lshl_b64 s[0:1], s[0:1], 2
	s_add_u32 s4, s28, s0
	s_mul_i32 s0, s2, s21
	s_addc_u32 s5, s29, s1
	s_ashr_i32 s1, s0, 31
	s_lshl_b64 s[0:1], s[0:1], 2
	s_add_u32 s6, s4, s0
	v_cmp_le_i32_e32 vcc, s24, v17
	s_addc_u32 s7, s5, s1
	s_and_b64 vcc, s[34:35], vcc
	s_cmp_lt_i32 s2, 1
	v_lshlrev_b32_e32 v12, 2, v17
	s_barrier
	s_cbranch_scc1 .LBB149_78
; %bb.72:
	s_mul_i32 s0, s26, s3
	s_ashr_i32 s1, s0, 31
	s_lshl_b64 s[0:1], s[0:1], 2
	v_mov_b32_e32 v1, s1
	v_subrev_co_u32_e64 v0, s[0:1], s0, v6
	v_mov_b32_e32 v2, s31
	s_nop 0
	v_subb_co_u32_e64 v1, s[0:1], v7, v1, s[0:1]
	v_subrev_co_u32_e64 v6, s[0:1], s30, v10
	s_ashr_i32 s25, s24, 31
	s_nop 0
	v_subb_co_u32_e64 v7, s[0:1], v11, v2, s[0:1]
	v_lshlrev_b64 v[2:3], 2, v[8:9]
	v_sub_co_u32_e64 v2, s[0:1], v6, v2
	v_mul_lo_u32 v6, v5, s22
	s_nop 0
	v_subb_co_u32_e64 v3, s[0:1], v7, v3, s[0:1]
	v_lshl_add_u32 v6, v6, 2, v17
	v_ashrrev_i32_e32 v7, 31, v6
	s_movk_i32 s0, 0xff80
	v_lshl_add_u64 v[2:3], v[6:7], 2, v[2:3]
	s_mov_b32 s1, -1
	v_lshl_add_u64 v[6:7], v[2:3], 0, s[0:1]
	v_sub_co_u32_e64 v8, s[0:1], v6, v12
	v_lshrrev_b32_e32 v2, 2, v18
	s_nop 0
	v_subbrev_co_u32_e64 v9, s[0:1], 0, v7, s[0:1]
	v_lshl_add_u64 v[8:9], s[24:25], 2, v[8:9]
	v_and_b32_e32 v20, 48, v17
	v_and_b32_e32 v19, 15, v17
	v_lshl_add_u64 v[8:9], v[8:9], 0, -4
	v_and_b32_e32 v2, 0x7ffc, v2
	v_lshlrev_b32_e32 v10, 2, v20
	s_movk_i32 s0, 0x10c
	v_or_b32_e32 v11, 60, v12
	v_and_b32_e32 v13, 0x1fff0, v18
	s_ashr_i32 s23, s22, 31
	v_mov_b32_e32 v14, 0x10c0
	s_movk_i32 s1, 0x430
	v_mov_b32_e32 v3, 0
	v_cndmask_b32_e32 v7, v7, v9, vcc
	v_cndmask_b32_e32 v6, v6, v8, vcc
	s_lshl_b32 s3, s3, 6
	v_add_u32_e32 v8, 0x10c0, v12
	v_add_u32_e32 v9, 0x11c0, v12
	v_cmp_gt_u32_e64 s[4:5], 64, v18
	v_mad_u32_u24 v10, v19, s0, v10
	v_mad_u32_u24 v11, v19, s0, v11
	;; [unrolled: 1-line block ×3, first 2 shown]
	v_lshl_add_u32 v14, v5, 4, v14
	v_mad_u32_u24 v15, v5, s1, v12
	v_mad_u32_u24 v17, v19, s0, v2
	s_lshl_b64 s[0:1], s[22:23], 2
	s_lshl_b64 s[8:9], s[22:23], 3
	;; [unrolled: 1-line block ×3, first 2 shown]
	s_mul_hi_i32 s13, s22, 12
	s_mul_i32 s12, s22, 12
	s_lshl_b64 s[14:15], s[22:23], 6
	s_mul_hi_i32 s21, s22, 0x48
	s_mul_i32 s20, s22, 0x48
	s_mul_hi_i32 s25, s22, 0x4c
	s_mul_i32 s24, s22, 0x4c
	s_lshl_b64 s[26:27], s[22:23], 7
	s_mul_hi_i32 s29, s22, 0x88
	s_mul_i32 s28, s22, 0x88
	s_mul_hi_i32 s31, s22, 0x8c
	s_mul_i32 s30, s22, 0x8c
	;; [unrolled: 2-line block ×7, first 2 shown]
	s_mul_hi_i32 s23, s22, 0x44
	s_mulk_i32 s22, 0x44
	v_or_b32_e32 v2, v20, v19
	s_mov_b32 s44, 0
	s_branch .LBB149_74
.LBB149_73:                             ;   in Loop: Header=BB149_74 Depth=1
	s_or_b64 exec, exec, s[46:47]
	v_fmac_f32_e32 v16, v18, v22
	v_fmac_f32_e32 v16, v20, v23
	v_fmac_f32_e32 v16, v19, v24
	v_fmac_f32_e32 v16, v21, v25
	v_fmac_f32_e32 v16, v29, v30
	v_fmac_f32_e32 v16, v28, v31
	v_fmac_f32_e32 v16, v27, v32
	v_fmac_f32_e32 v16, v26, v33
	v_fmac_f32_e32 v16, v37, v38
	v_fmac_f32_e32 v16, v36, v39
	v_fmac_f32_e32 v16, v35, v40
	v_fmac_f32_e32 v16, v34, v41
	v_fmac_f32_e32 v16, v45, v46
	v_fmac_f32_e32 v16, v44, v47
	v_fmac_f32_e32 v16, v43, v48
	s_add_i32 s2, s2, -1
	s_add_i32 s44, s44, s3
	v_fmac_f32_e32 v16, v42, v49
	v_lshl_add_u64 v[6:7], v[6:7], 0, s[10:11]
	s_cmp_eq_u32 s2, 0
	v_add_u32_e32 v2, 64, v2
	s_barrier
	s_cbranch_scc1 .LBB149_78
.LBB149_74:                             ; =>This Inner Loop Header: Depth=1
	s_and_saveexec_b64 s[46:47], s[18:19]
	s_cbranch_execz .LBB149_76
; %bb.75:                               ;   in Loop: Header=BB149_74 Depth=1
	s_ashr_i32 s45, s44, 31
	v_lshl_add_u64 v[18:19], s[44:45], 2, v[0:1]
	flat_load_dword v18, v[18:19]
	s_waitcnt vmcnt(0) lgkmcnt(0)
	ds_write_b32 v8, v18
.LBB149_76:                             ;   in Loop: Header=BB149_74 Depth=1
	s_or_b64 exec, exec, s[46:47]
	s_waitcnt lgkmcnt(0)
	s_barrier
	flat_load_dword v18, v[6:7]
	v_lshl_add_u64 v[22:23], v[6:7], 0, s[0:1]
	v_lshl_add_u64 v[24:25], v[6:7], 0, s[8:9]
	flat_load_dword v20, v[22:23]
	flat_load_dword v19, v[24:25]
	v_lshl_add_u64 v[22:23], v[6:7], 0, s[12:13]
	flat_load_dword v21, v[22:23]
	ds_read_b32 v23, v9
	ds_read_b32 v22, v14
	v_lshl_add_u64 v[30:31], v[6:7], 0, s[14:15]
	v_lshl_add_u64 v[32:33], v[6:7], 0, s[22:23]
	;; [unrolled: 1-line block ×12, first 2 shown]
	s_waitcnt vmcnt(0) lgkmcnt(0)
	v_mul_f32_e32 v24, v18, v23
	ds_write_b32 v15, v24
	v_mul_f32_e32 v24, v20, v23
	v_mul_f32_e32 v25, v19, v23
	;; [unrolled: 1-line block ×3, first 2 shown]
	ds_read_b32 v23, v14 offset:4
	ds_write_b32 v15, v24 offset:268
	ds_read_b32 v24, v14 offset:8
	ds_write_b32 v15, v25 offset:536
	;; [unrolled: 2-line block ×3, first 2 shown]
	s_waitcnt lgkmcnt(0)
	s_barrier
	ds_read2_b32 v[46:47], v13 offset1:1
	ds_read2_b32 v[48:49], v13 offset0:2 offset1:3
	s_waitcnt lgkmcnt(0)
	s_barrier
	flat_load_dword v29, v[30:31]
	flat_load_dword v28, v[32:33]
	;; [unrolled: 1-line block ×4, first 2 shown]
	ds_read_b32 v31, v9
	ds_read_b32 v30, v14 offset:64
	v_add_f32_e32 v46, 0, v46
	v_add_f32_e32 v46, v46, v47
	;; [unrolled: 1-line block ×3, first 2 shown]
	s_waitcnt vmcnt(0) lgkmcnt(0)
	v_mul_f32_e32 v32, v29, v31
	v_mul_f32_e32 v33, v28, v31
	ds_write_b32 v15, v32
	v_mul_f32_e32 v34, v27, v31
	v_mul_f32_e32 v35, v26, v31
	ds_read_b32 v31, v14 offset:68
	ds_write_b32 v15, v33 offset:268
	ds_read_b32 v32, v14 offset:72
	ds_write_b32 v15, v34 offset:536
	;; [unrolled: 2-line block ×3, first 2 shown]
	s_waitcnt lgkmcnt(0)
	s_barrier
	ds_read2_b32 v[50:51], v13 offset1:1
	ds_read2_b32 v[52:53], v13 offset0:2 offset1:3
	s_waitcnt lgkmcnt(0)
	s_barrier
	flat_load_dword v37, v[38:39]
	flat_load_dword v36, v[40:41]
	;; [unrolled: 1-line block ×4, first 2 shown]
	ds_read_b32 v39, v9
	ds_read_b32 v38, v14 offset:128
	s_waitcnt vmcnt(0) lgkmcnt(0)
	v_mul_f32_e32 v40, v37, v39
	v_mul_f32_e32 v41, v36, v39
	ds_write_b32 v15, v40
	v_mul_f32_e32 v42, v35, v39
	v_mul_f32_e32 v43, v34, v39
	ds_read_b32 v39, v14 offset:132
	ds_write_b32 v15, v41 offset:268
	ds_read_b32 v40, v14 offset:136
	ds_write_b32 v15, v42 offset:536
	;; [unrolled: 2-line block ×3, first 2 shown]
	s_waitcnt lgkmcnt(0)
	s_barrier
	ds_read2_b32 v[62:63], v13 offset1:1
	ds_read2_b32 v[64:65], v13 offset0:2 offset1:3
	s_waitcnt lgkmcnt(0)
	s_barrier
	flat_load_dword v45, v[54:55]
	flat_load_dword v44, v[56:57]
	;; [unrolled: 1-line block ×4, first 2 shown]
	v_add_f32_e32 v54, v46, v49
	v_add_f32_e32 v46, 0, v50
	;; [unrolled: 1-line block ×5, first 2 shown]
	ds_read_b32 v47, v9
	ds_read_b32 v46, v14 offset:192
	v_add_f32_e32 v48, 0, v62
	v_add_f32_e32 v48, v48, v63
	;; [unrolled: 1-line block ×4, first 2 shown]
	s_waitcnt vmcnt(0) lgkmcnt(0)
	v_mul_f32_e32 v48, v45, v47
	v_mul_f32_e32 v49, v44, v47
	ds_write_b32 v15, v48
	v_mul_f32_e32 v50, v43, v47
	v_mul_f32_e32 v51, v42, v47
	ds_read_b32 v47, v14 offset:196
	ds_write_b32 v15, v49 offset:268
	ds_read_b32 v48, v14 offset:200
	ds_write_b32 v15, v50 offset:536
	;; [unrolled: 2-line block ×3, first 2 shown]
	s_waitcnt lgkmcnt(0)
	s_barrier
	ds_read2_b32 v[50:51], v13 offset1:1
	ds_read2_b32 v[52:53], v13 offset0:2 offset1:3
	s_waitcnt lgkmcnt(0)
	s_barrier
	v_add_f32_e32 v50, 0, v50
	v_add_f32_e32 v50, v50, v51
	;; [unrolled: 1-line block ×4, first 2 shown]
	ds_write2_b32 v17, v54, v55 offset1:16
	ds_write2_b32 v17, v56, v50 offset0:32 offset1:48
	s_waitcnt lgkmcnt(0)
	s_barrier
	s_and_saveexec_b64 s[46:47], s[4:5]
	s_cbranch_execz .LBB149_73
; %bb.77:                               ;   in Loop: Header=BB149_74 Depth=1
	ds_read2_b32 v[50:51], v10 offset1:1
	ds_read2_b32 v[52:53], v10 offset0:2 offset1:3
	ds_read2_b32 v[54:55], v10 offset0:4 offset1:5
	;; [unrolled: 1-line block ×3, first 2 shown]
	s_waitcnt lgkmcnt(3)
	v_add_f32_e32 v50, v50, v51
	s_waitcnt lgkmcnt(2)
	v_add_f32_e32 v50, v50, v52
	v_add_f32_e32 v50, v50, v53
	s_waitcnt lgkmcnt(1)
	v_add_f32_e32 v50, v50, v54
	;; [unrolled: 3-line block ×3, first 2 shown]
	ds_read2_b32 v[50:51], v10 offset0:8 offset1:9
	v_add_f32_e32 v56, v52, v57
	ds_read2_b32 v[52:53], v10 offset0:10 offset1:11
	ds_read2_b32 v[54:55], v10 offset0:12 offset1:13
	ds_read_b32 v57, v10 offset:56
	s_waitcnt lgkmcnt(3)
	v_add_f32_e32 v50, v56, v50
	v_add_f32_e32 v50, v50, v51
	s_waitcnt lgkmcnt(2)
	v_add_f32_e32 v50, v50, v52
	ds_read_b32 v51, v11
	v_add_f32_e32 v50, v50, v53
	s_waitcnt lgkmcnt(2)
	v_add_f32_e32 v50, v50, v54
	v_add_f32_e32 v50, v50, v55
	s_waitcnt lgkmcnt(1)
	v_add_f32_e32 v50, v50, v57
	s_waitcnt lgkmcnt(0)
	v_add_f32_e32 v52, v50, v51
	v_lshl_add_u64 v[50:51], v[2:3], 2, s[6:7]
	global_store_dword v[50:51], v52, off
	s_branch .LBB149_73
.LBB149_78:
	s_movk_i32 s0, 0x10c
	v_mad_u32_u24 v0, v5, s0, v12
	s_or_b64 s[0:1], s[16:17], vcc
	s_xor_b64 s[0:1], s[0:1], -1
	ds_write_b32 v0, v16
	s_waitcnt lgkmcnt(0)
	s_barrier
	s_and_saveexec_b64 s[2:3], s[0:1]
	s_cbranch_execz .LBB149_80
; %bb.79:
	ds_read2_b32 v[0:1], v12 offset1:67
	ds_read2_b32 v[2:3], v12 offset0:134 offset1:201
	v_ashrrev_i32_e32 v5, 31, v4
	s_waitcnt lgkmcnt(1)
	v_add_f32_e32 v0, v0, v1
	s_waitcnt lgkmcnt(0)
	v_add_f32_e32 v0, v0, v2
	v_add_f32_e32 v2, v0, v3
	v_lshl_add_u64 v[0:1], v[4:5], 2, s[6:7]
	global_store_dword v[0:1], v2, off
.LBB149_80:
	s_endpgm
	.section	.rodata,"a",@progbits
	.p2align	6, 0x0
	.amdhsa_kernel _ZL26rocblas_hemvn_kernel_lowerILb0ELi64ELi4ELi33ELi32ELi16EiPKfPKS1_PfEviT6_lT7_lT5_lS6_lS7_lS5_lT8_i
		.amdhsa_group_segment_fixed_size 4800
		.amdhsa_private_segment_fixed_size 0
		.amdhsa_kernarg_size 376
		.amdhsa_user_sgpr_count 2
		.amdhsa_user_sgpr_dispatch_ptr 0
		.amdhsa_user_sgpr_queue_ptr 0
		.amdhsa_user_sgpr_kernarg_segment_ptr 1
		.amdhsa_user_sgpr_dispatch_id 0
		.amdhsa_user_sgpr_kernarg_preload_length 0
		.amdhsa_user_sgpr_kernarg_preload_offset 0
		.amdhsa_user_sgpr_private_segment_size 0
		.amdhsa_uses_dynamic_stack 0
		.amdhsa_enable_private_segment 0
		.amdhsa_system_sgpr_workgroup_id_x 1
		.amdhsa_system_sgpr_workgroup_id_y 0
		.amdhsa_system_sgpr_workgroup_id_z 1
		.amdhsa_system_sgpr_workgroup_info 0
		.amdhsa_system_vgpr_workitem_id 1
		.amdhsa_next_free_vgpr 66
		.amdhsa_next_free_sgpr 48
		.amdhsa_accum_offset 68
		.amdhsa_reserve_vcc 1
		.amdhsa_float_round_mode_32 0
		.amdhsa_float_round_mode_16_64 0
		.amdhsa_float_denorm_mode_32 3
		.amdhsa_float_denorm_mode_16_64 3
		.amdhsa_dx10_clamp 1
		.amdhsa_ieee_mode 1
		.amdhsa_fp16_overflow 0
		.amdhsa_tg_split 0
		.amdhsa_exception_fp_ieee_invalid_op 0
		.amdhsa_exception_fp_denorm_src 0
		.amdhsa_exception_fp_ieee_div_zero 0
		.amdhsa_exception_fp_ieee_overflow 0
		.amdhsa_exception_fp_ieee_underflow 0
		.amdhsa_exception_fp_ieee_inexact 0
		.amdhsa_exception_int_div_zero 0
	.end_amdhsa_kernel
	.section	.text._ZL26rocblas_hemvn_kernel_lowerILb0ELi64ELi4ELi33ELi32ELi16EiPKfPKS1_PfEviT6_lT7_lT5_lS6_lS7_lS5_lT8_i,"axG",@progbits,_ZL26rocblas_hemvn_kernel_lowerILb0ELi64ELi4ELi33ELi32ELi16EiPKfPKS1_PfEviT6_lT7_lT5_lS6_lS7_lS5_lT8_i,comdat
.Lfunc_end149:
	.size	_ZL26rocblas_hemvn_kernel_lowerILb0ELi64ELi4ELi33ELi32ELi16EiPKfPKS1_PfEviT6_lT7_lT5_lS6_lS7_lS5_lT8_i, .Lfunc_end149-_ZL26rocblas_hemvn_kernel_lowerILb0ELi64ELi4ELi33ELi32ELi16EiPKfPKS1_PfEviT6_lT7_lT5_lS6_lS7_lS5_lT8_i
                                        ; -- End function
	.section	.AMDGPU.csdata,"",@progbits
; Kernel info:
; codeLenInByte = 5488
; NumSgprs: 54
; NumVgprs: 66
; NumAgprs: 0
; TotalNumVgprs: 66
; ScratchSize: 0
; MemoryBound: 0
; FloatMode: 240
; IeeeMode: 1
; LDSByteSize: 4800 bytes/workgroup (compile time only)
; SGPRBlocks: 6
; VGPRBlocks: 8
; NumSGPRsForWavesPerEU: 54
; NumVGPRsForWavesPerEU: 66
; AccumOffset: 68
; Occupancy: 7
; WaveLimiterHint : 1
; COMPUTE_PGM_RSRC2:SCRATCH_EN: 0
; COMPUTE_PGM_RSRC2:USER_SGPR: 2
; COMPUTE_PGM_RSRC2:TRAP_HANDLER: 0
; COMPUTE_PGM_RSRC2:TGID_X_EN: 1
; COMPUTE_PGM_RSRC2:TGID_Y_EN: 0
; COMPUTE_PGM_RSRC2:TGID_Z_EN: 1
; COMPUTE_PGM_RSRC2:TIDIG_COMP_CNT: 1
; COMPUTE_PGM_RSRC3_GFX90A:ACCUM_OFFSET: 16
; COMPUTE_PGM_RSRC3_GFX90A:TG_SPLIT: 0
	.section	.text._ZL36rocblas_hemvn_kernel_lower_block_sumILi64EiPKfPKPffEviT1_lS5_lT2_lT0_lPT3_i,"axG",@progbits,_ZL36rocblas_hemvn_kernel_lower_block_sumILi64EiPKfPKPffEviT1_lS5_lT2_lT0_lPT3_i,comdat
	.globl	_ZL36rocblas_hemvn_kernel_lower_block_sumILi64EiPKfPKPffEviT1_lS5_lT2_lT0_lPT3_i ; -- Begin function _ZL36rocblas_hemvn_kernel_lower_block_sumILi64EiPKfPKPffEviT1_lS5_lT2_lT0_lPT3_i
	.p2align	8
	.type	_ZL36rocblas_hemvn_kernel_lower_block_sumILi64EiPKfPKPffEviT1_lS5_lT2_lT0_lPT3_i,@function
_ZL36rocblas_hemvn_kernel_lower_block_sumILi64EiPKfPKPffEviT1_lS5_lT2_lT0_lPT3_i: ; @_ZL36rocblas_hemvn_kernel_lower_block_sumILi64EiPKfPKPffEviT1_lS5_lT2_lT0_lPT3_i
; %bb.0:
	s_load_dwordx8 s[12:19], s[0:1], 0x8
	s_mov_b32 s10, s3
	s_waitcnt lgkmcnt(0)
	s_mul_i32 s3, s3, s15
	s_mul_hi_u32 s4, s10, s14
	s_add_i32 s5, s4, s3
	s_mul_i32 s4, s10, s14
	s_lshl_b64 s[4:5], s[4:5], 2
	s_add_u32 s4, s12, s4
	s_addc_u32 s5, s13, s5
	s_load_dword s3, s[4:5], 0x0
	s_mul_i32 s4, s10, s19
	s_mul_hi_u32 s5, s10, s18
	s_add_i32 s5, s5, s4
	s_mul_i32 s4, s10, s18
	s_lshl_b64 s[4:5], s[4:5], 2
	s_add_u32 s4, s16, s4
	s_addc_u32 s5, s17, s5
	s_load_dword s18, s[4:5], 0x0
	s_waitcnt lgkmcnt(0)
	v_cmp_eq_f32_e64 s[4:5], s3, 0
	v_cmp_eq_f32_e64 s[6:7], s18, 1.0
	s_and_b64 s[4:5], s[4:5], s[6:7]
	s_and_b64 vcc, exec, s[4:5]
	s_cbranch_vccnz .LBB150_19
; %bb.1:
	s_load_dwordx4 s[4:7], s[0:1], 0x28
	s_mov_b32 s11, 0
	s_lshl_b64 s[8:9], s[10:11], 3
	s_load_dword s19, s[0:1], 0x38
	s_load_dword s12, s[0:1], 0x0
	v_lshl_or_b32 v2, s2, 6, v0
	s_waitcnt lgkmcnt(0)
	s_add_u32 s4, s4, s8
	s_addc_u32 s5, s5, s9
	s_load_dwordx2 s[4:5], s[4:5], 0x0
	s_lshl_b64 s[6:7], s[6:7], 2
	v_cmp_neq_f32_e64 s[8:9], s3, 0
	s_waitcnt lgkmcnt(0)
	s_add_u32 s6, s4, s6
	s_addc_u32 s7, s5, s7
	s_and_b64 vcc, exec, s[8:9]
	v_cmp_gt_i32_e64 s[4:5], s12, v2
	s_cbranch_vccnz .LBB150_6
; %bb.2:
	s_mov_b64 s[14:15], 0
	s_mov_b64 s[8:9], 0
                                        ; implicit-def: $vgpr3
                                        ; implicit-def: $vgpr0_vgpr1
	s_and_saveexec_b64 s[16:17], s[4:5]
	s_cbranch_execz .LBB150_7
; %bb.3:
	v_cmp_eq_f32_e64 s[4:5], s18, 0
	v_mul_lo_u32 v0, v2, s19
	v_mov_b32_e32 v3, 0
	v_ashrrev_i32_e32 v1, 31, v0
	s_and_b64 vcc, exec, s[4:5]
	s_cbranch_vccnz .LBB150_5
; %bb.4:
	v_lshl_add_u64 v[4:5], v[0:1], 2, s[6:7]
	global_load_dword v3, v[4:5], off
	s_waitcnt vmcnt(0)
	v_mul_f32_e32 v3, s18, v3
.LBB150_5:
	s_mov_b64 s[8:9], exec
	s_or_b64 exec, exec, s[16:17]
	s_and_b64 vcc, exec, s[14:15]
	s_cbranch_vccnz .LBB150_8
	s_branch .LBB150_17
.LBB150_6:
	s_mov_b64 s[8:9], 0
                                        ; implicit-def: $vgpr3
                                        ; implicit-def: $vgpr0_vgpr1
	s_cbranch_execnz .LBB150_8
	s_branch .LBB150_17
.LBB150_7:
	s_or_b64 exec, exec, s[16:17]
	s_and_b64 vcc, exec, s[14:15]
	s_cbranch_vccz .LBB150_17
.LBB150_8:
	v_cmp_gt_i32_e32 vcc, s12, v2
                                        ; implicit-def: $vgpr3
                                        ; implicit-def: $vgpr0_vgpr1
	s_and_saveexec_b64 s[4:5], vcc
	s_cbranch_execz .LBB150_16
; %bb.9:
	s_load_dword s11, s[0:1], 0x58
	v_mov_b32_e32 v4, 0
	s_waitcnt lgkmcnt(0)
	s_cmp_ge_i32 s2, s11
	s_cbranch_scc1 .LBB150_12
; %bb.10:
	s_ashr_i32 s13, s12, 31
	s_mul_i32 s14, s2, s12
	s_load_dwordx2 s[0:1], s[0:1], 0x48
	v_add_u32_e32 v0, s14, v2
	s_mul_hi_u32 s14, s12, s10
	s_mul_i32 s15, s13, s10
	s_add_i32 s14, s14, s15
	s_mul_i32 s10, s12, s10
	s_mul_i32 s14, s14, s11
	s_mul_hi_u32 s15, s10, s11
	s_add_i32 s15, s15, s14
	s_mul_i32 s14, s10, s11
	s_lshl_b64 s[14:15], s[14:15], 2
	s_waitcnt lgkmcnt(0)
	s_add_u32 s0, s0, s14
	v_ashrrev_i32_e32 v1, 31, v0
	s_addc_u32 s1, s1, s15
	v_lshl_add_u64 v[0:1], v[0:1], 2, s[0:1]
	s_lshl_b64 s[0:1], s[12:13], 2
	v_mov_b32_e32 v4, 0
.LBB150_11:                             ; =>This Inner Loop Header: Depth=1
	global_load_dword v3, v[0:1], off
	s_add_i32 s2, s2, 1
	v_lshl_add_u64 v[0:1], v[0:1], 0, s[0:1]
	s_cmp_ge_i32 s2, s11
	s_waitcnt vmcnt(0)
	v_add_f32_e32 v4, v4, v3
	s_cbranch_scc0 .LBB150_11
.LBB150_12:
	v_cmp_eq_f32_e64 s[0:1], s18, 0
	v_mul_lo_u32 v0, v2, s19
	s_and_b64 vcc, exec, s[0:1]
	v_ashrrev_i32_e32 v1, 31, v0
	s_cbranch_vccz .LBB150_20
; %bb.13:
	v_mul_f32_e32 v3, s3, v4
	s_cbranch_execnz .LBB150_15
.LBB150_14:
	v_lshl_add_u64 v[2:3], v[0:1], 2, s[6:7]
	global_load_dword v2, v[2:3], off
	s_waitcnt vmcnt(0)
	v_mul_f32_e32 v3, s18, v2
	v_fmac_f32_e32 v3, s3, v4
.LBB150_15:
	s_or_b64 s[8:9], s[8:9], exec
.LBB150_16:
	s_or_b64 exec, exec, s[4:5]
.LBB150_17:
	s_and_saveexec_b64 s[0:1], s[8:9]
	s_cbranch_execz .LBB150_19
; %bb.18:
	v_lshl_add_u64 v[0:1], v[0:1], 2, s[6:7]
	global_store_dword v[0:1], v3, off
.LBB150_19:
	s_endpgm
.LBB150_20:
                                        ; implicit-def: $vgpr3
	s_branch .LBB150_14
	.section	.rodata,"a",@progbits
	.p2align	6, 0x0
	.amdhsa_kernel _ZL36rocblas_hemvn_kernel_lower_block_sumILi64EiPKfPKPffEviT1_lS5_lT2_lT0_lPT3_i
		.amdhsa_group_segment_fixed_size 0
		.amdhsa_private_segment_fixed_size 0
		.amdhsa_kernarg_size 344
		.amdhsa_user_sgpr_count 2
		.amdhsa_user_sgpr_dispatch_ptr 0
		.amdhsa_user_sgpr_queue_ptr 0
		.amdhsa_user_sgpr_kernarg_segment_ptr 1
		.amdhsa_user_sgpr_dispatch_id 0
		.amdhsa_user_sgpr_kernarg_preload_length 0
		.amdhsa_user_sgpr_kernarg_preload_offset 0
		.amdhsa_user_sgpr_private_segment_size 0
		.amdhsa_uses_dynamic_stack 0
		.amdhsa_enable_private_segment 0
		.amdhsa_system_sgpr_workgroup_id_x 1
		.amdhsa_system_sgpr_workgroup_id_y 0
		.amdhsa_system_sgpr_workgroup_id_z 1
		.amdhsa_system_sgpr_workgroup_info 0
		.amdhsa_system_vgpr_workitem_id 0
		.amdhsa_next_free_vgpr 6
		.amdhsa_next_free_sgpr 20
		.amdhsa_accum_offset 8
		.amdhsa_reserve_vcc 1
		.amdhsa_float_round_mode_32 0
		.amdhsa_float_round_mode_16_64 0
		.amdhsa_float_denorm_mode_32 3
		.amdhsa_float_denorm_mode_16_64 3
		.amdhsa_dx10_clamp 1
		.amdhsa_ieee_mode 1
		.amdhsa_fp16_overflow 0
		.amdhsa_tg_split 0
		.amdhsa_exception_fp_ieee_invalid_op 0
		.amdhsa_exception_fp_denorm_src 0
		.amdhsa_exception_fp_ieee_div_zero 0
		.amdhsa_exception_fp_ieee_overflow 0
		.amdhsa_exception_fp_ieee_underflow 0
		.amdhsa_exception_fp_ieee_inexact 0
		.amdhsa_exception_int_div_zero 0
	.end_amdhsa_kernel
	.section	.text._ZL36rocblas_hemvn_kernel_lower_block_sumILi64EiPKfPKPffEviT1_lS5_lT2_lT0_lPT3_i,"axG",@progbits,_ZL36rocblas_hemvn_kernel_lower_block_sumILi64EiPKfPKPffEviT1_lS5_lT2_lT0_lPT3_i,comdat
.Lfunc_end150:
	.size	_ZL36rocblas_hemvn_kernel_lower_block_sumILi64EiPKfPKPffEviT1_lS5_lT2_lT0_lPT3_i, .Lfunc_end150-_ZL36rocblas_hemvn_kernel_lower_block_sumILi64EiPKfPKPffEviT1_lS5_lT2_lT0_lPT3_i
                                        ; -- End function
	.section	.AMDGPU.csdata,"",@progbits
; Kernel info:
; codeLenInByte = 600
; NumSgprs: 26
; NumVgprs: 6
; NumAgprs: 0
; TotalNumVgprs: 6
; ScratchSize: 0
; MemoryBound: 0
; FloatMode: 240
; IeeeMode: 1
; LDSByteSize: 0 bytes/workgroup (compile time only)
; SGPRBlocks: 3
; VGPRBlocks: 0
; NumSGPRsForWavesPerEU: 26
; NumVGPRsForWavesPerEU: 6
; AccumOffset: 8
; Occupancy: 8
; WaveLimiterHint : 1
; COMPUTE_PGM_RSRC2:SCRATCH_EN: 0
; COMPUTE_PGM_RSRC2:USER_SGPR: 2
; COMPUTE_PGM_RSRC2:TRAP_HANDLER: 0
; COMPUTE_PGM_RSRC2:TGID_X_EN: 1
; COMPUTE_PGM_RSRC2:TGID_Y_EN: 0
; COMPUTE_PGM_RSRC2:TGID_Z_EN: 1
; COMPUTE_PGM_RSRC2:TIDIG_COMP_CNT: 0
; COMPUTE_PGM_RSRC3_GFX90A:ACCUM_OFFSET: 1
; COMPUTE_PGM_RSRC3_GFX90A:TG_SPLIT: 0
	.section	.text._ZL26rocblas_hemvn_kernel_lowerILb0ELi64ELi4ELi33ELi32ELi16ElfPKPKfPfEviT6_lT7_lT5_lS6_lS7_lS5_lT8_i,"axG",@progbits,_ZL26rocblas_hemvn_kernel_lowerILb0ELi64ELi4ELi33ELi32ELi16ElfPKPKfPfEviT6_lT7_lT5_lS6_lS7_lS5_lT8_i,comdat
	.globl	_ZL26rocblas_hemvn_kernel_lowerILb0ELi64ELi4ELi33ELi32ELi16ElfPKPKfPfEviT6_lT7_lT5_lS6_lS7_lS5_lT8_i ; -- Begin function _ZL26rocblas_hemvn_kernel_lowerILb0ELi64ELi4ELi33ELi32ELi16ElfPKPKfPfEviT6_lT7_lT5_lS6_lS7_lS5_lT8_i
	.p2align	8
	.type	_ZL26rocblas_hemvn_kernel_lowerILb0ELi64ELi4ELi33ELi32ELi16ElfPKPKfPfEviT6_lT7_lT5_lS6_lS7_lS5_lT8_i,@function
_ZL26rocblas_hemvn_kernel_lowerILb0ELi64ELi4ELi33ELi32ELi16ElfPKPKfPfEviT6_lT7_lT5_lS6_lS7_lS5_lT8_i: ; @_ZL26rocblas_hemvn_kernel_lowerILb0ELi64ELi4ELi33ELi32ELi16ElfPKPKfPfEviT6_lT7_lT5_lS6_lS7_lS5_lT8_i
; %bb.0:
	s_load_dwordx2 s[4:5], s[0:1], 0x7c
	s_add_u32 s14, s0, 0x70
	s_mov_b32 s28, s3
	s_addc_u32 s15, s1, 0
	s_waitcnt lgkmcnt(0)
	s_and_b32 s3, s5, 0xffff
	s_lshr_b32 s5, s4, 16
	s_and_b32 s4, s4, 0xffff
	s_mul_i32 s4, s5, s4
	s_mul_i32 s4, s4, s3
	s_cmpk_lg_i32 s4, 0x100
	s_cbranch_scc1 .LBB151_80
; %bb.1:
	s_load_dwordx2 s[30:31], s[0:1], 0x0
	s_load_dword s3, s[0:1], 0x50
	s_waitcnt lgkmcnt(0)
	v_cmp_eq_f32_e64 s[8:9], s31, 0
	v_cmp_eq_f32_e64 s[4:5], s3, 1.0
	s_and_b64 s[4:5], s[8:9], s[4:5]
	s_and_b64 vcc, exec, s[4:5]
	s_cbranch_vccnz .LBB151_80
; %bb.2:
	s_load_dwordx4 s[4:7], s[0:1], 0x10
	s_load_dwordx2 s[24:25], s[0:1], 0x20
	s_mov_b32 s29, 0
	v_cmp_neq_f32_e64 s[18:19], s31, 0
	s_mov_b64 s[16:17], 0
	s_and_b64 vcc, exec, s[8:9]
	s_mov_b64 s[12:13], 0
	s_cbranch_vccnz .LBB151_4
; %bb.3:
	s_lshl_b64 s[8:9], s[28:29], 3
	s_waitcnt lgkmcnt(0)
	s_add_u32 s4, s4, s8
	s_addc_u32 s5, s5, s9
	s_load_dwordx2 s[4:5], s[4:5], 0x0
	s_lshl_b64 s[6:7], s[6:7], 2
	s_waitcnt lgkmcnt(0)
	s_add_u32 s12, s4, s6
	s_addc_u32 s13, s5, s7
.LBB151_4:
	s_load_dwordx4 s[8:11], s[0:1], 0x30
	s_load_dwordx2 s[22:23], s[0:1], 0x40
	v_cndmask_b32_e64 v1, 0, 1, s[18:19]
	s_waitcnt lgkmcnt(0)
	v_cmp_ne_u32_e64 s[4:5], 1, v1
	s_andn2_b64 vcc, exec, s[18:19]
	s_cbranch_vccnz .LBB151_6
; %bb.5:
	s_lshl_b64 s[6:7], s[28:29], 3
	s_add_u32 s6, s8, s6
	s_addc_u32 s7, s9, s7
	s_load_dwordx2 s[6:7], s[6:7], 0x0
	s_lshl_b64 s[8:9], s[10:11], 2
	s_waitcnt lgkmcnt(0)
	s_add_u32 s16, s6, s8
	s_addc_u32 s17, s7, s9
.LBB151_6:
	s_and_b64 vcc, exec, s[4:5]
	s_cbranch_vccnz .LBB151_80
; %bb.7:
	s_load_dword s3, s[14:15], 0x0
	s_ashr_i32 s29, s30, 31
	s_lshr_b32 s5, s29, 26
	s_add_i32 s5, s30, s5
	v_and_b32_e32 v18, 0x3ff, v0
	s_lshl_b32 s36, s2, 6
	s_andn2_b32 s5, s5, 63
	s_waitcnt lgkmcnt(0)
	s_add_i32 s4, s3, -1
	s_sub_i32 s5, s30, s5
	v_add_u32_e32 v4, s36, v18
	s_cmp_eq_u32 s2, s4
	v_ashrrev_i32_e32 v5, 31, v4
	v_bfe_u32 v16, v0, 10, 10
	s_cselect_b32 s34, s5, 0
	v_mul_lo_u32 v2, v5, s22
	v_mul_lo_u32 v3, v4, s23
	v_mad_u64_u32 v[0:1], s[4:5], v4, s22, 0
	v_add3_u32 v1, v1, v3, v2
	v_lshl_add_u64 v[6:7], v[0:1], 2, s[16:17]
	v_cmp_ne_u32_e64 s[4:5], 0, v16
	v_cmp_eq_u32_e64 s[18:19], 0, v16
	s_and_saveexec_b64 s[6:7], s[18:19]
	s_cbranch_execz .LBB151_11
; %bb.8:
	s_cmp_eq_u32 s34, 0
	s_cselect_b64 s[8:9], -1, 0
	v_cmp_gt_i32_e32 vcc, s34, v18
	s_or_b64 s[10:11], s[8:9], vcc
	v_mov_b32_e32 v0, 0
	s_and_saveexec_b64 s[8:9], s[10:11]
	s_cbranch_execz .LBB151_10
; %bb.9:
	flat_load_dword v0, v[6:7]
.LBB151_10:
	s_or_b64 exec, exec, s[8:9]
	v_lshlrev_b32_e32 v1, 2, v18
	s_waitcnt vmcnt(0) lgkmcnt(0)
	ds_write_b32 v1, v0 offset:4544
.LBB151_11:
	s_or_b64 exec, exec, s[6:7]
	s_ashr_i32 s37, s36, 31
	v_lshl_add_u32 v19, v16, 6, v18
	s_lshl_b64 s[6:7], s[36:37], 2
	v_and_b32_e32 v0, 31, v18
	v_lshrrev_b32_e32 v14, 5, v19
	s_add_u32 s8, s12, s6
	v_mov_b32_e32 v1, 0
	s_addc_u32 s9, s13, s7
	v_mad_u64_u32 v[8:9], s[6:7], v14, s24, v[0:1]
	v_mov_b32_e32 v2, v9
	v_mad_u64_u32 v[2:3], s[6:7], v14, s25, v[2:3]
	s_mul_i32 s6, s36, s25
	s_mul_hi_u32 s7, s36, s24
	s_add_i32 s6, s7, s6
	s_mul_i32 s7, s37, s24
	s_add_i32 s7, s6, s7
	s_mul_i32 s6, s36, s24
	s_lshl_b64 s[38:39], s[6:7], 2
	s_add_u32 s6, s38, s8
	s_addc_u32 s7, s39, s9
	s_cmp_lg_u32 s34, 0
	v_mov_b32_e32 v9, v2
	s_cselect_b64 s[40:41], -1, 0
	s_cmp_eq_u32 s34, 0
	v_lshl_add_u64 v[2:3], v[8:9], 2, s[6:7]
	s_cselect_b64 s[20:21], -1, 0
	s_and_b64 vcc, exec, s[40:41]
	s_cbranch_vccnz .LBB151_13
; %bb.12:
	flat_load_dword v1, v[2:3]
	v_mul_u32_u24_e32 v10, 33, v14
	s_lshl_b64 s[6:7], s[24:25], 5
	v_add_lshl_u32 v12, v10, v0, 2
	v_lshl_add_u64 v[10:11], v[2:3], 0, s[6:7]
	s_mul_i32 s8, s25, 0x60
	s_waitcnt vmcnt(0) lgkmcnt(0)
	ds_write_b32 v12, v1
	flat_load_dword v1, v[10:11]
	v_lshl_add_u64 v[10:11], v[10:11], 0, s[6:7]
	s_waitcnt vmcnt(0) lgkmcnt(0)
	ds_write_b32 v12, v1 offset:1056
	flat_load_dword v1, v[10:11]
	v_mov_b32_e32 v10, 0x60
	v_mad_u64_u32 v[10:11], s[6:7], s24, v10, v[2:3]
	v_add_u32_e32 v11, s8, v11
	s_waitcnt vmcnt(0) lgkmcnt(0)
	ds_write_b32 v12, v1 offset:2112
	flat_load_dword v1, v[10:11]
	s_waitcnt vmcnt(0) lgkmcnt(0)
	ds_write_b32 v12, v1 offset:3168
	s_cbranch_execz .LBB151_14
	s_branch .LBB151_23
.LBB151_13:
.LBB151_14:
	v_lshlrev_b32_e32 v10, 2, v0
	v_sub_co_u32_e32 v12, vcc, v2, v10
	s_ashr_i32 s35, s34, 31
	s_nop 0
	v_subbrev_co_u32_e32 v13, vcc, 0, v3, vcc
	v_lshl_add_u64 v[12:13], s[34:35], 2, v[12:13]
	v_lshl_add_u64 v[12:13], v[12:13], 0, -4
	v_cmp_gt_i32_e32 vcc, s34, v0
	v_mov_b32_e32 v11, 0
	v_cmp_gt_i32_e64 s[6:7], s34, v14
	v_cndmask_b32_e32 v13, v13, v3, vcc
	v_cndmask_b32_e32 v12, v12, v2, vcc
	v_mov_b32_e32 v15, 0
	s_and_saveexec_b64 s[8:9], s[6:7]
	s_cbranch_execz .LBB151_16
; %bb.15:
	flat_load_dword v15, v[12:13]
.LBB151_16:
	s_or_b64 exec, exec, s[8:9]
	v_mul_u32_u24_e32 v1, 33, v14
	v_add_lshl_u32 v1, v1, v0, 2
	s_waitcnt vmcnt(0) lgkmcnt(0)
	ds_write_b32 v1, v15
	v_add_u32_e32 v15, 8, v14
	v_cmp_gt_i32_e64 s[6:7], s34, v15
	s_and_saveexec_b64 s[8:9], s[6:7]
	s_cbranch_execz .LBB151_18
; %bb.17:
	s_lshl_b64 s[6:7], s[24:25], 5
	v_lshl_add_u64 v[20:21], v[12:13], 0, s[6:7]
	flat_load_dword v11, v[20:21]
.LBB151_18:
	s_or_b64 exec, exec, s[8:9]
	s_waitcnt vmcnt(0) lgkmcnt(0)
	ds_write_b32 v1, v11 offset:1056
	v_add_u32_e32 v11, 16, v14
	v_cmp_gt_i32_e64 s[6:7], s34, v11
	v_mov_b32_e32 v11, 0
	v_mov_b32_e32 v15, 0
	s_and_saveexec_b64 s[8:9], s[6:7]
	s_cbranch_execz .LBB151_20
; %bb.19:
	s_lshl_b64 s[6:7], s[24:25], 6
	v_lshl_add_u64 v[20:21], v[12:13], 0, s[6:7]
	flat_load_dword v15, v[20:21]
.LBB151_20:
	s_or_b64 exec, exec, s[8:9]
	s_waitcnt vmcnt(0) lgkmcnt(0)
	ds_write_b32 v1, v15 offset:2112
	v_add_u32_e32 v15, 24, v14
	v_cmp_gt_i32_e64 s[6:7], s34, v15
	s_and_saveexec_b64 s[8:9], s[6:7]
	s_cbranch_execz .LBB151_22
; %bb.21:
	v_mov_b32_e32 v11, 0x60
	v_mad_u64_u32 v[20:21], s[6:7], s24, v11, v[12:13]
	s_mul_i32 s6, s25, 0x60
	s_nop 0
	v_add_u32_e32 v21, s6, v21
	flat_load_dword v11, v[20:21]
.LBB151_22:
	s_or_b64 exec, exec, s[8:9]
	s_waitcnt vmcnt(0) lgkmcnt(0)
	ds_write_b32 v1, v11 offset:3168
	v_mov_b32_e32 v11, 0
	v_lshl_add_u64 v[10:11], v[12:13], 0, v[10:11]
	s_lshl_b64 s[6:7], s[34:35], 2
	v_mov_b32_e32 v1, s7
	v_subrev_co_u32_e64 v10, s[6:7], s6, v10
	s_nop 1
	v_subb_co_u32_e64 v11, s[6:7], v11, v1, s[6:7]
	v_lshl_add_u64 v[10:11], v[10:11], 0, 4
	v_cndmask_b32_e32 v3, v11, v3, vcc
	v_cndmask_b32_e32 v2, v10, v2, vcc
.LBB151_23:
	v_lshlrev_b32_e32 v1, 2, v14
	v_mul_u32_u24_e32 v20, 33, v0
	v_cmp_lt_u32_e64 s[8:9], v1, v0
	v_add_lshl_u32 v12, v1, v20, 2
	s_waitcnt lgkmcnt(0)
	s_barrier
	s_and_saveexec_b64 s[6:7], s[8:9]
	s_cbranch_execz .LBB151_25
; %bb.24:
	v_mul_u32_u24_e32 v10, 0x84, v14
	v_add_lshl_u32 v10, v10, v0, 2
	ds_read_b32 v10, v10
	s_waitcnt lgkmcnt(0)
	ds_write_b32 v12, v10
.LBB151_25:
	s_or_b64 exec, exec, s[6:7]
	v_or_b32_e32 v10, 1, v1
	v_cmp_lt_u32_e64 s[10:11], v10, v0
	s_and_saveexec_b64 s[6:7], s[10:11]
	s_cbranch_execz .LBB151_27
; %bb.26:
	v_mul_u32_u24_e32 v10, 33, v10
	v_add_lshl_u32 v10, v10, v0, 2
	ds_read_b32 v10, v10
	s_waitcnt lgkmcnt(0)
	ds_write_b32 v12, v10 offset:4
.LBB151_27:
	s_or_b64 exec, exec, s[6:7]
	v_or_b32_e32 v10, 2, v1
	v_cmp_lt_u32_e64 s[12:13], v10, v0
	s_and_saveexec_b64 s[6:7], s[12:13]
	s_cbranch_execz .LBB151_29
; %bb.28:
	v_mul_u32_u24_e32 v10, 33, v10
	v_add_lshl_u32 v10, v10, v0, 2
	ds_read_b32 v10, v10
	s_waitcnt lgkmcnt(0)
	ds_write_b32 v12, v10 offset:8
.LBB151_29:
	s_or_b64 exec, exec, s[6:7]
	v_or_b32_e32 v10, 3, v1
	v_cmp_lt_u32_e64 s[14:15], v10, v0
	v_mad_u32_u24 v10, v10, 33, v0
	v_lshlrev_b32_e32 v15, 2, v10
	s_and_saveexec_b64 s[6:7], s[14:15]
	s_cbranch_execz .LBB151_31
; %bb.30:
	ds_read_b32 v10, v15
	s_waitcnt lgkmcnt(0)
	ds_write_b32 v12, v10 offset:12
.LBB151_31:
	s_or_b64 exec, exec, s[6:7]
	v_mul_u32_u24_e32 v10, 0x84, v14
	v_add_u32_e32 v23, 0xfffffef8, v15
	s_waitcnt lgkmcnt(0)
	s_barrier
	v_add_lshl_u32 v22, v10, v0, 2
	v_lshlrev_b32_e32 v13, 2, v1
	ds_read2_b32 v[10:11], v23 offset1:33
	ds_read_b32 v28, v22
	ds_read_b128 v[24:27], v13 offset:4544
	ds_read_b32 v31, v15
	v_add_lshl_u32 v21, v14, v20, 2
	s_waitcnt lgkmcnt(3)
	v_mov_b32_e32 v29, v10
	v_mov_b32_e32 v30, v11
	s_waitcnt lgkmcnt(1)
	v_pk_mul_f32 v[24:25], v[28:29], v[24:25]
	v_cmp_gt_u32_e64 s[6:7], 32, v19
	v_add_f32_e32 v10, 0, v24
	v_add_f32_e32 v17, v10, v25
	s_waitcnt lgkmcnt(0)
	v_pk_mul_f32 v[10:11], v[30:31], v[26:27]
	s_nop 0
	v_add_f32_e32 v10, v17, v10
	v_add_f32_e32 v10, v10, v11
	v_mov_b32_e32 v17, 0
	s_barrier
	ds_write_b32 v21, v10
	s_waitcnt lgkmcnt(0)
	s_barrier
	s_and_saveexec_b64 s[16:17], s[6:7]
	s_cbranch_execz .LBB151_33
; %bb.32:
	v_lshlrev_b32_e32 v17, 2, v20
	ds_read2_b32 v[10:11], v17 offset1:1
	ds_read2_b32 v[24:25], v17 offset0:2 offset1:3
	ds_read2_b32 v[26:27], v17 offset0:4 offset1:5
	;; [unrolled: 1-line block ×3, first 2 shown]
	s_waitcnt lgkmcnt(3)
	v_add_f32_e32 v10, v10, v11
	s_waitcnt lgkmcnt(2)
	v_add_f32_e32 v10, v10, v24
	v_add_f32_e32 v10, v10, v25
	s_waitcnt lgkmcnt(1)
	v_add_f32_e32 v10, v10, v26
	;; [unrolled: 3-line block ×3, first 2 shown]
	v_add_f32_e32 v17, v10, v29
.LBB151_33:
	s_or_b64 exec, exec, s[16:17]
	s_lshl_b64 s[26:27], s[24:25], 7
	v_lshl_add_u64 v[10:11], v[2:3], 0, s[26:27]
	s_mov_b64 s[44:45], 0x80
	v_cndmask_b32_e64 v2, 0, 1, s[20:21]
	s_lshl_b64 s[42:43], s[24:25], 5
	v_cmp_ne_u32_e64 s[16:17], 1, v2
	s_andn2_b64 vcc, exec, s[20:21]
	v_lshl_add_u64 v[2:3], v[10:11], 0, s[44:45]
	s_barrier
	s_cbranch_vccnz .LBB151_35
; %bb.34:
	flat_load_dword v26, v[10:11] offset:128
	v_mul_u32_u24_e32 v27, 33, v14
	v_add_lshl_u32 v27, v27, v0, 2
	v_lshl_add_u64 v[24:25], v[10:11], 0, s[42:43]
	s_mul_i32 s31, s25, 0x60
	s_waitcnt vmcnt(0) lgkmcnt(0)
	ds_write_b32 v27, v26
	flat_load_dword v26, v[24:25] offset:128
	v_lshl_add_u64 v[24:25], v[24:25], 0, s[42:43]
	s_waitcnt vmcnt(0) lgkmcnt(0)
	ds_write_b32 v27, v26 offset:1056
	flat_load_dword v24, v[24:25] offset:128
	v_mov_b32_e32 v25, 0x60
	v_mad_u64_u32 v[10:11], s[20:21], s24, v25, v[10:11]
	v_add_u32_e32 v11, s31, v11
	s_waitcnt vmcnt(0) lgkmcnt(0)
	ds_write_b32 v27, v24 offset:2112
	flat_load_dword v10, v[10:11] offset:128
	s_waitcnt vmcnt(0) lgkmcnt(0)
	ds_write_b32 v27, v10 offset:3168
	s_cbranch_execz .LBB151_36
	s_branch .LBB151_45
.LBB151_35:
.LBB151_36:
	v_or_b32_e32 v24, 32, v0
	v_lshlrev_b32_e32 v10, 2, v24
	v_sub_co_u32_e32 v10, vcc, v2, v10
	s_ashr_i32 s35, s34, 31
	s_nop 0
	v_subbrev_co_u32_e32 v11, vcc, 0, v3, vcc
	v_lshl_add_u64 v[10:11], s[34:35], 2, v[10:11]
	v_lshl_add_u64 v[10:11], v[10:11], 0, -4
	v_cmp_gt_i32_e32 vcc, s34, v24
	s_sub_i32 s31, s34, 32
	v_mov_b32_e32 v25, 0
	v_cndmask_b32_e32 v11, v11, v3, vcc
	v_cndmask_b32_e32 v10, v10, v2, vcc
	v_cmp_gt_i32_e64 s[20:21], s31, v14
	v_mov_b32_e32 v26, 0
	s_and_saveexec_b64 s[44:45], s[20:21]
	s_cbranch_execz .LBB151_38
; %bb.37:
	flat_load_dword v26, v[10:11]
.LBB151_38:
	s_or_b64 exec, exec, s[44:45]
	v_mul_u32_u24_e32 v24, 33, v14
	v_add_lshl_u32 v24, v24, v0, 2
	s_waitcnt vmcnt(0) lgkmcnt(0)
	ds_write_b32 v24, v26
	v_add_u32_e32 v26, 8, v14
	v_cmp_gt_i32_e64 s[20:21], s31, v26
	s_and_saveexec_b64 s[44:45], s[20:21]
	s_cbranch_execz .LBB151_40
; %bb.39:
	v_lshl_add_u64 v[26:27], v[10:11], 0, s[42:43]
	flat_load_dword v25, v[26:27]
.LBB151_40:
	s_or_b64 exec, exec, s[44:45]
	s_waitcnt vmcnt(0) lgkmcnt(0)
	ds_write_b32 v24, v25 offset:1056
	v_add_u32_e32 v25, 16, v14
	v_cmp_gt_i32_e64 s[20:21], s31, v25
	v_mov_b32_e32 v25, 0
	v_mov_b32_e32 v26, 0
	s_and_saveexec_b64 s[44:45], s[20:21]
	s_cbranch_execz .LBB151_42
; %bb.41:
	s_lshl_b64 s[20:21], s[24:25], 6
	v_lshl_add_u64 v[26:27], v[10:11], 0, s[20:21]
	flat_load_dword v26, v[26:27]
.LBB151_42:
	s_or_b64 exec, exec, s[44:45]
	s_waitcnt vmcnt(0) lgkmcnt(0)
	ds_write_b32 v24, v26 offset:2112
	v_add_u32_e32 v26, 24, v14
	v_cmp_gt_i32_e64 s[20:21], s31, v26
	s_and_saveexec_b64 s[44:45], s[20:21]
	s_cbranch_execz .LBB151_44
; %bb.43:
	v_mov_b32_e32 v25, 0x60
	v_mad_u64_u32 v[26:27], s[20:21], s24, v25, v[10:11]
	s_mul_i32 s20, s25, 0x60
	s_nop 0
	v_add_u32_e32 v27, s20, v27
	flat_load_dword v25, v[26:27]
.LBB151_44:
	s_or_b64 exec, exec, s[44:45]
	s_waitcnt vmcnt(0) lgkmcnt(0)
	ds_write_b32 v24, v25 offset:3168
	v_lshlrev_b32_e32 v24, 2, v0
	v_mov_b32_e32 v25, 0
	v_lshl_add_u64 v[10:11], v[10:11], 0, v[24:25]
	s_lshl_b64 s[20:21], s[34:35], 2
	v_mov_b32_e32 v24, s21
	v_subrev_co_u32_e64 v10, s[20:21], s20, v10
	s_nop 1
	v_subb_co_u32_e64 v11, s[20:21], v11, v24, s[20:21]
	s_mov_b64 s[20:21], 0x84
	s_nop 0
	v_lshl_add_u64 v[10:11], v[10:11], 0, s[20:21]
	v_cndmask_b32_e32 v3, v11, v3, vcc
	v_cndmask_b32_e32 v2, v10, v2, vcc
.LBB151_45:
	v_add_u32_e32 v13, 0x11c0, v13
	s_waitcnt lgkmcnt(0)
	s_barrier
	s_and_saveexec_b64 s[20:21], s[8:9]
	s_cbranch_execnz .LBB151_54
; %bb.46:
	s_or_b64 exec, exec, s[20:21]
	s_and_saveexec_b64 s[8:9], s[10:11]
	s_cbranch_execnz .LBB151_55
.LBB151_47:
	s_or_b64 exec, exec, s[8:9]
	s_and_saveexec_b64 s[8:9], s[12:13]
	s_cbranch_execnz .LBB151_56
.LBB151_48:
	s_or_b64 exec, exec, s[8:9]
	s_and_saveexec_b64 s[8:9], s[14:15]
	s_cbranch_execz .LBB151_50
.LBB151_49:
	ds_read_b32 v10, v15
	s_waitcnt lgkmcnt(0)
	ds_write_b32 v12, v10 offset:12
.LBB151_50:
	s_or_b64 exec, exec, s[8:9]
	s_waitcnt lgkmcnt(0)
	s_barrier
	ds_read_b32 v22, v22
	ds_read_b128 v[24:27], v13 offset:128
	ds_read2_b32 v[10:11], v23 offset1:33
	ds_read_b32 v15, v15
	v_cmp_eq_u32_e64 s[8:9], 1, v14
	s_waitcnt lgkmcnt(0)
	v_fma_f32 v22, v22, v24, 0
	v_fmac_f32_e32 v22, v10, v25
	v_fmac_f32_e32 v22, v11, v26
	;; [unrolled: 1-line block ×3, first 2 shown]
	s_barrier
	ds_write_b32 v21, v22
	s_waitcnt lgkmcnt(0)
	s_barrier
	s_and_saveexec_b64 s[10:11], s[8:9]
	s_cbranch_execz .LBB151_52
; %bb.51:
	v_lshlrev_b32_e32 v15, 2, v20
	ds_read2_b32 v[10:11], v15 offset1:1
	ds_read2_b32 v[22:23], v15 offset0:2 offset1:3
	ds_read2_b32 v[24:25], v15 offset0:4 offset1:5
	;; [unrolled: 1-line block ×3, first 2 shown]
	s_waitcnt lgkmcnt(3)
	v_add_f32_e32 v10, v10, v11
	s_waitcnt lgkmcnt(2)
	v_add_f32_e32 v10, v10, v22
	v_add_f32_e32 v10, v10, v23
	s_waitcnt lgkmcnt(1)
	v_add_f32_e32 v10, v10, v24
	;; [unrolled: 3-line block ×3, first 2 shown]
	v_add_f32_e32 v17, v10, v27
.LBB151_52:
	s_or_b64 exec, exec, s[10:11]
	s_lshl_b64 s[10:11], s[42:43], 2
	v_mov_b32_e32 v11, s11
	v_subrev_co_u32_e64 v10, s[10:11], s10, v2
	s_and_b64 vcc, exec, s[16:17]
	s_nop 0
	v_subb_co_u32_e64 v11, s[10:11], v3, v11, s[10:11]
	s_barrier
	s_cbranch_vccnz .LBB151_57
; %bb.53:
	flat_load_dword v22, v[10:11]
	v_mad_u32_u24 v15, v14, 33, v0
	v_lshlrev_b32_e32 v28, 2, v15
	v_lshl_add_u64 v[2:3], v[10:11], 0, s[42:43]
	s_mul_i32 s12, s25, 0x60
	v_add_u32_e32 v23, 16, v14
	v_add_u32_e32 v24, 24, v14
	;; [unrolled: 1-line block ×5, first 2 shown]
	s_waitcnt vmcnt(0) lgkmcnt(0)
	ds_write_b32 v28, v22
	flat_load_dword v22, v[2:3]
	v_lshl_add_u64 v[2:3], v[2:3], 0, s[42:43]
	s_waitcnt vmcnt(0) lgkmcnt(0)
	ds_write_b32 v28, v22 offset:1056
	flat_load_dword v22, v[2:3]
	v_mov_b32_e32 v2, 0x60
	v_mad_u64_u32 v[2:3], s[10:11], s24, v2, v[10:11]
	v_add_u32_e32 v3, s12, v3
	s_waitcnt vmcnt(0) lgkmcnt(0)
	ds_write_b32 v28, v22 offset:2112
	flat_load_dword v2, v[2:3]
	v_add_u32_e32 v22, 8, v14
	s_waitcnt vmcnt(0) lgkmcnt(0)
	ds_write_b32 v28, v2 offset:3168
	s_cbranch_execz .LBB151_58
	s_branch .LBB151_67
.LBB151_54:
	ds_read_b32 v10, v22
	s_waitcnt lgkmcnt(0)
	ds_write_b32 v12, v10
	s_or_b64 exec, exec, s[20:21]
	s_and_saveexec_b64 s[8:9], s[10:11]
	s_cbranch_execz .LBB151_47
.LBB151_55:
	ds_read_b32 v10, v23
	s_waitcnt lgkmcnt(0)
	ds_write_b32 v12, v10 offset:4
	s_or_b64 exec, exec, s[8:9]
	s_and_saveexec_b64 s[8:9], s[12:13]
	s_cbranch_execz .LBB151_48
.LBB151_56:
	ds_read_b32 v10, v23 offset:132
	s_waitcnt lgkmcnt(0)
	ds_write_b32 v12, v10 offset:8
	s_or_b64 exec, exec, s[8:9]
	s_and_saveexec_b64 s[8:9], s[14:15]
	s_cbranch_execnz .LBB151_49
	s_branch .LBB151_50
.LBB151_57:
                                        ; implicit-def: $vgpr15
                                        ; implicit-def: $vgpr22
                                        ; implicit-def: $vgpr27
                                        ; implicit-def: $vgpr23
                                        ; implicit-def: $vgpr25
                                        ; implicit-def: $vgpr24
                                        ; implicit-def: $vgpr26
.LBB151_58:
	v_or_b32_e32 v15, 32, v0
	v_lshlrev_b32_e32 v2, 2, v15
	v_sub_co_u32_e32 v2, vcc, v10, v2
	s_ashr_i32 s35, s34, 31
	s_nop 0
	v_subbrev_co_u32_e32 v3, vcc, 0, v11, vcc
	v_lshl_add_u64 v[2:3], s[34:35], 2, v[2:3]
	v_lshl_add_u64 v[2:3], v[2:3], 0, -4
	v_cmp_gt_i32_e32 vcc, s34, v15
	v_mov_b32_e32 v23, 0
	v_cmp_gt_i32_e64 s[10:11], s34, v14
	v_cndmask_b32_e32 v3, v3, v11, vcc
	v_cndmask_b32_e32 v2, v2, v10, vcc
	v_mov_b32_e32 v22, 0
	s_and_saveexec_b64 s[12:13], s[10:11]
	s_cbranch_execz .LBB151_60
; %bb.59:
	flat_load_dword v22, v[2:3]
.LBB151_60:
	s_or_b64 exec, exec, s[12:13]
	v_mad_u32_u24 v15, v14, 33, v0
	v_lshlrev_b32_e32 v28, 2, v15
	s_waitcnt vmcnt(0) lgkmcnt(0)
	ds_write_b32 v28, v22
	v_add_u32_e32 v22, 8, v14
	v_cmp_gt_i32_e64 s[10:11], s34, v22
	s_and_saveexec_b64 s[12:13], s[10:11]
	s_cbranch_execz .LBB151_62
; %bb.61:
	v_lshl_add_u64 v[24:25], v[2:3], 0, s[42:43]
	flat_load_dword v23, v[24:25]
.LBB151_62:
	s_or_b64 exec, exec, s[12:13]
	s_waitcnt vmcnt(0) lgkmcnt(0)
	ds_write_b32 v28, v23 offset:1056
	v_add_u32_e32 v23, 16, v14
	v_cmp_gt_i32_e64 s[10:11], s34, v23
	v_mov_b32_e32 v29, 0
	v_mov_b32_e32 v24, 0
	s_and_saveexec_b64 s[12:13], s[10:11]
	s_cbranch_execz .LBB151_64
; %bb.63:
	s_lshl_b64 s[10:11], s[24:25], 6
	v_lshl_add_u64 v[24:25], v[2:3], 0, s[10:11]
	flat_load_dword v24, v[24:25]
.LBB151_64:
	s_or_b64 exec, exec, s[12:13]
	s_waitcnt vmcnt(0) lgkmcnt(0)
	ds_write_b32 v28, v24 offset:2112
	v_add_u32_e32 v24, 24, v14
	v_cmp_gt_i32_e64 s[10:11], s34, v24
	s_and_saveexec_b64 s[12:13], s[10:11]
	s_cbranch_execz .LBB151_66
; %bb.65:
	v_mov_b32_e32 v14, 0x60
	v_mad_u64_u32 v[26:27], s[10:11], s24, v14, v[2:3]
	s_mul_i32 s10, s25, 0x60
	s_nop 0
	v_add_u32_e32 v27, s10, v27
	flat_load_dword v29, v[26:27]
.LBB151_66:
	s_or_b64 exec, exec, s[12:13]
	s_waitcnt vmcnt(0) lgkmcnt(0)
	ds_write_b32 v28, v29 offset:3168
	v_lshlrev_b32_e32 v28, 2, v0
	v_mov_b32_e32 v29, 0
	v_lshl_add_u64 v[2:3], v[2:3], 0, v[28:29]
	s_lshl_b64 s[10:11], s[34:35], 2
	v_mov_b32_e32 v0, s11
	v_subrev_co_u32_e64 v2, s[10:11], s10, v2
	v_add_u32_e32 v27, 0x108, v15
	s_nop 0
	v_subb_co_u32_e64 v3, s[10:11], v3, v0, s[10:11]
	s_mov_b64 s[10:11], 0x84
	s_nop 0
	v_lshl_add_u64 v[2:3], v[2:3], 0, s[10:11]
	v_add_u32_e32 v25, 0x210, v15
	v_add_u32_e32 v26, 0x318, v15
	v_cndmask_b32_e32 v11, v3, v11, vcc
	v_cndmask_b32_e32 v10, v2, v10, vcc
.LBB151_67:
	s_waitcnt lgkmcnt(0)
	s_barrier
	v_lshlrev_b32_e32 v0, 2, v15
	ds_read_b32 v28, v1 offset:4544
	v_lshlrev_b32_e32 v1, 2, v27
	ds_read_b32 v27, v0
	ds_read_b32 v29, v1
	v_lshlrev_b32_e32 v0, 2, v22
	v_lshlrev_b32_e32 v1, 2, v25
	;; [unrolled: 1-line block ×5, first 2 shown]
	s_waitcnt lgkmcnt(1)
	v_fma_f32 v27, v27, v28, 0
	ds_read_b32 v22, v0 offset:4544
	ds_read_b32 v23, v1
	ds_read_b32 v24, v2 offset:4544
	ds_read_b32 v25, v3
	ds_read_b32 v26, v14 offset:4544
	ds_read2_b32 v[14:15], v12 offset1:1
	ds_read_b128 v[0:3], v13 offset:128
	ds_read2_b32 v[12:13], v12 offset0:2 offset1:3
	s_waitcnt lgkmcnt(7)
	v_fmac_f32_e32 v27, v29, v22
	s_waitcnt lgkmcnt(5)
	v_fmac_f32_e32 v27, v23, v24
	;; [unrolled: 2-line block ×3, first 2 shown]
	s_waitcnt lgkmcnt(0)
	s_barrier
	ds_write_b32 v21, v27
	s_waitcnt lgkmcnt(0)
	s_barrier
	s_and_saveexec_b64 s[10:11], s[8:9]
	s_cbranch_execz .LBB151_69
; %bb.68:
	v_lshlrev_b32_e32 v28, 2, v20
	ds_read2_b32 v[22:23], v28 offset1:1
	ds_read2_b32 v[24:25], v28 offset0:2 offset1:3
	ds_read2_b32 v[26:27], v28 offset0:4 offset1:5
	;; [unrolled: 1-line block ×3, first 2 shown]
	s_waitcnt lgkmcnt(3)
	v_add_f32_e32 v17, v17, v22
	v_add_f32_e32 v17, v17, v23
	s_waitcnt lgkmcnt(2)
	v_add_f32_e32 v17, v17, v24
	v_add_f32_e32 v17, v17, v25
	;; [unrolled: 3-line block ×4, first 2 shown]
.LBB151_69:
	s_or_b64 exec, exec, s[10:11]
	v_fma_f32 v0, v14, v0, 0
	v_fmac_f32_e32 v0, v15, v1
	v_fmac_f32_e32 v0, v12, v2
	;; [unrolled: 1-line block ×3, first 2 shown]
	s_barrier
	ds_write_b32 v21, v0
	s_waitcnt lgkmcnt(0)
	s_barrier
	s_and_saveexec_b64 s[8:9], s[6:7]
	s_cbranch_execz .LBB151_71
; %bb.70:
	v_lshlrev_b32_e32 v14, 2, v20
	ds_read2_b32 v[0:1], v14 offset1:1
	ds_read2_b32 v[2:3], v14 offset0:2 offset1:3
	ds_read2_b32 v[12:13], v14 offset0:4 offset1:5
	;; [unrolled: 1-line block ×3, first 2 shown]
	s_waitcnt lgkmcnt(3)
	v_add_f32_e32 v0, v17, v0
	v_add_f32_e32 v0, v0, v1
	s_waitcnt lgkmcnt(2)
	v_add_f32_e32 v0, v0, v2
	v_add_f32_e32 v0, v0, v3
	;; [unrolled: 3-line block ×4, first 2 shown]
.LBB151_71:
	s_or_b64 exec, exec, s[8:9]
	s_load_dwordx2 s[0:1], s[0:1], 0x60
	s_mul_hi_u32 s6, s30, s28
	s_mul_i32 s29, s29, s28
	s_add_i32 s6, s6, s29
	s_mul_i32 s8, s30, s28
	s_mul_i32 s6, s6, s3
	s_mul_hi_u32 s7, s8, s3
	s_add_i32 s7, s7, s6
	s_mul_i32 s6, s8, s3
	s_lshl_b64 s[6:7], s[6:7], 2
	s_waitcnt lgkmcnt(0)
	s_add_u32 s3, s0, s6
	s_mul_i32 s0, s2, s30
	s_addc_u32 s7, s1, s7
	s_ashr_i32 s1, s0, 31
	s_lshl_b64 s[0:1], s[0:1], 2
	s_add_u32 s6, s3, s0
	v_cmp_le_i32_e32 vcc, s34, v18
	s_addc_u32 s7, s7, s1
	s_and_b64 vcc, s[40:41], vcc
	s_cmp_lt_i32 s2, 1
	v_lshlrev_b32_e32 v0, 2, v18
	s_barrier
	s_cbranch_scc1 .LBB151_78
; %bb.72:
	s_mul_i32 s0, s36, s23
	s_mul_hi_u32 s1, s36, s22
	s_add_i32 s0, s1, s0
	s_mul_i32 s1, s37, s22
	s_add_i32 s1, s0, s1
	s_mul_i32 s0, s36, s22
	s_lshl_b64 s[0:1], s[0:1], 2
	v_mov_b32_e32 v1, s1
	v_subrev_co_u32_e64 v2, s[0:1], s0, v6
	v_mov_b32_e32 v6, s39
	s_nop 0
	v_subb_co_u32_e64 v3, s[0:1], v7, v1, s[0:1]
	v_subrev_co_u32_e64 v10, s[0:1], s38, v10
	v_lshlrev_b32_e32 v1, 2, v16
	s_nop 0
	v_subb_co_u32_e64 v11, s[0:1], v11, v6, s[0:1]
	v_lshlrev_b64 v[6:7], 2, v[8:9]
	v_sub_co_u32_e64 v6, s[0:1], v10, v6
	s_ashr_i32 s35, s34, 31
	s_nop 0
	v_subb_co_u32_e64 v7, s[0:1], v11, v7, s[0:1]
	v_mad_u64_u32 v[8:9], s[0:1], v1, s24, 0
	v_mov_b32_e32 v10, v9
	v_mad_u64_u32 v[10:11], s[0:1], v1, s25, v[10:11]
	v_mov_b32_e32 v9, v10
	s_movk_i32 s0, 0xff80
	v_lshl_add_u64 v[6:7], v[8:9], 2, v[6:7]
	s_mov_b32 s1, -1
	v_lshl_add_u64 v[8:9], v[6:7], 0, s[0:1]
	v_lshl_add_u64 v[6:7], s[34:35], 2, v[8:9]
	v_lshl_add_u64 v[10:11], v[6:7], 0, -4
	v_mov_b32_e32 v7, 0
	v_mov_b32_e32 v1, v7
	v_lshl_add_u64 v[8:9], v[8:9], 0, v[0:1]
	v_lshrrev_b32_e32 v6, 2, v19
	v_and_b32_e32 v21, 48, v18
	v_and_b32_e32 v20, 15, v18
	v_cndmask_b32_e32 v9, v9, v11, vcc
	v_and_b32_e32 v6, 0x7ffc, v6
	v_lshlrev_b32_e32 v11, 2, v21
	s_movk_i32 s3, 0x10c
	v_or_b32_e32 v12, 60, v0
	v_and_b32_e32 v13, 0x1fff0, v19
	v_mad_u32_u24 v11, v20, s3, v11
	v_mad_u32_u24 v12, v20, s3, v12
	;; [unrolled: 1-line block ×4, first 2 shown]
	s_mul_i32 s3, s25, 12
	s_mul_hi_u32 s14, s24, 12
	s_add_i32 s15, s14, s3
	s_mul_i32 s3, s25, 0x48
	s_mul_hi_u32 s20, s24, 0x48
	s_add_i32 s21, s20, s3
	;; [unrolled: 3-line block ×8, first 2 shown]
	s_mul_i32 s3, s25, 0xc4
	s_mul_hi_u32 s33, s24, 0xc4
	s_movk_i32 s8, 0x430
	s_add_i32 s43, s33, s3
	s_mul_i32 s3, s25, 0x84
	s_mul_hi_u32 s33, s24, 0x84
	v_mov_b32_e32 v14, 0x10c0
	v_mad_u32_u24 v15, v16, s8, v0
	s_lshl_b64 s[8:9], s[24:25], 2
	s_lshl_b64 s[10:11], s[24:25], 3
	;; [unrolled: 1-line block ×4, first 2 shown]
	s_add_i32 s45, s33, s3
	s_mul_i32 s3, s25, 0x44
	s_mul_hi_u32 s25, s24, 0x44
	v_cndmask_b32_e32 v8, v8, v10, vcc
	v_add_u32_e32 v1, 0x10c0, v0
	v_add_u32_e32 v10, 0x11c0, v0
	v_cmp_gt_u32_e64 s[0:1], 64, v19
	v_lshl_add_u32 v14, v16, 4, v14
	s_mul_i32 s14, s24, 12
	s_mul_i32 s20, s24, 0x48
	;; [unrolled: 1-line block ×10, first 2 shown]
	s_add_i32 s25, s25, s3
	s_mulk_i32 s24, 0x44
	v_or_b32_e32 v19, v21, v20
	s_mov_b32 s3, 0
	s_branch .LBB151_74
.LBB151_73:                             ;   in Loop: Header=BB151_74 Depth=1
	s_or_b64 exec, exec, s[46:47]
	v_fmac_f32_e32 v17, v20, v24
	v_fmac_f32_e32 v17, v22, v25
	;; [unrolled: 1-line block ×15, first 2 shown]
	s_add_i32 s3, s3, 64
	s_add_i32 s2, s2, -1
	v_fmac_f32_e32 v17, v44, v51
	s_cmp_eq_u32 s2, 0
	v_lshl_add_u64 v[8:9], v[8:9], 0, s[12:13]
	s_barrier
	s_cbranch_scc1 .LBB151_78
.LBB151_74:                             ; =>This Inner Loop Header: Depth=1
	s_and_saveexec_b64 s[46:47], s[18:19]
	s_cbranch_execz .LBB151_76
; %bb.75:                               ;   in Loop: Header=BB151_74 Depth=1
	s_mul_i32 s33, s3, s23
	s_mul_hi_u32 s48, s3, s22
	s_add_i32 s49, s48, s33
	s_mul_i32 s48, s3, s22
	v_lshl_add_u64 v[20:21], s[48:49], 2, v[2:3]
	flat_load_dword v6, v[20:21]
	s_waitcnt vmcnt(0) lgkmcnt(0)
	ds_write_b32 v1, v6
.LBB151_76:                             ;   in Loop: Header=BB151_74 Depth=1
	s_or_b64 exec, exec, s[46:47]
	s_waitcnt lgkmcnt(0)
	s_barrier
	flat_load_dword v20, v[8:9]
	v_lshl_add_u64 v[24:25], v[8:9], 0, s[8:9]
	v_lshl_add_u64 v[26:27], v[8:9], 0, s[10:11]
	flat_load_dword v22, v[24:25]
	flat_load_dword v21, v[26:27]
	v_lshl_add_u64 v[24:25], v[8:9], 0, s[14:15]
	flat_load_dword v23, v[24:25]
	ds_read_b32 v6, v10
	ds_read_b32 v24, v14
	v_lshl_add_u64 v[32:33], v[8:9], 0, s[16:17]
	v_lshl_add_u64 v[34:35], v[8:9], 0, s[24:25]
	;; [unrolled: 1-line block ×12, first 2 shown]
	s_waitcnt vmcnt(0) lgkmcnt(0)
	v_mul_f32_e32 v25, v20, v6
	ds_write_b32 v15, v25
	v_mul_f32_e32 v26, v22, v6
	v_mul_f32_e32 v27, v21, v6
	ds_read_b32 v25, v14 offset:4
	ds_write_b32 v15, v26 offset:268
	v_mul_f32_e32 v6, v23, v6
	ds_read_b32 v26, v14 offset:8
	ds_write_b32 v15, v27 offset:536
	ds_read_b32 v27, v14 offset:12
	ds_write_b32 v15, v6 offset:804
	s_waitcnt lgkmcnt(0)
	s_barrier
	ds_read2_b32 v[48:49], v13 offset1:1
	ds_read2_b32 v[50:51], v13 offset0:2 offset1:3
	s_waitcnt lgkmcnt(0)
	s_barrier
	flat_load_dword v31, v[32:33]
	flat_load_dword v30, v[34:35]
	;; [unrolled: 1-line block ×4, first 2 shown]
	ds_read_b32 v6, v10
	ds_read_b32 v32, v14 offset:64
	s_waitcnt vmcnt(0) lgkmcnt(0)
	v_mul_f32_e32 v33, v31, v6
	v_mul_f32_e32 v34, v30, v6
	ds_write_b32 v15, v33
	v_mul_f32_e32 v35, v29, v6
	ds_read_b32 v33, v14 offset:68
	ds_write_b32 v15, v34 offset:268
	v_mul_f32_e32 v6, v28, v6
	ds_read_b32 v34, v14 offset:72
	ds_write_b32 v15, v35 offset:536
	ds_read_b32 v35, v14 offset:76
	ds_write_b32 v15, v6 offset:804
	s_waitcnt lgkmcnt(0)
	s_barrier
	ds_read2_b32 v[52:53], v13 offset1:1
	ds_read2_b32 v[54:55], v13 offset0:2 offset1:3
	s_waitcnt lgkmcnt(0)
	s_barrier
	flat_load_dword v39, v[40:41]
	flat_load_dword v38, v[42:43]
	;; [unrolled: 1-line block ×4, first 2 shown]
	ds_read_b32 v6, v10
	ds_read_b32 v40, v14 offset:128
	s_waitcnt vmcnt(0) lgkmcnt(0)
	v_mul_f32_e32 v41, v39, v6
	v_mul_f32_e32 v42, v38, v6
	ds_write_b32 v15, v41
	v_mul_f32_e32 v43, v37, v6
	ds_read_b32 v41, v14 offset:132
	ds_write_b32 v15, v42 offset:268
	v_mul_f32_e32 v6, v36, v6
	ds_read_b32 v42, v14 offset:136
	ds_write_b32 v15, v43 offset:536
	ds_read_b32 v43, v14 offset:140
	ds_write_b32 v15, v6 offset:804
	s_waitcnt lgkmcnt(0)
	s_barrier
	ds_read2_b32 v[64:65], v13 offset1:1
	ds_read2_b32 v[66:67], v13 offset0:2 offset1:3
	s_waitcnt lgkmcnt(0)
	s_barrier
	flat_load_dword v47, v[56:57]
	flat_load_dword v46, v[58:59]
	;; [unrolled: 1-line block ×4, first 2 shown]
	v_add_f32_e32 v6, 0, v48
	v_add_f32_e32 v48, 0, v52
	;; [unrolled: 1-line block ×6, first 2 shown]
	ds_read_b32 v49, v10
	ds_read_b32 v48, v14 offset:192
	v_add_f32_e32 v6, v6, v50
	v_add_f32_e32 v50, 0, v64
	;; [unrolled: 1-line block ×6, first 2 shown]
	s_waitcnt vmcnt(0) lgkmcnt(0)
	v_mul_f32_e32 v50, v47, v49
	v_mul_f32_e32 v51, v46, v49
	ds_write_b32 v15, v50
	v_mul_f32_e32 v52, v45, v49
	v_mul_f32_e32 v53, v44, v49
	ds_read_b32 v49, v14 offset:196
	ds_write_b32 v15, v51 offset:268
	ds_read_b32 v50, v14 offset:200
	ds_write_b32 v15, v52 offset:536
	;; [unrolled: 2-line block ×3, first 2 shown]
	s_waitcnt lgkmcnt(0)
	s_barrier
	ds_read2_b32 v[52:53], v13 offset1:1
	ds_read2_b32 v[54:55], v13 offset0:2 offset1:3
	s_waitcnt lgkmcnt(0)
	s_barrier
	ds_write2_b32 v18, v6, v56 offset1:16
	v_add_f32_e32 v6, 0, v52
	v_add_f32_e32 v6, v6, v53
	;; [unrolled: 1-line block ×4, first 2 shown]
	ds_write2_b32 v18, v57, v6 offset0:32 offset1:48
	s_waitcnt lgkmcnt(0)
	s_barrier
	s_and_saveexec_b64 s[46:47], s[0:1]
	s_cbranch_execz .LBB151_73
; %bb.77:                               ;   in Loop: Header=BB151_74 Depth=1
	ds_read2_b32 v[52:53], v11 offset1:1
	ds_read2_b32 v[54:55], v11 offset0:2 offset1:3
	ds_read2_b32 v[56:57], v11 offset0:4 offset1:5
	ds_read2_b32 v[58:59], v11 offset0:6 offset1:7
	s_waitcnt lgkmcnt(3)
	v_add_f32_e32 v6, v52, v53
	s_waitcnt lgkmcnt(2)
	v_add_f32_e32 v6, v6, v54
	v_add_f32_e32 v6, v6, v55
	ds_read2_b32 v[52:53], v11 offset0:8 offset1:9
	s_waitcnt lgkmcnt(2)
	v_add_f32_e32 v6, v6, v56
	v_add_f32_e32 v6, v6, v57
	s_waitcnt lgkmcnt(1)
	v_add_f32_e32 v6, v6, v58
	v_add_f32_e32 v6, v6, v59
	ds_read2_b32 v[54:55], v11 offset0:10 offset1:11
	ds_read2_b32 v[56:57], v11 offset0:12 offset1:13
	ds_read_b32 v58, v11 offset:56
	s_waitcnt lgkmcnt(3)
	v_add_f32_e32 v6, v6, v52
	v_add_f32_e32 v6, v6, v53
	s_waitcnt lgkmcnt(2)
	v_add_f32_e32 v6, v6, v54
	ds_read_b32 v52, v12
	v_add_f32_e32 v6, v6, v55
	s_waitcnt lgkmcnt(2)
	v_add_f32_e32 v6, v6, v56
	v_add_f32_e32 v6, v6, v57
	s_waitcnt lgkmcnt(1)
	v_add_f32_e32 v6, v6, v58
	s_waitcnt lgkmcnt(0)
	v_add_f32_e32 v54, v6, v52
	v_add_u32_e32 v6, s3, v19
	v_lshl_add_u64 v[52:53], v[6:7], 2, s[6:7]
	global_store_dword v[52:53], v54, off
	s_branch .LBB151_73
.LBB151_78:
	s_movk_i32 s0, 0x10c
	v_mad_u32_u24 v1, v16, s0, v0
	s_or_b64 s[0:1], s[4:5], vcc
	s_xor_b64 s[0:1], s[0:1], -1
	ds_write_b32 v1, v17
	s_waitcnt lgkmcnt(0)
	s_barrier
	s_and_saveexec_b64 s[2:3], s[0:1]
	s_cbranch_execz .LBB151_80
; %bb.79:
	ds_read2_b32 v[2:3], v0 offset1:67
	ds_read2_b32 v[0:1], v0 offset0:134 offset1:201
	s_waitcnt lgkmcnt(1)
	v_add_f32_e32 v2, v2, v3
	s_waitcnt lgkmcnt(0)
	v_add_f32_e32 v0, v2, v0
	v_add_f32_e32 v2, v0, v1
	v_lshl_add_u64 v[0:1], v[4:5], 2, s[6:7]
	global_store_dword v[0:1], v2, off
.LBB151_80:
	s_endpgm
	.section	.rodata,"a",@progbits
	.p2align	6, 0x0
	.amdhsa_kernel _ZL26rocblas_hemvn_kernel_lowerILb0ELi64ELi4ELi33ELi32ELi16ElfPKPKfPfEviT6_lT7_lT5_lS6_lS7_lS5_lT8_i
		.amdhsa_group_segment_fixed_size 4800
		.amdhsa_private_segment_fixed_size 0
		.amdhsa_kernarg_size 368
		.amdhsa_user_sgpr_count 2
		.amdhsa_user_sgpr_dispatch_ptr 0
		.amdhsa_user_sgpr_queue_ptr 0
		.amdhsa_user_sgpr_kernarg_segment_ptr 1
		.amdhsa_user_sgpr_dispatch_id 0
		.amdhsa_user_sgpr_kernarg_preload_length 0
		.amdhsa_user_sgpr_kernarg_preload_offset 0
		.amdhsa_user_sgpr_private_segment_size 0
		.amdhsa_uses_dynamic_stack 0
		.amdhsa_enable_private_segment 0
		.amdhsa_system_sgpr_workgroup_id_x 1
		.amdhsa_system_sgpr_workgroup_id_y 0
		.amdhsa_system_sgpr_workgroup_id_z 1
		.amdhsa_system_sgpr_workgroup_info 0
		.amdhsa_system_vgpr_workitem_id 1
		.amdhsa_next_free_vgpr 68
		.amdhsa_next_free_sgpr 50
		.amdhsa_accum_offset 68
		.amdhsa_reserve_vcc 1
		.amdhsa_float_round_mode_32 0
		.amdhsa_float_round_mode_16_64 0
		.amdhsa_float_denorm_mode_32 3
		.amdhsa_float_denorm_mode_16_64 3
		.amdhsa_dx10_clamp 1
		.amdhsa_ieee_mode 1
		.amdhsa_fp16_overflow 0
		.amdhsa_tg_split 0
		.amdhsa_exception_fp_ieee_invalid_op 0
		.amdhsa_exception_fp_denorm_src 0
		.amdhsa_exception_fp_ieee_div_zero 0
		.amdhsa_exception_fp_ieee_overflow 0
		.amdhsa_exception_fp_ieee_underflow 0
		.amdhsa_exception_fp_ieee_inexact 0
		.amdhsa_exception_int_div_zero 0
	.end_amdhsa_kernel
	.section	.text._ZL26rocblas_hemvn_kernel_lowerILb0ELi64ELi4ELi33ELi32ELi16ElfPKPKfPfEviT6_lT7_lT5_lS6_lS7_lS5_lT8_i,"axG",@progbits,_ZL26rocblas_hemvn_kernel_lowerILb0ELi64ELi4ELi33ELi32ELi16ElfPKPKfPfEviT6_lT7_lT5_lS6_lS7_lS5_lT8_i,comdat
.Lfunc_end151:
	.size	_ZL26rocblas_hemvn_kernel_lowerILb0ELi64ELi4ELi33ELi32ELi16ElfPKPKfPfEviT6_lT7_lT5_lS6_lS7_lS5_lT8_i, .Lfunc_end151-_ZL26rocblas_hemvn_kernel_lowerILb0ELi64ELi4ELi33ELi32ELi16ElfPKPKfPfEviT6_lT7_lT5_lS6_lS7_lS5_lT8_i
                                        ; -- End function
	.section	.AMDGPU.csdata,"",@progbits
; Kernel info:
; codeLenInByte = 5644
; NumSgprs: 56
; NumVgprs: 68
; NumAgprs: 0
; TotalNumVgprs: 68
; ScratchSize: 0
; MemoryBound: 0
; FloatMode: 240
; IeeeMode: 1
; LDSByteSize: 4800 bytes/workgroup (compile time only)
; SGPRBlocks: 6
; VGPRBlocks: 8
; NumSGPRsForWavesPerEU: 56
; NumVGPRsForWavesPerEU: 68
; AccumOffset: 68
; Occupancy: 7
; WaveLimiterHint : 1
; COMPUTE_PGM_RSRC2:SCRATCH_EN: 0
; COMPUTE_PGM_RSRC2:USER_SGPR: 2
; COMPUTE_PGM_RSRC2:TRAP_HANDLER: 0
; COMPUTE_PGM_RSRC2:TGID_X_EN: 1
; COMPUTE_PGM_RSRC2:TGID_Y_EN: 0
; COMPUTE_PGM_RSRC2:TGID_Z_EN: 1
; COMPUTE_PGM_RSRC2:TIDIG_COMP_CNT: 1
; COMPUTE_PGM_RSRC3_GFX90A:ACCUM_OFFSET: 16
; COMPUTE_PGM_RSRC3_GFX90A:TG_SPLIT: 0
	.section	.text._ZL36rocblas_hemvn_kernel_lower_block_sumILi64ElfPKPffEviT1_lS3_lT2_lT0_lPT3_i,"axG",@progbits,_ZL36rocblas_hemvn_kernel_lower_block_sumILi64ElfPKPffEviT1_lS3_lT2_lT0_lPT3_i,comdat
	.globl	_ZL36rocblas_hemvn_kernel_lower_block_sumILi64ElfPKPffEviT1_lS3_lT2_lT0_lPT3_i ; -- Begin function _ZL36rocblas_hemvn_kernel_lower_block_sumILi64ElfPKPffEviT1_lS3_lT2_lT0_lPT3_i
	.p2align	8
	.type	_ZL36rocblas_hemvn_kernel_lower_block_sumILi64ElfPKPffEviT1_lS3_lT2_lT0_lPT3_i,@function
_ZL36rocblas_hemvn_kernel_lower_block_sumILi64ElfPKPffEviT1_lS3_lT2_lT0_lPT3_i: ; @_ZL36rocblas_hemvn_kernel_lower_block_sumILi64ElfPKPffEviT1_lS3_lT2_lT0_lPT3_i
; %bb.0:
	s_mov_b32 s14, s3
	s_load_dwordx2 s[10:11], s[0:1], 0x0
	s_load_dword s3, s[0:1], 0x10
	s_mov_b32 s15, 0
	s_waitcnt lgkmcnt(0)
	v_cmp_eq_f32_e64 s[4:5], s11, 0
	v_cmp_eq_f32_e64 s[6:7], s3, 1.0
	s_and_b64 s[4:5], s[4:5], s[6:7]
	s_and_b64 vcc, exec, s[4:5]
	s_cbranch_vccnz .LBB152_19
; %bb.1:
	s_load_dwordx2 s[8:9], s[0:1], 0x20
	s_load_dwordx4 s[4:7], s[0:1], 0x28
	s_lshl_b64 s[12:13], s[14:15], 3
	v_lshl_or_b32 v2, s2, 6, v0
	s_waitcnt lgkmcnt(0)
	s_add_u32 s8, s8, s12
	s_addc_u32 s9, s9, s13
	s_load_dwordx2 s[8:9], s[8:9], 0x0
	s_lshl_b64 s[4:5], s[4:5], 2
	v_cmp_neq_f32_e64 s[12:13], s11, 0
	s_waitcnt lgkmcnt(0)
	s_add_u32 s8, s8, s4
	s_addc_u32 s9, s9, s5
	s_and_b64 vcc, exec, s[12:13]
	v_cmp_gt_i32_e64 s[4:5], s10, v2
	s_cbranch_vccnz .LBB152_6
; %bb.2:
	s_mov_b64 s[16:17], 0
	s_mov_b64 s[12:13], 0
                                        ; implicit-def: $vgpr3
                                        ; implicit-def: $vgpr0_vgpr1
	s_and_saveexec_b64 s[18:19], s[4:5]
	s_cbranch_execz .LBB152_7
; %bb.3:
	v_ashrrev_i32_e32 v0, 31, v2
	v_cmp_eq_f32_e64 s[4:5], s3, 0
	v_mul_lo_u32 v4, v2, s7
	v_mul_lo_u32 v5, v0, s6
	v_mad_u64_u32 v[0:1], s[12:13], v2, s6, 0
	v_mov_b32_e32 v3, 0
	v_add3_u32 v1, v1, v4, v5
	s_and_b64 vcc, exec, s[4:5]
	s_cbranch_vccnz .LBB152_5
; %bb.4:
	v_lshl_add_u64 v[4:5], v[0:1], 2, s[8:9]
	global_load_dword v3, v[4:5], off
	s_waitcnt vmcnt(0)
	v_mul_f32_e32 v3, s3, v3
.LBB152_5:
	s_mov_b64 s[12:13], exec
	s_or_b64 exec, exec, s[18:19]
	s_and_b64 vcc, exec, s[16:17]
	s_cbranch_vccnz .LBB152_8
	s_branch .LBB152_17
.LBB152_6:
	s_mov_b64 s[12:13], 0
                                        ; implicit-def: $vgpr3
                                        ; implicit-def: $vgpr0_vgpr1
	s_cbranch_execnz .LBB152_8
	s_branch .LBB152_17
.LBB152_7:
	s_or_b64 exec, exec, s[18:19]
	s_and_b64 vcc, exec, s[16:17]
	s_cbranch_vccz .LBB152_17
.LBB152_8:
	v_cmp_gt_i32_e32 vcc, s10, v2
                                        ; implicit-def: $vgpr3
                                        ; implicit-def: $vgpr0_vgpr1
	s_and_saveexec_b64 s[4:5], vcc
	s_cbranch_execz .LBB152_16
; %bb.9:
	s_load_dword s15, s[0:1], 0x50
	v_mov_b32_e32 v4, 0
	s_waitcnt lgkmcnt(0)
	s_cmp_ge_i32 s2, s15
	s_cbranch_scc1 .LBB152_12
; %bb.10:
	s_ashr_i32 s17, s10, 31
	s_mul_i32 s18, s2, s10
	s_load_dwordx2 s[0:1], s[0:1], 0x40
	v_add_u32_e32 v0, s18, v2
	s_mul_hi_u32 s18, s10, s14
	s_mul_i32 s19, s17, s14
	s_mov_b32 s16, s10
	s_add_i32 s18, s18, s19
	s_mul_i32 s10, s10, s14
	s_mul_i32 s18, s18, s15
	s_mul_hi_u32 s14, s10, s15
	s_add_i32 s19, s14, s18
	s_mul_i32 s18, s10, s15
	s_lshl_b64 s[18:19], s[18:19], 2
	s_waitcnt lgkmcnt(0)
	s_add_u32 s0, s0, s18
	v_ashrrev_i32_e32 v1, 31, v0
	s_addc_u32 s1, s1, s19
	v_lshl_add_u64 v[0:1], v[0:1], 2, s[0:1]
	s_lshl_b64 s[0:1], s[16:17], 2
	v_mov_b32_e32 v4, 0
.LBB152_11:                             ; =>This Inner Loop Header: Depth=1
	global_load_dword v3, v[0:1], off
	s_add_i32 s2, s2, 1
	v_lshl_add_u64 v[0:1], v[0:1], 0, s[0:1]
	s_cmp_ge_i32 s2, s15
	s_waitcnt vmcnt(0)
	v_add_f32_e32 v4, v4, v3
	s_cbranch_scc0 .LBB152_11
.LBB152_12:
	v_cmp_eq_f32_e64 s[0:1], s3, 0
	v_ashrrev_i32_e32 v0, 31, v2
	s_and_b64 vcc, exec, s[0:1]
	v_mul_lo_u32 v5, v2, s7
	v_mul_lo_u32 v6, v0, s6
	s_cbranch_vccz .LBB152_20
; %bb.13:
	v_mad_u64_u32 v[0:1], s[0:1], v2, s6, 0
	v_mul_f32_e32 v3, s11, v4
	v_add3_u32 v1, v1, v5, v6
	s_cbranch_execnz .LBB152_15
.LBB152_14:
	v_mad_u64_u32 v[0:1], s[0:1], v2, s6, 0
	v_add3_u32 v1, v1, v5, v6
	v_lshl_add_u64 v[2:3], v[0:1], 2, s[8:9]
	global_load_dword v2, v[2:3], off
	s_waitcnt vmcnt(0)
	v_mul_f32_e32 v3, s3, v2
	v_fmac_f32_e32 v3, s11, v4
.LBB152_15:
	s_or_b64 s[12:13], s[12:13], exec
.LBB152_16:
	s_or_b64 exec, exec, s[4:5]
.LBB152_17:
	s_and_saveexec_b64 s[0:1], s[12:13]
	s_cbranch_execz .LBB152_19
; %bb.18:
	v_lshl_add_u64 v[0:1], v[0:1], 2, s[8:9]
	global_store_dword v[0:1], v3, off
.LBB152_19:
	s_endpgm
.LBB152_20:
                                        ; implicit-def: $vgpr3
                                        ; implicit-def: $vgpr0_vgpr1
	s_branch .LBB152_14
	.section	.rodata,"a",@progbits
	.p2align	6, 0x0
	.amdhsa_kernel _ZL36rocblas_hemvn_kernel_lower_block_sumILi64ElfPKPffEviT1_lS3_lT2_lT0_lPT3_i
		.amdhsa_group_segment_fixed_size 0
		.amdhsa_private_segment_fixed_size 0
		.amdhsa_kernarg_size 336
		.amdhsa_user_sgpr_count 2
		.amdhsa_user_sgpr_dispatch_ptr 0
		.amdhsa_user_sgpr_queue_ptr 0
		.amdhsa_user_sgpr_kernarg_segment_ptr 1
		.amdhsa_user_sgpr_dispatch_id 0
		.amdhsa_user_sgpr_kernarg_preload_length 0
		.amdhsa_user_sgpr_kernarg_preload_offset 0
		.amdhsa_user_sgpr_private_segment_size 0
		.amdhsa_uses_dynamic_stack 0
		.amdhsa_enable_private_segment 0
		.amdhsa_system_sgpr_workgroup_id_x 1
		.amdhsa_system_sgpr_workgroup_id_y 0
		.amdhsa_system_sgpr_workgroup_id_z 1
		.amdhsa_system_sgpr_workgroup_info 0
		.amdhsa_system_vgpr_workitem_id 0
		.amdhsa_next_free_vgpr 7
		.amdhsa_next_free_sgpr 20
		.amdhsa_accum_offset 8
		.amdhsa_reserve_vcc 1
		.amdhsa_float_round_mode_32 0
		.amdhsa_float_round_mode_16_64 0
		.amdhsa_float_denorm_mode_32 3
		.amdhsa_float_denorm_mode_16_64 3
		.amdhsa_dx10_clamp 1
		.amdhsa_ieee_mode 1
		.amdhsa_fp16_overflow 0
		.amdhsa_tg_split 0
		.amdhsa_exception_fp_ieee_invalid_op 0
		.amdhsa_exception_fp_denorm_src 0
		.amdhsa_exception_fp_ieee_div_zero 0
		.amdhsa_exception_fp_ieee_overflow 0
		.amdhsa_exception_fp_ieee_underflow 0
		.amdhsa_exception_fp_ieee_inexact 0
		.amdhsa_exception_int_div_zero 0
	.end_amdhsa_kernel
	.section	.text._ZL36rocblas_hemvn_kernel_lower_block_sumILi64ElfPKPffEviT1_lS3_lT2_lT0_lPT3_i,"axG",@progbits,_ZL36rocblas_hemvn_kernel_lower_block_sumILi64ElfPKPffEviT1_lS3_lT2_lT0_lPT3_i,comdat
.Lfunc_end152:
	.size	_ZL36rocblas_hemvn_kernel_lower_block_sumILi64ElfPKPffEviT1_lS3_lT2_lT0_lPT3_i, .Lfunc_end152-_ZL36rocblas_hemvn_kernel_lower_block_sumILi64ElfPKPffEviT1_lS3_lT2_lT0_lPT3_i
                                        ; -- End function
	.section	.AMDGPU.csdata,"",@progbits
; Kernel info:
; codeLenInByte = 592
; NumSgprs: 26
; NumVgprs: 7
; NumAgprs: 0
; TotalNumVgprs: 7
; ScratchSize: 0
; MemoryBound: 0
; FloatMode: 240
; IeeeMode: 1
; LDSByteSize: 0 bytes/workgroup (compile time only)
; SGPRBlocks: 3
; VGPRBlocks: 0
; NumSGPRsForWavesPerEU: 26
; NumVGPRsForWavesPerEU: 7
; AccumOffset: 8
; Occupancy: 8
; WaveLimiterHint : 1
; COMPUTE_PGM_RSRC2:SCRATCH_EN: 0
; COMPUTE_PGM_RSRC2:USER_SGPR: 2
; COMPUTE_PGM_RSRC2:TRAP_HANDLER: 0
; COMPUTE_PGM_RSRC2:TGID_X_EN: 1
; COMPUTE_PGM_RSRC2:TGID_Y_EN: 0
; COMPUTE_PGM_RSRC2:TGID_Z_EN: 1
; COMPUTE_PGM_RSRC2:TIDIG_COMP_CNT: 0
; COMPUTE_PGM_RSRC3_GFX90A:ACCUM_OFFSET: 1
; COMPUTE_PGM_RSRC3_GFX90A:TG_SPLIT: 0
	.section	.text._ZL26rocblas_hemvn_kernel_lowerILb0ELi64ELi4ELi33ELi32ELi16EifPKPKfPfEviT6_lT7_lT5_lS6_lS7_lS5_lT8_i,"axG",@progbits,_ZL26rocblas_hemvn_kernel_lowerILb0ELi64ELi4ELi33ELi32ELi16EifPKPKfPfEviT6_lT7_lT5_lS6_lS7_lS5_lT8_i,comdat
	.globl	_ZL26rocblas_hemvn_kernel_lowerILb0ELi64ELi4ELi33ELi32ELi16EifPKPKfPfEviT6_lT7_lT5_lS6_lS7_lS5_lT8_i ; -- Begin function _ZL26rocblas_hemvn_kernel_lowerILb0ELi64ELi4ELi33ELi32ELi16EifPKPKfPfEviT6_lT7_lT5_lS6_lS7_lS5_lT8_i
	.p2align	8
	.type	_ZL26rocblas_hemvn_kernel_lowerILb0ELi64ELi4ELi33ELi32ELi16EifPKPKfPfEviT6_lT7_lT5_lS6_lS7_lS5_lT8_i,@function
_ZL26rocblas_hemvn_kernel_lowerILb0ELi64ELi4ELi33ELi32ELi16EifPKPKfPfEviT6_lT7_lT5_lS6_lS7_lS5_lT8_i: ; @_ZL26rocblas_hemvn_kernel_lowerILb0ELi64ELi4ELi33ELi32ELi16EifPKPKfPfEviT6_lT7_lT5_lS6_lS7_lS5_lT8_i
; %bb.0:
	s_load_dwordx2 s[4:5], s[0:1], 0x7c
	s_add_u32 s8, s0, 0x70
	s_mov_b32 s22, s3
	s_addc_u32 s9, s1, 0
	s_waitcnt lgkmcnt(0)
	s_and_b32 s3, s5, 0xffff
	s_lshr_b32 s5, s4, 16
	s_and_b32 s4, s4, 0xffff
	s_mul_i32 s4, s5, s4
	s_mul_i32 s4, s4, s3
	s_cmpk_lg_i32 s4, 0x100
	s_cbranch_scc1 .LBB153_80
; %bb.1:
	s_load_dwordx2 s[24:25], s[0:1], 0x0
	s_load_dword s3, s[0:1], 0x50
	s_waitcnt lgkmcnt(0)
	v_cmp_eq_f32_e64 s[4:5], s25, 0
	v_cmp_eq_f32_e64 s[6:7], s3, 1.0
	s_and_b64 s[6:7], s[4:5], s[6:7]
	s_and_b64 vcc, exec, s[6:7]
	s_cbranch_vccnz .LBB153_80
; %bb.2:
	s_mov_b32 s23, 0
	v_cmp_neq_f32_e64 s[12:13], s25, 0
	s_mov_b64 s[10:11], 0
	s_and_b64 vcc, exec, s[4:5]
	s_mov_b64 s[6:7], 0
	s_cbranch_vccnz .LBB153_4
; %bb.3:
	s_load_dwordx4 s[4:7], s[0:1], 0x10
	s_lshl_b64 s[14:15], s[22:23], 3
	s_waitcnt lgkmcnt(0)
	s_add_u32 s4, s4, s14
	s_addc_u32 s5, s5, s15
	s_load_dwordx2 s[4:5], s[4:5], 0x0
	s_lshl_b64 s[6:7], s[6:7], 2
	s_waitcnt lgkmcnt(0)
	s_add_u32 s6, s4, s6
	s_addc_u32 s7, s5, s7
.LBB153_4:
	v_cndmask_b32_e64 v1, 0, 1, s[12:13]
	v_cmp_ne_u32_e64 s[4:5], 1, v1
	s_andn2_b64 vcc, exec, s[12:13]
	s_cbranch_vccnz .LBB153_6
; %bb.5:
	s_load_dwordx4 s[12:15], s[0:1], 0x30
	s_lshl_b64 s[10:11], s[22:23], 3
	s_waitcnt lgkmcnt(0)
	s_add_u32 s10, s12, s10
	s_addc_u32 s11, s13, s11
	s_load_dwordx2 s[10:11], s[10:11], 0x0
	s_lshl_b64 s[12:13], s[14:15], 2
	s_waitcnt lgkmcnt(0)
	s_add_u32 s10, s10, s12
	s_addc_u32 s11, s11, s13
.LBB153_6:
	s_and_b64 vcc, exec, s[4:5]
	s_cbranch_vccnz .LBB153_80
; %bb.7:
	s_load_dword s23, s[8:9], 0x0
	s_load_dword s3, s[0:1], 0x40
	s_ashr_i32 s25, s24, 31
	s_lshr_b32 s5, s25, 26
	v_and_b32_e32 v17, 0x3ff, v0
	s_lshl_b32 s30, s2, 6
	s_add_i32 s5, s24, s5
	s_andn2_b32 s5, s5, 63
	v_add_u32_e32 v4, s30, v17
	v_bfe_u32 v5, v0, 10, 10
	s_waitcnt lgkmcnt(0)
	s_add_i32 s4, s23, -1
	s_sub_i32 s5, s24, s5
	v_mul_lo_u32 v0, v4, s3
	s_cmp_eq_u32 s2, s4
	v_ashrrev_i32_e32 v1, 31, v0
	s_cselect_b32 s28, s5, 0
	v_lshl_add_u64 v[6:7], v[0:1], 2, s[10:11]
	v_cmp_ne_u32_e64 s[4:5], 0, v5
	v_cmp_eq_u32_e64 s[18:19], 0, v5
	s_and_saveexec_b64 s[8:9], s[18:19]
	s_cbranch_execz .LBB153_11
; %bb.8:
	s_cmp_eq_u32 s28, 0
	s_cselect_b64 s[10:11], -1, 0
	v_cmp_gt_i32_e32 vcc, s28, v17
	s_or_b64 s[12:13], s[10:11], vcc
	v_mov_b32_e32 v0, 0
	s_and_saveexec_b64 s[10:11], s[12:13]
	s_cbranch_execz .LBB153_10
; %bb.9:
	flat_load_dword v0, v[6:7]
.LBB153_10:
	s_or_b64 exec, exec, s[10:11]
	v_lshlrev_b32_e32 v1, 2, v17
	s_waitcnt vmcnt(0) lgkmcnt(0)
	ds_write_b32 v1, v0 offset:4544
.LBB153_11:
	s_or_b64 exec, exec, s[8:9]
	s_load_dword s26, s[0:1], 0x20
	s_ashr_i32 s31, s30, 31
	v_lshl_add_u32 v18, v5, 6, v17
	s_lshl_b64 s[8:9], s[30:31], 2
	v_and_b32_e32 v0, 31, v17
	v_lshrrev_b32_e32 v1, 5, v18
	s_add_u32 s8, s6, s8
	s_addc_u32 s9, s7, s9
	s_waitcnt lgkmcnt(0)
	v_mad_u64_u32 v[8:9], s[6:7], v1, s26, v[0:1]
	s_mul_i32 s6, s30, s26
	s_ashr_i32 s7, s6, 31
	s_lshl_b64 s[34:35], s[6:7], 2
	s_add_u32 s6, s34, s8
	s_addc_u32 s7, s35, s9
	s_cmp_lg_u32 s28, 0
	v_ashrrev_i32_e32 v9, 31, v8
	s_cselect_b64 s[36:37], -1, 0
	s_cmp_eq_u32 s28, 0
	v_lshl_add_u64 v[2:3], v[8:9], 2, s[6:7]
	s_cselect_b64 s[20:21], -1, 0
	s_and_b64 vcc, exec, s[36:37]
	s_cbranch_vccnz .LBB153_13
; %bb.12:
	flat_load_dword v12, v[2:3]
	v_mul_u32_u24_e32 v10, 33, v1
	s_lshl_b32 s6, s26, 3
	v_add_lshl_u32 v13, v10, v0, 2
	s_ashr_i32 s7, s6, 31
	v_lshl_add_u64 v[10:11], s[6:7], 2, v[2:3]
	s_ashr_i32 s27, s26, 31
	s_lshl_b64 s[6:7], s[26:27], 5
	s_waitcnt vmcnt(0) lgkmcnt(0)
	ds_write_b32 v13, v12
	flat_load_dword v12, v[10:11]
	v_lshl_add_u64 v[10:11], v[10:11], 0, s[6:7]
	s_waitcnt vmcnt(0) lgkmcnt(0)
	ds_write_b32 v13, v12 offset:1056
	flat_load_dword v12, v[10:11]
	v_lshl_add_u64 v[10:11], v[10:11], 0, s[6:7]
	s_waitcnt vmcnt(0) lgkmcnt(0)
	ds_write_b32 v13, v12 offset:2112
	flat_load_dword v10, v[10:11]
	s_waitcnt vmcnt(0) lgkmcnt(0)
	ds_write_b32 v13, v10 offset:3168
	s_cbranch_execz .LBB153_14
	s_branch .LBB153_23
.LBB153_13:
.LBB153_14:
	v_lshlrev_b32_e32 v10, 2, v0
	v_sub_co_u32_e32 v12, vcc, v2, v10
	s_ashr_i32 s29, s28, 31
	s_nop 0
	v_subbrev_co_u32_e32 v13, vcc, 0, v3, vcc
	v_lshl_add_u64 v[12:13], s[28:29], 2, v[12:13]
	v_lshl_add_u64 v[12:13], v[12:13], 0, -4
	v_cmp_gt_i32_e32 vcc, s28, v0
	v_cmp_gt_i32_e64 s[6:7], s28, v1
	v_mov_b32_e32 v14, 0
	v_cndmask_b32_e32 v13, v13, v3, vcc
	v_cndmask_b32_e32 v12, v12, v2, vcc
	v_mov_b32_e32 v15, 0
	s_and_saveexec_b64 s[8:9], s[6:7]
	s_cbranch_execz .LBB153_16
; %bb.15:
	flat_load_dword v15, v[12:13]
.LBB153_16:
	s_or_b64 exec, exec, s[8:9]
	v_mul_u32_u24_e32 v11, 33, v1
	v_add_lshl_u32 v11, v11, v0, 2
	s_waitcnt vmcnt(0) lgkmcnt(0)
	ds_write_b32 v11, v15
	v_add_u32_e32 v15, 8, v1
	v_cmp_gt_i32_e64 s[6:7], s28, v15
	s_and_saveexec_b64 s[8:9], s[6:7]
	s_cbranch_execz .LBB153_18
; %bb.17:
	s_lshl_b32 s6, s26, 3
	s_ashr_i32 s7, s6, 31
	v_lshl_add_u64 v[14:15], s[6:7], 2, v[12:13]
	flat_load_dword v14, v[14:15]
.LBB153_18:
	s_or_b64 exec, exec, s[8:9]
	s_waitcnt vmcnt(0) lgkmcnt(0)
	ds_write_b32 v11, v14 offset:1056
	v_add_u32_e32 v14, 16, v1
	v_cmp_gt_i32_e64 s[6:7], s28, v14
	v_mov_b32_e32 v14, 0
	v_mov_b32_e32 v15, 0
	s_and_saveexec_b64 s[8:9], s[6:7]
	s_cbranch_execz .LBB153_20
; %bb.19:
	s_lshl_b32 s6, s26, 4
	s_ashr_i32 s7, s6, 31
	v_lshl_add_u64 v[20:21], s[6:7], 2, v[12:13]
	flat_load_dword v15, v[20:21]
.LBB153_20:
	s_or_b64 exec, exec, s[8:9]
	s_waitcnt vmcnt(0) lgkmcnt(0)
	ds_write_b32 v11, v15 offset:2112
	v_add_u32_e32 v15, 24, v1
	v_cmp_gt_i32_e64 s[6:7], s28, v15
	s_and_saveexec_b64 s[8:9], s[6:7]
	s_cbranch_execz .LBB153_22
; %bb.21:
	s_mul_i32 s6, s26, 24
	s_ashr_i32 s7, s6, 31
	v_lshl_add_u64 v[14:15], s[6:7], 2, v[12:13]
	flat_load_dword v14, v[14:15]
.LBB153_22:
	s_or_b64 exec, exec, s[8:9]
	s_waitcnt vmcnt(0) lgkmcnt(0)
	ds_write_b32 v11, v14 offset:3168
	v_mov_b32_e32 v11, 0
	v_lshl_add_u64 v[10:11], v[12:13], 0, v[10:11]
	s_lshl_b64 s[6:7], s[28:29], 2
	v_mov_b32_e32 v12, s7
	v_subrev_co_u32_e64 v10, s[6:7], s6, v10
	s_nop 1
	v_subb_co_u32_e64 v11, s[6:7], v11, v12, s[6:7]
	v_lshl_add_u64 v[10:11], v[10:11], 0, 4
	v_cndmask_b32_e32 v3, v11, v3, vcc
	v_cndmask_b32_e32 v2, v10, v2, vcc
.LBB153_23:
	v_lshlrev_b32_e32 v13, 2, v1
	v_mul_u32_u24_e32 v19, 33, v0
	v_cmp_lt_u32_e64 s[8:9], v13, v0
	v_add_lshl_u32 v12, v13, v19, 2
	s_waitcnt lgkmcnt(0)
	s_barrier
	s_and_saveexec_b64 s[6:7], s[8:9]
	s_cbranch_execz .LBB153_25
; %bb.24:
	v_mul_u32_u24_e32 v10, 0x84, v1
	v_add_lshl_u32 v10, v10, v0, 2
	ds_read_b32 v10, v10
	s_waitcnt lgkmcnt(0)
	ds_write_b32 v12, v10
.LBB153_25:
	s_or_b64 exec, exec, s[6:7]
	v_or_b32_e32 v10, 1, v13
	v_cmp_lt_u32_e64 s[10:11], v10, v0
	s_and_saveexec_b64 s[6:7], s[10:11]
	s_cbranch_execz .LBB153_27
; %bb.26:
	v_mul_u32_u24_e32 v10, 33, v10
	v_add_lshl_u32 v10, v10, v0, 2
	ds_read_b32 v10, v10
	s_waitcnt lgkmcnt(0)
	ds_write_b32 v12, v10 offset:4
.LBB153_27:
	s_or_b64 exec, exec, s[6:7]
	v_or_b32_e32 v10, 2, v13
	v_cmp_lt_u32_e64 s[12:13], v10, v0
	s_and_saveexec_b64 s[6:7], s[12:13]
	s_cbranch_execz .LBB153_29
; %bb.28:
	v_mul_u32_u24_e32 v10, 33, v10
	v_add_lshl_u32 v10, v10, v0, 2
	ds_read_b32 v10, v10
	s_waitcnt lgkmcnt(0)
	ds_write_b32 v12, v10 offset:8
.LBB153_29:
	s_or_b64 exec, exec, s[6:7]
	v_or_b32_e32 v10, 3, v13
	v_cmp_lt_u32_e64 s[14:15], v10, v0
	v_mad_u32_u24 v10, v10, 33, v0
	v_lshlrev_b32_e32 v14, 2, v10
	s_and_saveexec_b64 s[6:7], s[14:15]
	s_cbranch_execz .LBB153_31
; %bb.30:
	ds_read_b32 v10, v14
	s_waitcnt lgkmcnt(0)
	ds_write_b32 v12, v10 offset:12
.LBB153_31:
	s_or_b64 exec, exec, s[6:7]
	v_mul_u32_u24_e32 v10, 0x84, v1
	v_add_u32_e32 v22, 0xfffffef8, v14
	s_waitcnt lgkmcnt(0)
	s_barrier
	v_add_lshl_u32 v15, v10, v0, 2
	v_lshlrev_b32_e32 v21, 2, v13
	ds_read2_b32 v[10:11], v22 offset1:33
	ds_read_b32 v28, v15
	ds_read_b128 v[24:27], v21 offset:4544
	ds_read_b32 v31, v14
	v_add_lshl_u32 v20, v1, v19, 2
	s_waitcnt lgkmcnt(3)
	v_mov_b32_e32 v29, v10
	v_mov_b32_e32 v30, v11
	s_waitcnt lgkmcnt(1)
	v_pk_mul_f32 v[24:25], v[28:29], v[24:25]
	v_cmp_gt_u32_e64 s[6:7], 32, v18
	v_add_f32_e32 v10, 0, v24
	v_add_f32_e32 v16, v10, v25
	s_waitcnt lgkmcnt(0)
	v_pk_mul_f32 v[10:11], v[30:31], v[26:27]
	s_nop 0
	v_add_f32_e32 v10, v16, v10
	v_add_f32_e32 v10, v10, v11
	v_mov_b32_e32 v16, 0
	s_barrier
	ds_write_b32 v20, v10
	s_waitcnt lgkmcnt(0)
	s_barrier
	s_and_saveexec_b64 s[16:17], s[6:7]
	s_cbranch_execz .LBB153_33
; %bb.32:
	v_lshlrev_b32_e32 v16, 2, v19
	ds_read2_b32 v[10:11], v16 offset1:1
	ds_read2_b32 v[24:25], v16 offset0:2 offset1:3
	ds_read2_b32 v[26:27], v16 offset0:4 offset1:5
	;; [unrolled: 1-line block ×3, first 2 shown]
	s_waitcnt lgkmcnt(3)
	v_add_f32_e32 v10, v10, v11
	s_waitcnt lgkmcnt(2)
	v_add_f32_e32 v10, v10, v24
	v_add_f32_e32 v10, v10, v25
	s_waitcnt lgkmcnt(1)
	v_add_f32_e32 v10, v10, v26
	;; [unrolled: 3-line block ×3, first 2 shown]
	v_add_f32_e32 v16, v10, v29
.LBB153_33:
	s_or_b64 exec, exec, s[16:17]
	s_lshl_b32 s38, s26, 5
	s_ashr_i32 s39, s38, 31
	v_lshl_add_u64 v[10:11], s[38:39], 2, v[2:3]
	s_mov_b64 s[40:41], 0x80
	v_cndmask_b32_e64 v2, 0, 1, s[20:21]
	v_cmp_ne_u32_e64 s[16:17], 1, v2
	s_andn2_b64 vcc, exec, s[20:21]
	v_lshl_add_u64 v[2:3], v[10:11], 0, s[40:41]
	s_barrier
	s_cbranch_vccnz .LBB153_35
; %bb.34:
	flat_load_dword v23, v[10:11] offset:128
	v_mul_u32_u24_e32 v24, 33, v1
	s_lshl_b32 s20, s26, 3
	v_add_lshl_u32 v24, v24, v0, 2
	s_ashr_i32 s21, s20, 31
	v_lshl_add_u64 v[10:11], s[20:21], 2, v[10:11]
	s_ashr_i32 s27, s26, 31
	s_lshl_b64 s[20:21], s[26:27], 5
	s_waitcnt vmcnt(0) lgkmcnt(0)
	ds_write_b32 v24, v23
	flat_load_dword v23, v[10:11] offset:128
	v_lshl_add_u64 v[10:11], v[10:11], 0, s[20:21]
	s_waitcnt vmcnt(0) lgkmcnt(0)
	ds_write_b32 v24, v23 offset:1056
	flat_load_dword v23, v[10:11] offset:128
	v_lshl_add_u64 v[10:11], v[10:11], 0, s[20:21]
	s_waitcnt vmcnt(0) lgkmcnt(0)
	ds_write_b32 v24, v23 offset:2112
	flat_load_dword v10, v[10:11] offset:128
	s_waitcnt vmcnt(0) lgkmcnt(0)
	ds_write_b32 v24, v10 offset:3168
	s_cbranch_execz .LBB153_36
	s_branch .LBB153_45
.LBB153_35:
.LBB153_36:
	v_or_b32_e32 v23, 32, v0
	v_lshlrev_b32_e32 v10, 2, v23
	v_sub_co_u32_e32 v10, vcc, v2, v10
	s_ashr_i32 s29, s28, 31
	s_nop 0
	v_subbrev_co_u32_e32 v11, vcc, 0, v3, vcc
	v_lshl_add_u64 v[10:11], s[28:29], 2, v[10:11]
	v_lshl_add_u64 v[10:11], v[10:11], 0, -4
	v_cmp_gt_i32_e32 vcc, s28, v23
	s_sub_i32 s27, s28, 32
	v_mov_b32_e32 v24, 0
	v_cndmask_b32_e32 v11, v11, v3, vcc
	v_cndmask_b32_e32 v10, v10, v2, vcc
	v_cmp_gt_i32_e64 s[20:21], s27, v1
	v_mov_b32_e32 v25, 0
	s_and_saveexec_b64 s[40:41], s[20:21]
	s_cbranch_execz .LBB153_38
; %bb.37:
	flat_load_dword v25, v[10:11]
.LBB153_38:
	s_or_b64 exec, exec, s[40:41]
	v_mul_u32_u24_e32 v23, 33, v1
	v_add_lshl_u32 v23, v23, v0, 2
	s_waitcnt vmcnt(0) lgkmcnt(0)
	ds_write_b32 v23, v25
	v_add_u32_e32 v25, 8, v1
	v_cmp_gt_i32_e64 s[20:21], s27, v25
	s_and_saveexec_b64 s[40:41], s[20:21]
	s_cbranch_execz .LBB153_40
; %bb.39:
	s_lshl_b32 s20, s26, 3
	s_ashr_i32 s21, s20, 31
	v_lshl_add_u64 v[24:25], s[20:21], 2, v[10:11]
	flat_load_dword v24, v[24:25]
.LBB153_40:
	s_or_b64 exec, exec, s[40:41]
	s_waitcnt vmcnt(0) lgkmcnt(0)
	ds_write_b32 v23, v24 offset:1056
	v_add_u32_e32 v24, 16, v1
	v_cmp_gt_i32_e64 s[20:21], s27, v24
	v_mov_b32_e32 v24, 0
	v_mov_b32_e32 v25, 0
	s_and_saveexec_b64 s[40:41], s[20:21]
	s_cbranch_execz .LBB153_42
; %bb.41:
	s_lshl_b32 s20, s26, 4
	s_ashr_i32 s21, s20, 31
	v_lshl_add_u64 v[26:27], s[20:21], 2, v[10:11]
	flat_load_dword v25, v[26:27]
.LBB153_42:
	s_or_b64 exec, exec, s[40:41]
	s_waitcnt vmcnt(0) lgkmcnt(0)
	ds_write_b32 v23, v25 offset:2112
	v_add_u32_e32 v25, 24, v1
	v_cmp_gt_i32_e64 s[20:21], s27, v25
	s_and_saveexec_b64 s[40:41], s[20:21]
	s_cbranch_execz .LBB153_44
; %bb.43:
	s_mul_i32 s20, s26, 24
	s_ashr_i32 s21, s20, 31
	v_lshl_add_u64 v[24:25], s[20:21], 2, v[10:11]
	flat_load_dword v24, v[24:25]
.LBB153_44:
	s_or_b64 exec, exec, s[40:41]
	s_waitcnt vmcnt(0) lgkmcnt(0)
	ds_write_b32 v23, v24 offset:3168
	v_lshlrev_b32_e32 v24, 2, v0
	v_mov_b32_e32 v25, 0
	v_lshl_add_u64 v[10:11], v[10:11], 0, v[24:25]
	s_lshl_b64 s[20:21], s[28:29], 2
	v_mov_b32_e32 v23, s21
	v_subrev_co_u32_e64 v10, s[20:21], s20, v10
	s_nop 1
	v_subb_co_u32_e64 v11, s[20:21], v11, v23, s[20:21]
	s_mov_b64 s[20:21], 0x84
	s_nop 0
	v_lshl_add_u64 v[10:11], v[10:11], 0, s[20:21]
	v_cndmask_b32_e32 v3, v11, v3, vcc
	v_cndmask_b32_e32 v2, v10, v2, vcc
.LBB153_45:
	v_add_u32_e32 v21, 0x11c0, v21
	s_waitcnt lgkmcnt(0)
	s_barrier
	s_and_saveexec_b64 s[20:21], s[8:9]
	s_cbranch_execnz .LBB153_54
; %bb.46:
	s_or_b64 exec, exec, s[20:21]
	s_and_saveexec_b64 s[8:9], s[10:11]
	s_cbranch_execnz .LBB153_55
.LBB153_47:
	s_or_b64 exec, exec, s[8:9]
	s_and_saveexec_b64 s[8:9], s[12:13]
	s_cbranch_execnz .LBB153_56
.LBB153_48:
	s_or_b64 exec, exec, s[8:9]
	s_and_saveexec_b64 s[8:9], s[14:15]
	s_cbranch_execz .LBB153_50
.LBB153_49:
	ds_read_b32 v10, v14
	s_waitcnt lgkmcnt(0)
	ds_write_b32 v12, v10 offset:12
.LBB153_50:
	s_or_b64 exec, exec, s[8:9]
	s_waitcnt lgkmcnt(0)
	s_barrier
	ds_read_b32 v15, v15
	ds_read_b128 v[24:27], v21 offset:128
	ds_read2_b32 v[10:11], v22 offset1:33
	ds_read_b32 v14, v14
	v_cmp_eq_u32_e64 s[8:9], 1, v1
	s_waitcnt lgkmcnt(0)
	v_fma_f32 v15, v15, v24, 0
	v_fmac_f32_e32 v15, v10, v25
	v_fmac_f32_e32 v15, v11, v26
	;; [unrolled: 1-line block ×3, first 2 shown]
	s_barrier
	ds_write_b32 v20, v15
	s_waitcnt lgkmcnt(0)
	s_barrier
	s_and_saveexec_b64 s[10:11], s[8:9]
	s_cbranch_execz .LBB153_52
; %bb.51:
	v_lshlrev_b32_e32 v16, 2, v19
	ds_read2_b32 v[10:11], v16 offset1:1
	ds_read2_b32 v[14:15], v16 offset0:2 offset1:3
	ds_read2_b32 v[22:23], v16 offset0:4 offset1:5
	;; [unrolled: 1-line block ×3, first 2 shown]
	s_waitcnt lgkmcnt(3)
	v_add_f32_e32 v10, v10, v11
	s_waitcnt lgkmcnt(2)
	v_add_f32_e32 v10, v10, v14
	v_add_f32_e32 v10, v10, v15
	s_waitcnt lgkmcnt(1)
	v_add_f32_e32 v10, v10, v22
	;; [unrolled: 3-line block ×3, first 2 shown]
	v_add_f32_e32 v16, v10, v25
.LBB153_52:
	s_or_b64 exec, exec, s[10:11]
	s_lshl_b64 s[10:11], s[38:39], 2
	v_mov_b32_e32 v11, s11
	v_subrev_co_u32_e64 v10, s[10:11], s10, v2
	s_and_b64 vcc, exec, s[16:17]
	s_nop 0
	v_subb_co_u32_e64 v11, s[10:11], v3, v11, s[10:11]
	s_barrier
	s_cbranch_vccnz .LBB153_57
; %bb.53:
	flat_load_dword v15, v[10:11]
	v_mad_u32_u24 v14, v1, 33, v0
	s_lshl_b32 s10, s26, 3
	v_lshlrev_b32_e32 v27, 2, v14
	s_ashr_i32 s11, s10, 31
	v_lshl_add_u64 v[2:3], s[10:11], 2, v[10:11]
	s_ashr_i32 s27, s26, 31
	s_lshl_b64 s[10:11], s[26:27], 5
	v_add_u32_e32 v22, 16, v1
	v_add_u32_e32 v23, 24, v1
	v_add_u32_e32 v26, 0x108, v14
	v_add_u32_e32 v24, 0x210, v14
	v_add_u32_e32 v25, 0x318, v14
	s_waitcnt vmcnt(0) lgkmcnt(0)
	ds_write_b32 v27, v15
	flat_load_dword v15, v[2:3]
	v_lshl_add_u64 v[2:3], v[2:3], 0, s[10:11]
	s_waitcnt vmcnt(0) lgkmcnt(0)
	ds_write_b32 v27, v15 offset:1056
	flat_load_dword v15, v[2:3]
	v_lshl_add_u64 v[2:3], v[2:3], 0, s[10:11]
	s_waitcnt vmcnt(0) lgkmcnt(0)
	ds_write_b32 v27, v15 offset:2112
	flat_load_dword v2, v[2:3]
	v_add_u32_e32 v15, 8, v1
	s_waitcnt vmcnt(0) lgkmcnt(0)
	ds_write_b32 v27, v2 offset:3168
	s_cbranch_execz .LBB153_58
	s_branch .LBB153_67
.LBB153_54:
	ds_read_b32 v10, v15
	s_waitcnt lgkmcnt(0)
	ds_write_b32 v12, v10
	s_or_b64 exec, exec, s[20:21]
	s_and_saveexec_b64 s[8:9], s[10:11]
	s_cbranch_execz .LBB153_47
.LBB153_55:
	ds_read_b32 v10, v22
	s_waitcnt lgkmcnt(0)
	ds_write_b32 v12, v10 offset:4
	s_or_b64 exec, exec, s[8:9]
	s_and_saveexec_b64 s[8:9], s[12:13]
	s_cbranch_execz .LBB153_48
.LBB153_56:
	ds_read_b32 v10, v22 offset:132
	s_waitcnt lgkmcnt(0)
	ds_write_b32 v12, v10 offset:8
	s_or_b64 exec, exec, s[8:9]
	s_and_saveexec_b64 s[8:9], s[14:15]
	s_cbranch_execnz .LBB153_49
	s_branch .LBB153_50
.LBB153_57:
                                        ; implicit-def: $vgpr14
                                        ; implicit-def: $vgpr15
                                        ; implicit-def: $vgpr26
                                        ; implicit-def: $vgpr22
                                        ; implicit-def: $vgpr24
                                        ; implicit-def: $vgpr23
                                        ; implicit-def: $vgpr25
.LBB153_58:
	v_or_b32_e32 v14, 32, v0
	v_lshlrev_b32_e32 v2, 2, v14
	v_sub_co_u32_e32 v2, vcc, v10, v2
	s_ashr_i32 s29, s28, 31
	s_nop 0
	v_subbrev_co_u32_e32 v3, vcc, 0, v11, vcc
	v_lshl_add_u64 v[2:3], s[28:29], 2, v[2:3]
	v_lshl_add_u64 v[2:3], v[2:3], 0, -4
	v_cmp_gt_i32_e32 vcc, s28, v14
	v_mov_b32_e32 v22, 0
	v_cmp_gt_i32_e64 s[10:11], s28, v1
	v_cndmask_b32_e32 v3, v3, v11, vcc
	v_cndmask_b32_e32 v2, v2, v10, vcc
	v_mov_b32_e32 v15, 0
	s_and_saveexec_b64 s[12:13], s[10:11]
	s_cbranch_execz .LBB153_60
; %bb.59:
	flat_load_dword v15, v[2:3]
.LBB153_60:
	s_or_b64 exec, exec, s[12:13]
	v_mad_u32_u24 v14, v1, 33, v0
	v_lshlrev_b32_e32 v27, 2, v14
	s_waitcnt vmcnt(0) lgkmcnt(0)
	ds_write_b32 v27, v15
	v_add_u32_e32 v15, 8, v1
	v_cmp_gt_i32_e64 s[10:11], s28, v15
	s_and_saveexec_b64 s[12:13], s[10:11]
	s_cbranch_execz .LBB153_62
; %bb.61:
	s_lshl_b32 s10, s26, 3
	s_ashr_i32 s11, s10, 31
	v_lshl_add_u64 v[22:23], s[10:11], 2, v[2:3]
	flat_load_dword v22, v[22:23]
.LBB153_62:
	s_or_b64 exec, exec, s[12:13]
	s_waitcnt vmcnt(0) lgkmcnt(0)
	ds_write_b32 v27, v22 offset:1056
	v_add_u32_e32 v22, 16, v1
	v_cmp_gt_i32_e64 s[10:11], s28, v22
	v_mov_b32_e32 v28, 0
	v_mov_b32_e32 v23, 0
	s_and_saveexec_b64 s[12:13], s[10:11]
	s_cbranch_execz .LBB153_64
; %bb.63:
	s_lshl_b32 s10, s26, 4
	s_ashr_i32 s11, s10, 31
	v_lshl_add_u64 v[24:25], s[10:11], 2, v[2:3]
	flat_load_dword v23, v[24:25]
.LBB153_64:
	s_or_b64 exec, exec, s[12:13]
	s_waitcnt vmcnt(0) lgkmcnt(0)
	ds_write_b32 v27, v23 offset:2112
	v_add_u32_e32 v23, 24, v1
	v_cmp_gt_i32_e64 s[10:11], s28, v23
	s_and_saveexec_b64 s[12:13], s[10:11]
	s_cbranch_execz .LBB153_66
; %bb.65:
	s_mul_i32 s10, s26, 24
	s_ashr_i32 s11, s10, 31
	v_lshl_add_u64 v[24:25], s[10:11], 2, v[2:3]
	flat_load_dword v28, v[24:25]
.LBB153_66:
	s_or_b64 exec, exec, s[12:13]
	v_lshlrev_b32_e32 v0, 2, v0
	v_mov_b32_e32 v1, 0
	v_lshl_add_u64 v[0:1], v[2:3], 0, v[0:1]
	s_lshl_b64 s[10:11], s[28:29], 2
	v_mov_b32_e32 v2, s11
	v_subrev_co_u32_e64 v0, s[10:11], s10, v0
	v_add_u32_e32 v26, 0x108, v14
	s_nop 0
	v_subb_co_u32_e64 v1, s[10:11], v1, v2, s[10:11]
	s_mov_b64 s[10:11], 0x84
	s_nop 0
	v_lshl_add_u64 v[0:1], v[0:1], 0, s[10:11]
	v_add_u32_e32 v24, 0x210, v14
	v_add_u32_e32 v25, 0x318, v14
	v_cndmask_b32_e32 v11, v1, v11, vcc
	v_cndmask_b32_e32 v10, v0, v10, vcc
	s_waitcnt vmcnt(0) lgkmcnt(0)
	ds_write_b32 v27, v28 offset:3168
.LBB153_67:
	s_waitcnt lgkmcnt(0)
	s_barrier
	v_lshlrev_b32_e32 v0, 2, v14
	ds_read_b32 v27, v13 offset:4544
	v_lshlrev_b32_e32 v1, 2, v26
	ds_read_b32 v26, v0
	ds_read_b32 v28, v1
	v_lshlrev_b32_e32 v0, 2, v15
	v_lshlrev_b32_e32 v1, 2, v24
	;; [unrolled: 1-line block ×5, first 2 shown]
	ds_read_b32 v22, v0 offset:4544
	ds_read_b32 v23, v1
	ds_read_b32 v24, v2 offset:4544
	ds_read_b32 v25, v3
	ds_read_b32 v29, v13 offset:4544
	ds_read2_b32 v[14:15], v12 offset1:1
	ds_read_b128 v[0:3], v21 offset:128
	ds_read2_b32 v[12:13], v12 offset0:2 offset1:3
	s_waitcnt lgkmcnt(9)
	v_fma_f32 v21, v26, v27, 0
	s_waitcnt lgkmcnt(7)
	v_fmac_f32_e32 v21, v28, v22
	s_waitcnt lgkmcnt(5)
	v_fmac_f32_e32 v21, v23, v24
	s_waitcnt lgkmcnt(3)
	v_fmac_f32_e32 v21, v25, v29
	s_waitcnt lgkmcnt(0)
	s_barrier
	ds_write_b32 v20, v21
	s_waitcnt lgkmcnt(0)
	s_barrier
	s_and_saveexec_b64 s[10:11], s[8:9]
	s_cbranch_execz .LBB153_69
; %bb.68:
	v_lshlrev_b32_e32 v21, 2, v19
	ds_read2_b32 v[22:23], v21 offset1:1
	ds_read2_b32 v[24:25], v21 offset0:2 offset1:3
	ds_read2_b32 v[26:27], v21 offset0:4 offset1:5
	;; [unrolled: 1-line block ×3, first 2 shown]
	s_waitcnt lgkmcnt(3)
	v_add_f32_e32 v16, v16, v22
	v_add_f32_e32 v16, v16, v23
	s_waitcnt lgkmcnt(2)
	v_add_f32_e32 v16, v16, v24
	v_add_f32_e32 v16, v16, v25
	s_waitcnt lgkmcnt(1)
	v_add_f32_e32 v16, v16, v26
	v_add_f32_e32 v16, v16, v27
	s_waitcnt lgkmcnt(0)
	v_add_f32_e32 v16, v16, v28
	v_add_f32_e32 v16, v16, v29
.LBB153_69:
	s_or_b64 exec, exec, s[10:11]
	v_fma_f32 v0, v14, v0, 0
	v_fmac_f32_e32 v0, v15, v1
	v_fmac_f32_e32 v0, v12, v2
	v_fmac_f32_e32 v0, v13, v3
	s_barrier
	ds_write_b32 v20, v0
	s_waitcnt lgkmcnt(0)
	s_barrier
	s_and_saveexec_b64 s[8:9], s[6:7]
	s_cbranch_execz .LBB153_71
; %bb.70:
	v_lshlrev_b32_e32 v14, 2, v19
	ds_read2_b32 v[0:1], v14 offset1:1
	ds_read2_b32 v[2:3], v14 offset0:2 offset1:3
	ds_read2_b32 v[12:13], v14 offset0:4 offset1:5
	;; [unrolled: 1-line block ×3, first 2 shown]
	s_waitcnt lgkmcnt(3)
	v_add_f32_e32 v0, v16, v0
	v_add_f32_e32 v0, v0, v1
	s_waitcnt lgkmcnt(2)
	v_add_f32_e32 v0, v0, v2
	v_add_f32_e32 v0, v0, v3
	;; [unrolled: 3-line block ×4, first 2 shown]
.LBB153_71:
	s_or_b64 exec, exec, s[8:9]
	s_load_dwordx2 s[0:1], s[0:1], 0x60
	s_mul_hi_u32 s6, s24, s22
	s_mul_i32 s25, s25, s22
	s_add_i32 s6, s6, s25
	s_mul_i32 s8, s24, s22
	s_mul_i32 s6, s6, s23
	s_mul_hi_u32 s7, s8, s23
	s_add_i32 s7, s7, s6
	s_mul_i32 s6, s8, s23
	s_lshl_b64 s[6:7], s[6:7], 2
	s_waitcnt lgkmcnt(0)
	s_add_u32 s6, s0, s6
	s_mul_i32 s0, s2, s24
	s_addc_u32 s7, s1, s7
	s_ashr_i32 s1, s0, 31
	s_lshl_b64 s[0:1], s[0:1], 2
	s_add_u32 s6, s6, s0
	v_cmp_le_i32_e32 vcc, s28, v17
	s_addc_u32 s7, s7, s1
	s_and_b64 vcc, s[36:37], vcc
	s_cmp_lt_i32 s2, 1
	v_lshlrev_b32_e32 v12, 2, v17
	s_barrier
	s_cbranch_scc1 .LBB153_78
; %bb.72:
	s_mul_i32 s0, s30, s3
	s_ashr_i32 s1, s0, 31
	s_lshl_b64 s[0:1], s[0:1], 2
	v_mov_b32_e32 v1, s1
	v_subrev_co_u32_e64 v0, s[0:1], s0, v6
	v_mov_b32_e32 v2, s35
	s_nop 0
	v_subb_co_u32_e64 v1, s[0:1], v7, v1, s[0:1]
	v_subrev_co_u32_e64 v6, s[0:1], s34, v10
	s_ashr_i32 s29, s28, 31
	s_nop 0
	v_subb_co_u32_e64 v7, s[0:1], v11, v2, s[0:1]
	v_lshlrev_b64 v[2:3], 2, v[8:9]
	v_sub_co_u32_e64 v2, s[0:1], v6, v2
	v_mul_lo_u32 v6, v5, s26
	s_nop 0
	v_subb_co_u32_e64 v3, s[0:1], v7, v3, s[0:1]
	v_lshl_add_u32 v6, v6, 2, v17
	v_ashrrev_i32_e32 v7, 31, v6
	s_movk_i32 s0, 0xff80
	v_lshl_add_u64 v[2:3], v[6:7], 2, v[2:3]
	s_mov_b32 s1, -1
	v_lshl_add_u64 v[6:7], v[2:3], 0, s[0:1]
	v_sub_co_u32_e64 v8, s[0:1], v6, v12
	v_lshrrev_b32_e32 v2, 2, v18
	s_nop 0
	v_subbrev_co_u32_e64 v9, s[0:1], 0, v7, s[0:1]
	v_lshl_add_u64 v[8:9], s[28:29], 2, v[8:9]
	v_and_b32_e32 v20, 48, v17
	v_and_b32_e32 v19, 15, v17
	v_lshl_add_u64 v[8:9], v[8:9], 0, -4
	v_and_b32_e32 v2, 0x7ffc, v2
	v_lshlrev_b32_e32 v10, 2, v20
	s_movk_i32 s8, 0x10c
	v_or_b32_e32 v11, 60, v12
	v_and_b32_e32 v13, 0x1fff0, v18
	s_ashr_i32 s27, s26, 31
	v_mov_b32_e32 v14, 0x10c0
	s_movk_i32 s9, 0x430
	v_mov_b32_e32 v3, 0
	v_cndmask_b32_e32 v7, v7, v9, vcc
	v_cndmask_b32_e32 v6, v6, v8, vcc
	s_lshl_b32 s3, s3, 6
	v_add_u32_e32 v8, 0x10c0, v12
	v_add_u32_e32 v9, 0x11c0, v12
	v_cmp_gt_u32_e64 s[0:1], 64, v18
	v_mad_u32_u24 v10, v19, s8, v10
	v_mad_u32_u24 v11, v19, s8, v11
	;; [unrolled: 1-line block ×3, first 2 shown]
	v_lshl_add_u32 v14, v5, 4, v14
	v_mad_u32_u24 v15, v5, s9, v12
	v_mad_u32_u24 v17, v19, s8, v2
	s_lshl_b64 s[8:9], s[26:27], 2
	s_lshl_b64 s[10:11], s[26:27], 3
	;; [unrolled: 1-line block ×3, first 2 shown]
	s_mul_hi_i32 s15, s26, 12
	s_mul_i32 s14, s26, 12
	s_lshl_b64 s[16:17], s[26:27], 6
	s_mul_hi_i32 s21, s26, 0x48
	s_mul_i32 s20, s26, 0x48
	s_mul_hi_i32 s23, s26, 0x4c
	s_mul_i32 s22, s26, 0x4c
	s_lshl_b64 s[24:25], s[26:27], 7
	s_mul_hi_i32 s29, s26, 0x88
	s_mul_i32 s28, s26, 0x88
	s_mul_hi_i32 s31, s26, 0x8c
	s_mul_i32 s30, s26, 0x8c
	;; [unrolled: 2-line block ×7, first 2 shown]
	s_mul_hi_i32 s27, s26, 0x44
	s_mulk_i32 s26, 0x44
	v_or_b32_e32 v2, v20, v19
	s_mov_b32 s44, 0
	s_branch .LBB153_74
.LBB153_73:                             ;   in Loop: Header=BB153_74 Depth=1
	s_or_b64 exec, exec, s[46:47]
	v_fmac_f32_e32 v16, v18, v22
	v_fmac_f32_e32 v16, v20, v23
	;; [unrolled: 1-line block ×15, first 2 shown]
	s_add_i32 s2, s2, -1
	s_add_i32 s44, s44, s3
	v_fmac_f32_e32 v16, v42, v49
	v_lshl_add_u64 v[6:7], v[6:7], 0, s[12:13]
	s_cmp_eq_u32 s2, 0
	v_add_u32_e32 v2, 64, v2
	s_barrier
	s_cbranch_scc1 .LBB153_78
.LBB153_74:                             ; =>This Inner Loop Header: Depth=1
	s_and_saveexec_b64 s[46:47], s[18:19]
	s_cbranch_execz .LBB153_76
; %bb.75:                               ;   in Loop: Header=BB153_74 Depth=1
	s_ashr_i32 s45, s44, 31
	v_lshl_add_u64 v[18:19], s[44:45], 2, v[0:1]
	flat_load_dword v18, v[18:19]
	s_waitcnt vmcnt(0) lgkmcnt(0)
	ds_write_b32 v8, v18
.LBB153_76:                             ;   in Loop: Header=BB153_74 Depth=1
	s_or_b64 exec, exec, s[46:47]
	s_waitcnt lgkmcnt(0)
	s_barrier
	flat_load_dword v18, v[6:7]
	v_lshl_add_u64 v[22:23], v[6:7], 0, s[8:9]
	v_lshl_add_u64 v[24:25], v[6:7], 0, s[10:11]
	flat_load_dword v20, v[22:23]
	flat_load_dword v19, v[24:25]
	v_lshl_add_u64 v[22:23], v[6:7], 0, s[14:15]
	flat_load_dword v21, v[22:23]
	ds_read_b32 v23, v9
	ds_read_b32 v22, v14
	v_lshl_add_u64 v[30:31], v[6:7], 0, s[16:17]
	v_lshl_add_u64 v[32:33], v[6:7], 0, s[26:27]
	;; [unrolled: 1-line block ×12, first 2 shown]
	s_waitcnt vmcnt(0) lgkmcnt(0)
	v_mul_f32_e32 v24, v18, v23
	ds_write_b32 v15, v24
	v_mul_f32_e32 v24, v20, v23
	v_mul_f32_e32 v25, v19, v23
	;; [unrolled: 1-line block ×3, first 2 shown]
	ds_read_b32 v23, v14 offset:4
	ds_write_b32 v15, v24 offset:268
	ds_read_b32 v24, v14 offset:8
	ds_write_b32 v15, v25 offset:536
	;; [unrolled: 2-line block ×3, first 2 shown]
	s_waitcnt lgkmcnt(0)
	s_barrier
	ds_read2_b32 v[46:47], v13 offset1:1
	ds_read2_b32 v[48:49], v13 offset0:2 offset1:3
	s_waitcnt lgkmcnt(0)
	s_barrier
	flat_load_dword v29, v[30:31]
	flat_load_dword v28, v[32:33]
	;; [unrolled: 1-line block ×4, first 2 shown]
	ds_read_b32 v31, v9
	ds_read_b32 v30, v14 offset:64
	v_add_f32_e32 v46, 0, v46
	v_add_f32_e32 v46, v46, v47
	;; [unrolled: 1-line block ×3, first 2 shown]
	s_waitcnt vmcnt(0) lgkmcnt(0)
	v_mul_f32_e32 v32, v29, v31
	v_mul_f32_e32 v33, v28, v31
	ds_write_b32 v15, v32
	v_mul_f32_e32 v34, v27, v31
	v_mul_f32_e32 v35, v26, v31
	ds_read_b32 v31, v14 offset:68
	ds_write_b32 v15, v33 offset:268
	ds_read_b32 v32, v14 offset:72
	ds_write_b32 v15, v34 offset:536
	;; [unrolled: 2-line block ×3, first 2 shown]
	s_waitcnt lgkmcnt(0)
	s_barrier
	ds_read2_b32 v[50:51], v13 offset1:1
	ds_read2_b32 v[52:53], v13 offset0:2 offset1:3
	s_waitcnt lgkmcnt(0)
	s_barrier
	flat_load_dword v37, v[38:39]
	flat_load_dword v36, v[40:41]
	;; [unrolled: 1-line block ×4, first 2 shown]
	ds_read_b32 v39, v9
	ds_read_b32 v38, v14 offset:128
	s_waitcnt vmcnt(0) lgkmcnt(0)
	v_mul_f32_e32 v40, v37, v39
	v_mul_f32_e32 v41, v36, v39
	ds_write_b32 v15, v40
	v_mul_f32_e32 v42, v35, v39
	v_mul_f32_e32 v43, v34, v39
	ds_read_b32 v39, v14 offset:132
	ds_write_b32 v15, v41 offset:268
	ds_read_b32 v40, v14 offset:136
	ds_write_b32 v15, v42 offset:536
	;; [unrolled: 2-line block ×3, first 2 shown]
	s_waitcnt lgkmcnt(0)
	s_barrier
	ds_read2_b32 v[62:63], v13 offset1:1
	ds_read2_b32 v[64:65], v13 offset0:2 offset1:3
	s_waitcnt lgkmcnt(0)
	s_barrier
	flat_load_dword v45, v[54:55]
	flat_load_dword v44, v[56:57]
	;; [unrolled: 1-line block ×4, first 2 shown]
	v_add_f32_e32 v54, v46, v49
	v_add_f32_e32 v46, 0, v50
	;; [unrolled: 1-line block ×5, first 2 shown]
	ds_read_b32 v47, v9
	ds_read_b32 v46, v14 offset:192
	v_add_f32_e32 v48, 0, v62
	v_add_f32_e32 v48, v48, v63
	;; [unrolled: 1-line block ×4, first 2 shown]
	s_waitcnt vmcnt(0) lgkmcnt(0)
	v_mul_f32_e32 v48, v45, v47
	v_mul_f32_e32 v49, v44, v47
	ds_write_b32 v15, v48
	v_mul_f32_e32 v50, v43, v47
	v_mul_f32_e32 v51, v42, v47
	ds_read_b32 v47, v14 offset:196
	ds_write_b32 v15, v49 offset:268
	ds_read_b32 v48, v14 offset:200
	ds_write_b32 v15, v50 offset:536
	;; [unrolled: 2-line block ×3, first 2 shown]
	s_waitcnt lgkmcnt(0)
	s_barrier
	ds_read2_b32 v[50:51], v13 offset1:1
	ds_read2_b32 v[52:53], v13 offset0:2 offset1:3
	s_waitcnt lgkmcnt(0)
	s_barrier
	v_add_f32_e32 v50, 0, v50
	v_add_f32_e32 v50, v50, v51
	;; [unrolled: 1-line block ×4, first 2 shown]
	ds_write2_b32 v17, v54, v55 offset1:16
	ds_write2_b32 v17, v56, v50 offset0:32 offset1:48
	s_waitcnt lgkmcnt(0)
	s_barrier
	s_and_saveexec_b64 s[46:47], s[0:1]
	s_cbranch_execz .LBB153_73
; %bb.77:                               ;   in Loop: Header=BB153_74 Depth=1
	ds_read2_b32 v[50:51], v10 offset1:1
	ds_read2_b32 v[52:53], v10 offset0:2 offset1:3
	ds_read2_b32 v[54:55], v10 offset0:4 offset1:5
	;; [unrolled: 1-line block ×3, first 2 shown]
	s_waitcnt lgkmcnt(3)
	v_add_f32_e32 v50, v50, v51
	s_waitcnt lgkmcnt(2)
	v_add_f32_e32 v50, v50, v52
	v_add_f32_e32 v50, v50, v53
	s_waitcnt lgkmcnt(1)
	v_add_f32_e32 v50, v50, v54
	;; [unrolled: 3-line block ×3, first 2 shown]
	ds_read2_b32 v[50:51], v10 offset0:8 offset1:9
	v_add_f32_e32 v56, v52, v57
	ds_read2_b32 v[52:53], v10 offset0:10 offset1:11
	ds_read2_b32 v[54:55], v10 offset0:12 offset1:13
	ds_read_b32 v57, v10 offset:56
	s_waitcnt lgkmcnt(3)
	v_add_f32_e32 v50, v56, v50
	v_add_f32_e32 v50, v50, v51
	s_waitcnt lgkmcnt(2)
	v_add_f32_e32 v50, v50, v52
	ds_read_b32 v51, v11
	v_add_f32_e32 v50, v50, v53
	s_waitcnt lgkmcnt(2)
	v_add_f32_e32 v50, v50, v54
	v_add_f32_e32 v50, v50, v55
	s_waitcnt lgkmcnt(1)
	v_add_f32_e32 v50, v50, v57
	s_waitcnt lgkmcnt(0)
	v_add_f32_e32 v52, v50, v51
	v_lshl_add_u64 v[50:51], v[2:3], 2, s[6:7]
	global_store_dword v[50:51], v52, off
	s_branch .LBB153_73
.LBB153_78:
	s_movk_i32 s0, 0x10c
	v_mad_u32_u24 v0, v5, s0, v12
	s_or_b64 s[0:1], s[4:5], vcc
	s_xor_b64 s[0:1], s[0:1], -1
	ds_write_b32 v0, v16
	s_waitcnt lgkmcnt(0)
	s_barrier
	s_and_saveexec_b64 s[2:3], s[0:1]
	s_cbranch_execz .LBB153_80
; %bb.79:
	ds_read2_b32 v[0:1], v12 offset1:67
	ds_read2_b32 v[2:3], v12 offset0:134 offset1:201
	v_ashrrev_i32_e32 v5, 31, v4
	s_waitcnt lgkmcnt(1)
	v_add_f32_e32 v0, v0, v1
	s_waitcnt lgkmcnt(0)
	v_add_f32_e32 v0, v0, v2
	v_add_f32_e32 v2, v0, v3
	v_lshl_add_u64 v[0:1], v[4:5], 2, s[6:7]
	global_store_dword v[0:1], v2, off
.LBB153_80:
	s_endpgm
	.section	.rodata,"a",@progbits
	.p2align	6, 0x0
	.amdhsa_kernel _ZL26rocblas_hemvn_kernel_lowerILb0ELi64ELi4ELi33ELi32ELi16EifPKPKfPfEviT6_lT7_lT5_lS6_lS7_lS5_lT8_i
		.amdhsa_group_segment_fixed_size 4800
		.amdhsa_private_segment_fixed_size 0
		.amdhsa_kernarg_size 368
		.amdhsa_user_sgpr_count 2
		.amdhsa_user_sgpr_dispatch_ptr 0
		.amdhsa_user_sgpr_queue_ptr 0
		.amdhsa_user_sgpr_kernarg_segment_ptr 1
		.amdhsa_user_sgpr_dispatch_id 0
		.amdhsa_user_sgpr_kernarg_preload_length 0
		.amdhsa_user_sgpr_kernarg_preload_offset 0
		.amdhsa_user_sgpr_private_segment_size 0
		.amdhsa_uses_dynamic_stack 0
		.amdhsa_enable_private_segment 0
		.amdhsa_system_sgpr_workgroup_id_x 1
		.amdhsa_system_sgpr_workgroup_id_y 0
		.amdhsa_system_sgpr_workgroup_id_z 1
		.amdhsa_system_sgpr_workgroup_info 0
		.amdhsa_system_vgpr_workitem_id 1
		.amdhsa_next_free_vgpr 66
		.amdhsa_next_free_sgpr 48
		.amdhsa_accum_offset 68
		.amdhsa_reserve_vcc 1
		.amdhsa_float_round_mode_32 0
		.amdhsa_float_round_mode_16_64 0
		.amdhsa_float_denorm_mode_32 3
		.amdhsa_float_denorm_mode_16_64 3
		.amdhsa_dx10_clamp 1
		.amdhsa_ieee_mode 1
		.amdhsa_fp16_overflow 0
		.amdhsa_tg_split 0
		.amdhsa_exception_fp_ieee_invalid_op 0
		.amdhsa_exception_fp_denorm_src 0
		.amdhsa_exception_fp_ieee_div_zero 0
		.amdhsa_exception_fp_ieee_overflow 0
		.amdhsa_exception_fp_ieee_underflow 0
		.amdhsa_exception_fp_ieee_inexact 0
		.amdhsa_exception_int_div_zero 0
	.end_amdhsa_kernel
	.section	.text._ZL26rocblas_hemvn_kernel_lowerILb0ELi64ELi4ELi33ELi32ELi16EifPKPKfPfEviT6_lT7_lT5_lS6_lS7_lS5_lT8_i,"axG",@progbits,_ZL26rocblas_hemvn_kernel_lowerILb0ELi64ELi4ELi33ELi32ELi16EifPKPKfPfEviT6_lT7_lT5_lS6_lS7_lS5_lT8_i,comdat
.Lfunc_end153:
	.size	_ZL26rocblas_hemvn_kernel_lowerILb0ELi64ELi4ELi33ELi32ELi16EifPKPKfPfEviT6_lT7_lT5_lS6_lS7_lS5_lT8_i, .Lfunc_end153-_ZL26rocblas_hemvn_kernel_lowerILb0ELi64ELi4ELi33ELi32ELi16EifPKPKfPfEviT6_lT7_lT5_lS6_lS7_lS5_lT8_i
                                        ; -- End function
	.section	.AMDGPU.csdata,"",@progbits
; Kernel info:
; codeLenInByte = 5420
; NumSgprs: 54
; NumVgprs: 66
; NumAgprs: 0
; TotalNumVgprs: 66
; ScratchSize: 0
; MemoryBound: 0
; FloatMode: 240
; IeeeMode: 1
; LDSByteSize: 4800 bytes/workgroup (compile time only)
; SGPRBlocks: 6
; VGPRBlocks: 8
; NumSGPRsForWavesPerEU: 54
; NumVGPRsForWavesPerEU: 66
; AccumOffset: 68
; Occupancy: 7
; WaveLimiterHint : 1
; COMPUTE_PGM_RSRC2:SCRATCH_EN: 0
; COMPUTE_PGM_RSRC2:USER_SGPR: 2
; COMPUTE_PGM_RSRC2:TRAP_HANDLER: 0
; COMPUTE_PGM_RSRC2:TGID_X_EN: 1
; COMPUTE_PGM_RSRC2:TGID_Y_EN: 0
; COMPUTE_PGM_RSRC2:TGID_Z_EN: 1
; COMPUTE_PGM_RSRC2:TIDIG_COMP_CNT: 1
; COMPUTE_PGM_RSRC3_GFX90A:ACCUM_OFFSET: 16
; COMPUTE_PGM_RSRC3_GFX90A:TG_SPLIT: 0
	.section	.text._ZL36rocblas_hemvn_kernel_lower_block_sumILi64EifPKPffEviT1_lS3_lT2_lT0_lPT3_i,"axG",@progbits,_ZL36rocblas_hemvn_kernel_lower_block_sumILi64EifPKPffEviT1_lS3_lT2_lT0_lPT3_i,comdat
	.globl	_ZL36rocblas_hemvn_kernel_lower_block_sumILi64EifPKPffEviT1_lS3_lT2_lT0_lPT3_i ; -- Begin function _ZL36rocblas_hemvn_kernel_lower_block_sumILi64EifPKPffEviT1_lS3_lT2_lT0_lPT3_i
	.p2align	8
	.type	_ZL36rocblas_hemvn_kernel_lower_block_sumILi64EifPKPffEviT1_lS3_lT2_lT0_lPT3_i,@function
_ZL36rocblas_hemvn_kernel_lower_block_sumILi64EifPKPffEviT1_lS3_lT2_lT0_lPT3_i: ; @_ZL36rocblas_hemvn_kernel_lower_block_sumILi64EifPKPffEviT1_lS3_lT2_lT0_lPT3_i
; %bb.0:
	s_mov_b32 s12, s3
	s_load_dwordx2 s[8:9], s[0:1], 0x0
	s_load_dword s3, s[0:1], 0x10
	s_mov_b32 s13, 0
	s_waitcnt lgkmcnt(0)
	v_cmp_eq_f32_e64 s[4:5], s9, 0
	v_cmp_eq_f32_e64 s[6:7], s3, 1.0
	s_and_b64 s[4:5], s[4:5], s[6:7]
	s_and_b64 vcc, exec, s[4:5]
	s_cbranch_vccnz .LBB154_19
; %bb.1:
	s_load_dwordx4 s[4:7], s[0:1], 0x20
	s_load_dword s18, s[0:1], 0x30
	s_lshl_b64 s[10:11], s[12:13], 3
	v_lshl_or_b32 v2, s2, 6, v0
	s_waitcnt lgkmcnt(0)
	s_add_u32 s4, s4, s10
	s_addc_u32 s5, s5, s11
	s_load_dwordx2 s[4:5], s[4:5], 0x0
	s_lshl_b64 s[6:7], s[6:7], 2
	v_cmp_neq_f32_e64 s[10:11], s9, 0
	s_waitcnt lgkmcnt(0)
	s_add_u32 s6, s4, s6
	s_addc_u32 s7, s5, s7
	s_and_b64 vcc, exec, s[10:11]
	v_cmp_gt_i32_e64 s[4:5], s8, v2
	s_cbranch_vccnz .LBB154_6
; %bb.2:
	s_mov_b64 s[14:15], 0
	s_mov_b64 s[10:11], 0
                                        ; implicit-def: $vgpr3
                                        ; implicit-def: $vgpr0_vgpr1
	s_and_saveexec_b64 s[16:17], s[4:5]
	s_cbranch_execz .LBB154_7
; %bb.3:
	v_cmp_eq_f32_e64 s[4:5], s3, 0
	v_mul_lo_u32 v0, v2, s18
	v_mov_b32_e32 v3, 0
	v_ashrrev_i32_e32 v1, 31, v0
	s_and_b64 vcc, exec, s[4:5]
	s_cbranch_vccnz .LBB154_5
; %bb.4:
	v_lshl_add_u64 v[4:5], v[0:1], 2, s[6:7]
	global_load_dword v3, v[4:5], off
	s_waitcnt vmcnt(0)
	v_mul_f32_e32 v3, s3, v3
.LBB154_5:
	s_mov_b64 s[10:11], exec
	s_or_b64 exec, exec, s[16:17]
	s_and_b64 vcc, exec, s[14:15]
	s_cbranch_vccnz .LBB154_8
	s_branch .LBB154_17
.LBB154_6:
	s_mov_b64 s[10:11], 0
                                        ; implicit-def: $vgpr3
                                        ; implicit-def: $vgpr0_vgpr1
	s_cbranch_execnz .LBB154_8
	s_branch .LBB154_17
.LBB154_7:
	s_or_b64 exec, exec, s[16:17]
	s_and_b64 vcc, exec, s[14:15]
	s_cbranch_vccz .LBB154_17
.LBB154_8:
	v_cmp_gt_i32_e32 vcc, s8, v2
                                        ; implicit-def: $vgpr3
                                        ; implicit-def: $vgpr0_vgpr1
	s_and_saveexec_b64 s[4:5], vcc
	s_cbranch_execz .LBB154_16
; %bb.9:
	s_load_dword s13, s[0:1], 0x50
	v_mov_b32_e32 v4, 0
	s_waitcnt lgkmcnt(0)
	s_cmp_ge_i32 s2, s13
	s_cbranch_scc1 .LBB154_12
; %bb.10:
	s_ashr_i32 s15, s8, 31
	s_mul_i32 s16, s2, s8
	s_load_dwordx2 s[0:1], s[0:1], 0x40
	v_add_u32_e32 v0, s16, v2
	s_mul_hi_u32 s16, s8, s12
	s_mul_i32 s17, s15, s12
	s_mov_b32 s14, s8
	s_add_i32 s16, s16, s17
	s_mul_i32 s8, s8, s12
	s_mul_i32 s16, s16, s13
	s_mul_hi_u32 s12, s8, s13
	s_add_i32 s17, s12, s16
	s_mul_i32 s16, s8, s13
	s_lshl_b64 s[16:17], s[16:17], 2
	s_waitcnt lgkmcnt(0)
	s_add_u32 s0, s0, s16
	v_ashrrev_i32_e32 v1, 31, v0
	s_addc_u32 s1, s1, s17
	v_lshl_add_u64 v[0:1], v[0:1], 2, s[0:1]
	s_lshl_b64 s[0:1], s[14:15], 2
	v_mov_b32_e32 v4, 0
.LBB154_11:                             ; =>This Inner Loop Header: Depth=1
	global_load_dword v3, v[0:1], off
	s_add_i32 s2, s2, 1
	v_lshl_add_u64 v[0:1], v[0:1], 0, s[0:1]
	s_cmp_ge_i32 s2, s13
	s_waitcnt vmcnt(0)
	v_add_f32_e32 v4, v4, v3
	s_cbranch_scc0 .LBB154_11
.LBB154_12:
	v_cmp_eq_f32_e64 s[0:1], s3, 0
	v_mul_lo_u32 v0, v2, s18
	s_and_b64 vcc, exec, s[0:1]
	v_ashrrev_i32_e32 v1, 31, v0
	s_cbranch_vccz .LBB154_20
; %bb.13:
	v_mul_f32_e32 v3, s9, v4
	s_cbranch_execnz .LBB154_15
.LBB154_14:
	v_lshl_add_u64 v[2:3], v[0:1], 2, s[6:7]
	global_load_dword v2, v[2:3], off
	s_waitcnt vmcnt(0)
	v_mul_f32_e32 v3, s3, v2
	v_fmac_f32_e32 v3, s9, v4
.LBB154_15:
	s_or_b64 s[10:11], s[10:11], exec
.LBB154_16:
	s_or_b64 exec, exec, s[4:5]
.LBB154_17:
	s_and_saveexec_b64 s[0:1], s[10:11]
	s_cbranch_execz .LBB154_19
; %bb.18:
	v_lshl_add_u64 v[0:1], v[0:1], 2, s[6:7]
	global_store_dword v[0:1], v3, off
.LBB154_19:
	s_endpgm
.LBB154_20:
                                        ; implicit-def: $vgpr3
	s_branch .LBB154_14
	.section	.rodata,"a",@progbits
	.p2align	6, 0x0
	.amdhsa_kernel _ZL36rocblas_hemvn_kernel_lower_block_sumILi64EifPKPffEviT1_lS3_lT2_lT0_lPT3_i
		.amdhsa_group_segment_fixed_size 0
		.amdhsa_private_segment_fixed_size 0
		.amdhsa_kernarg_size 336
		.amdhsa_user_sgpr_count 2
		.amdhsa_user_sgpr_dispatch_ptr 0
		.amdhsa_user_sgpr_queue_ptr 0
		.amdhsa_user_sgpr_kernarg_segment_ptr 1
		.amdhsa_user_sgpr_dispatch_id 0
		.amdhsa_user_sgpr_kernarg_preload_length 0
		.amdhsa_user_sgpr_kernarg_preload_offset 0
		.amdhsa_user_sgpr_private_segment_size 0
		.amdhsa_uses_dynamic_stack 0
		.amdhsa_enable_private_segment 0
		.amdhsa_system_sgpr_workgroup_id_x 1
		.amdhsa_system_sgpr_workgroup_id_y 0
		.amdhsa_system_sgpr_workgroup_id_z 1
		.amdhsa_system_sgpr_workgroup_info 0
		.amdhsa_system_vgpr_workitem_id 0
		.amdhsa_next_free_vgpr 6
		.amdhsa_next_free_sgpr 19
		.amdhsa_accum_offset 8
		.amdhsa_reserve_vcc 1
		.amdhsa_float_round_mode_32 0
		.amdhsa_float_round_mode_16_64 0
		.amdhsa_float_denorm_mode_32 3
		.amdhsa_float_denorm_mode_16_64 3
		.amdhsa_dx10_clamp 1
		.amdhsa_ieee_mode 1
		.amdhsa_fp16_overflow 0
		.amdhsa_tg_split 0
		.amdhsa_exception_fp_ieee_invalid_op 0
		.amdhsa_exception_fp_denorm_src 0
		.amdhsa_exception_fp_ieee_div_zero 0
		.amdhsa_exception_fp_ieee_overflow 0
		.amdhsa_exception_fp_ieee_underflow 0
		.amdhsa_exception_fp_ieee_inexact 0
		.amdhsa_exception_int_div_zero 0
	.end_amdhsa_kernel
	.section	.text._ZL36rocblas_hemvn_kernel_lower_block_sumILi64EifPKPffEviT1_lS3_lT2_lT0_lPT3_i,"axG",@progbits,_ZL36rocblas_hemvn_kernel_lower_block_sumILi64EifPKPffEviT1_lS3_lT2_lT0_lPT3_i,comdat
.Lfunc_end154:
	.size	_ZL36rocblas_hemvn_kernel_lower_block_sumILi64EifPKPffEviT1_lS3_lT2_lT0_lPT3_i, .Lfunc_end154-_ZL36rocblas_hemvn_kernel_lower_block_sumILi64EifPKPffEviT1_lS3_lT2_lT0_lPT3_i
                                        ; -- End function
	.section	.AMDGPU.csdata,"",@progbits
; Kernel info:
; codeLenInByte = 528
; NumSgprs: 25
; NumVgprs: 6
; NumAgprs: 0
; TotalNumVgprs: 6
; ScratchSize: 0
; MemoryBound: 0
; FloatMode: 240
; IeeeMode: 1
; LDSByteSize: 0 bytes/workgroup (compile time only)
; SGPRBlocks: 3
; VGPRBlocks: 0
; NumSGPRsForWavesPerEU: 25
; NumVGPRsForWavesPerEU: 6
; AccumOffset: 8
; Occupancy: 8
; WaveLimiterHint : 1
; COMPUTE_PGM_RSRC2:SCRATCH_EN: 0
; COMPUTE_PGM_RSRC2:USER_SGPR: 2
; COMPUTE_PGM_RSRC2:TRAP_HANDLER: 0
; COMPUTE_PGM_RSRC2:TGID_X_EN: 1
; COMPUTE_PGM_RSRC2:TGID_Y_EN: 0
; COMPUTE_PGM_RSRC2:TGID_Z_EN: 1
; COMPUTE_PGM_RSRC2:TIDIG_COMP_CNT: 0
; COMPUTE_PGM_RSRC3_GFX90A:ACCUM_OFFSET: 1
; COMPUTE_PGM_RSRC3_GFX90A:TG_SPLIT: 0
	.section	.text._ZL50rocblas_symv_kernel_upper_double_buffered_diagonalILi32ELi4E24rocblas_internal_val_ptrIdEPKPKdPKPdEvbiT1_lT2_lllSA_lllS9_lT3_llli,"axG",@progbits,_ZL50rocblas_symv_kernel_upper_double_buffered_diagonalILi32ELi4E24rocblas_internal_val_ptrIdEPKPKdPKPdEvbiT1_lT2_lllSA_lllS9_lT3_llli,comdat
	.globl	_ZL50rocblas_symv_kernel_upper_double_buffered_diagonalILi32ELi4E24rocblas_internal_val_ptrIdEPKPKdPKPdEvbiT1_lT2_lllSA_lllS9_lT3_llli ; -- Begin function _ZL50rocblas_symv_kernel_upper_double_buffered_diagonalILi32ELi4E24rocblas_internal_val_ptrIdEPKPKdPKPdEvbiT1_lT2_lllSA_lllS9_lT3_llli
	.p2align	8
	.type	_ZL50rocblas_symv_kernel_upper_double_buffered_diagonalILi32ELi4E24rocblas_internal_val_ptrIdEPKPKdPKPdEvbiT1_lT2_lllSA_lllS9_lT3_llli,@function
_ZL50rocblas_symv_kernel_upper_double_buffered_diagonalILi32ELi4E24rocblas_internal_val_ptrIdEPKPKdPKPdEvbiT1_lT2_lllSA_lllS9_lT3_llli: ; @_ZL50rocblas_symv_kernel_upper_double_buffered_diagonalILi32ELi4E24rocblas_internal_val_ptrIdEPKPKdPKPdEvbiT1_lT2_lllSA_lllS9_lT3_llli
; %bb.0:
	s_mov_b32 s18, s3
	s_load_dword s3, s[0:1], 0x0
	s_load_dwordx8 s[4:11], s[0:1], 0x8
	s_load_dwordx2 s[16:17], s[0:1], 0x28
	s_load_dwordx4 s[12:15], s[0:1], 0x58
	s_waitcnt lgkmcnt(0)
	s_bitcmp1_b32 s3, 0
	s_cselect_b64 s[22:23], -1, 0
	s_xor_b64 s[20:21], s[22:23], -1
	s_and_b64 vcc, exec, s[22:23]
	v_mov_b64_e32 v[2:3], s[4:5]
	s_cbranch_vccnz .LBB155_2
; %bb.1:
	s_mul_i32 s3, s18, s7
	s_mul_hi_u32 s7, s18, s6
	s_add_i32 s7, s7, s3
	s_mul_i32 s6, s18, s6
	s_lshl_b64 s[6:7], s[6:7], 3
	s_add_u32 s4, s4, s6
	s_addc_u32 s5, s5, s7
	v_mov_b64_e32 v[2:3], s[4:5]
	flat_load_dwordx2 v[2:3], v[2:3]
.LBB155_2:
	s_andn2_b64 vcc, exec, s[20:21]
	v_mov_b64_e32 v[4:5], s[12:13]
	s_cbranch_vccnz .LBB155_4
; %bb.3:
	s_mul_i32 s3, s18, s15
	s_mul_hi_u32 s4, s18, s14
	s_add_i32 s5, s4, s3
	s_mul_i32 s4, s18, s14
	s_lshl_b64 s[4:5], s[4:5], 3
	s_add_u32 s4, s12, s4
	s_addc_u32 s5, s13, s5
	v_mov_b64_e32 v[4:5], s[4:5]
	flat_load_dwordx2 v[4:5], v[4:5]
.LBB155_4:
	s_waitcnt vmcnt(0) lgkmcnt(0)
	v_cmp_neq_f64_e32 vcc, 0, v[2:3]
	v_cmp_neq_f64_e64 s[4:5], 1.0, v[4:5]
	s_or_b64 s[4:5], vcc, s[4:5]
	s_and_saveexec_b64 s[6:7], s[4:5]
	s_cbranch_execz .LBB155_40
; %bb.5:
	v_cmp_neq_f64_e64 s[4:5], 0, v[2:3]
	v_cmp_eq_f64_e32 vcc, 0, v[2:3]
                                        ; implicit-def: $sgpr14_sgpr15
	s_and_saveexec_b64 s[6:7], vcc
	s_xor_b64 s[6:7], exec, s[6:7]
; %bb.6:
	s_mov_b32 s19, 0
	s_mov_b64 s[14:15], 0
; %bb.7:
	s_or_saveexec_b64 s[12:13], s[6:7]
	s_load_dwordx2 s[6:7], s[0:1], 0x68
	v_mov_b64_e32 v[6:7], s[18:19]
	v_mov_b64_e32 v[8:9], s[14:15]
	s_xor_b64 exec, exec, s[12:13]
	s_cbranch_execz .LBB155_9
; %bb.8:
	s_mov_b32 s19, 0
	s_lshl_b64 s[14:15], s[18:19], 3
	s_add_u32 s8, s8, s14
	s_addc_u32 s9, s9, s15
	s_load_dwordx2 s[8:9], s[8:9], 0x0
	s_lshl_b64 s[10:11], s[10:11], 3
	v_mov_b64_e32 v[6:7], s[18:19]
	s_waitcnt lgkmcnt(0)
	s_add_u32 s8, s8, s10
	s_addc_u32 s9, s9, s11
	v_mov_b64_e32 v[8:9], s[8:9]
.LBB155_9:
	s_or_b64 exec, exec, s[12:13]
	s_load_dwordx4 s[8:11], s[0:1], 0x38
	s_load_dwordx2 s[12:13], s[0:1], 0x48
	v_mov_b64_e32 v[10:11], 0
	s_and_saveexec_b64 s[14:15], s[4:5]
	s_cbranch_execz .LBB155_11
; %bb.10:
	s_waitcnt lgkmcnt(0)
	v_mov_b32_e32 v10, s8
	v_mov_b32_e32 v11, s9
	v_lshl_add_u64 v[10:11], v[6:7], 3, v[10:11]
	global_load_dwordx2 v[10:11], v[10:11], off
	s_waitcnt vmcnt(0)
	v_lshl_add_u64 v[10:11], s[10:11], 3, v[10:11]
.LBB155_11:
	s_or_b64 exec, exec, s[14:15]
	s_waitcnt lgkmcnt(0)
	v_lshl_add_u64 v[6:7], v[6:7], 3, s[6:7]
	global_load_dwordx2 v[6:7], v[6:7], off
	s_load_dwordx4 s[4:7], s[0:1], 0x70
	s_lshl_b32 s8, s2, 5
	s_ashr_i32 s9, s8, 31
	v_and_b32_e32 v18, 0x3ff, v0
	v_bfe_u32 v19, v0, 10, 10
	s_waitcnt lgkmcnt(0)
	s_mul_i32 s2, s8, s7
	s_mul_hi_u32 s3, s8, s6
	s_add_i32 s2, s3, s2
	s_mul_i32 s3, s9, s6
	s_add_i32 s3, s2, s3
	s_mul_i32 s2, s8, s6
	s_lshl_b64 s[0:1], s[4:5], 3
	s_lshl_b64 s[2:3], s[2:3], 3
	s_add_u32 s0, s2, s0
	s_addc_u32 s1, s3, s1
	s_waitcnt vmcnt(0)
	v_lshl_add_u64 v[0:1], s[0:1], 0, v[6:7]
	s_and_saveexec_b64 s[0:1], vcc
	s_xor_b64 s[0:1], exec, s[0:1]
	s_cbranch_execz .LBB155_15
; %bb.12:
	v_cmp_eq_u32_e32 vcc, 0, v19
	s_and_saveexec_b64 s[2:3], vcc
	s_cbranch_execz .LBB155_14
; %bb.13:
	v_mad_u64_u32 v[2:3], s[4:5], v18, s6, 0
	v_mov_b32_e32 v6, v3
	v_mad_u64_u32 v[6:7], s[4:5], v18, s7, v[6:7]
	v_mov_b32_e32 v3, v6
	v_lshl_add_u64 v[0:1], v[2:3], 3, v[0:1]
	global_load_dwordx2 v[2:3], v[0:1], off
	s_waitcnt vmcnt(0)
	v_mul_f64 v[2:3], v[4:5], v[2:3]
	global_store_dwordx2 v[0:1], v[2:3], off
.LBB155_14:
	s_or_b64 exec, exec, s[2:3]
                                        ; implicit-def: $vgpr19
                                        ; implicit-def: $vgpr2_vgpr3
                                        ; implicit-def: $vgpr4_vgpr5
                                        ; implicit-def: $vgpr18
                                        ; implicit-def: $vgpr0_vgpr1
                                        ; implicit-def: $vgpr8_vgpr9
                                        ; implicit-def: $vgpr10_vgpr11
.LBB155_15:
	s_andn2_saveexec_b64 s[0:1], s[0:1]
	s_cbranch_execz .LBB155_40
; %bb.16:
	v_cmp_eq_u32_e32 vcc, 0, v19
	v_mov_b64_e32 v[6:7], 0
	s_and_saveexec_b64 s[2:3], vcc
	s_cbranch_execz .LBB155_20
; %bb.17:
	v_cmp_neq_f64_e64 s[0:1], 0, v[4:5]
	v_mov_b64_e32 v[6:7], 0
	s_and_saveexec_b64 s[4:5], s[0:1]
	s_cbranch_execz .LBB155_19
; %bb.18:
	v_mad_u64_u32 v[6:7], s[0:1], v18, s6, 0
	v_mov_b32_e32 v12, v7
	v_mad_u64_u32 v[12:13], s[0:1], v18, s7, v[12:13]
	v_mov_b32_e32 v7, v12
	v_lshl_add_u64 v[6:7], v[6:7], 3, v[0:1]
	global_load_dwordx2 v[6:7], v[6:7], off
	s_waitcnt vmcnt(0)
	v_mul_f64 v[6:7], v[4:5], v[6:7]
.LBB155_19:
	s_or_b64 exec, exec, s[4:5]
	s_mul_i32 s0, s8, s13
	s_mul_hi_u32 s1, s8, s12
	s_add_i32 s0, s1, s0
	s_mul_i32 s1, s9, s12
	s_add_i32 s1, s0, s1
	s_mul_i32 s0, s8, s12
	v_lshl_add_u64 v[10:11], s[0:1], 3, v[10:11]
	v_mad_u64_u32 v[12:13], s[0:1], v18, s12, 0
	v_mov_b32_e32 v14, v13
	v_mad_u64_u32 v[14:15], s[0:1], v18, s13, v[14:15]
	v_mov_b32_e32 v13, v14
	v_lshl_add_u64 v[10:11], v[12:13], 3, v[10:11]
	flat_load_dwordx2 v[10:11], v[10:11]
	v_lshlrev_b32_e32 v12, 3, v18
	s_waitcnt vmcnt(0) lgkmcnt(0)
	ds_write_b64 v12, v[10:11] offset:10240
.LBB155_20:
	s_or_b64 exec, exec, s[2:3]
	s_add_u32 s0, s16, 1
	s_addc_u32 s1, s17, 0
	s_mul_i32 s2, s0, s9
	s_mul_hi_u32 s3, s0, s8
	s_add_i32 s2, s3, s2
	s_mul_i32 s1, s1, s8
	s_add_i32 s1, s2, s1
	s_mul_i32 s0, s0, s8
	v_lshl_add_u64 v[8:9], s[0:1], 3, v[8:9]
	v_mad_u64_u32 v[10:11], s[0:1], v19, s16, 0
	v_mov_b32_e32 v12, v11
	v_mad_u64_u32 v[12:13], s[0:1], v19, s17, v[12:13]
	v_mov_b32_e32 v11, v12
	v_lshl_add_u64 v[10:11], v[10:11], 3, v[8:9]
	v_lshlrev_b32_e32 v8, 3, v18
	v_mov_b32_e32 v9, 0
	v_cmp_lt_u32_e64 s[0:1], 15, v18
	s_mul_i32 s10, s17, 12
	s_mul_hi_u32 s11, s16, 12
	s_mul_i32 s2, s16, 12
                                        ; implicit-def: $sgpr4_sgpr5
                                        ; implicit-def: $sgpr8_sgpr9
	s_and_saveexec_b64 s[12:13], s[0:1]
	s_xor_b64 s[0:1], exec, s[12:13]
; %bb.21:
	s_lshl_b64 s[4:5], s[16:17], 2
	s_lshl_b64 s[8:9], s[16:17], 3
	s_add_i32 s3, s11, s10
; %bb.22:
	s_or_saveexec_b64 s[0:1], s[0:1]
	v_lshl_add_u64 v[10:11], v[10:11], 0, v[8:9]
	v_lshlrev_b32_e32 v9, 5, v19
	v_mov_b64_e32 v[12:13], s[2:3]
	v_mov_b64_e32 v[14:15], s[8:9]
	;; [unrolled: 1-line block ×3, first 2 shown]
	s_xor_b64 exec, exec, s[0:1]
	s_cbranch_execz .LBB155_24
; %bb.23:
	flat_load_dwordx2 v[12:13], v[10:11]
	v_or_b32_e32 v14, v9, v18
	s_lshl_b64 s[4:5], s[16:17], 5
	v_lshlrev_b32_e32 v20, 3, v14
	v_lshl_add_u64 v[14:15], v[10:11], 0, s[4:5]
	s_lshl_b64 s[8:9], s[16:17], 3
	s_add_i32 s3, s11, s10
	s_waitcnt vmcnt(0) lgkmcnt(0)
	ds_write_b64 v20, v[12:13]
	flat_load_dwordx2 v[12:13], v[14:15]
	v_lshl_add_u64 v[14:15], v[14:15], 0, s[4:5]
	s_waitcnt vmcnt(0) lgkmcnt(0)
	ds_write_b64 v20, v[12:13] offset:1024
	flat_load_dwordx2 v[12:13], v[14:15]
	v_lshl_add_u64 v[14:15], v[14:15], 0, s[4:5]
	s_lshl_b64 s[4:5], s[16:17], 2
	s_waitcnt vmcnt(0) lgkmcnt(0)
	ds_write_b64 v20, v[12:13] offset:2048
	flat_load_dwordx2 v[16:17], v[14:15]
	v_mov_b64_e32 v[12:13], s[2:3]
	v_mov_b64_e32 v[14:15], s[8:9]
	s_waitcnt vmcnt(0) lgkmcnt(0)
	ds_write_b64 v20, v[16:17] offset:3072
	v_mov_b64_e32 v[16:17], s[4:5]
.LBB155_24:
	s_or_b64 exec, exec, s[0:1]
	s_lshl_b64 s[0:1], s[16:17], 7
	v_lshl_add_u64 v[20:21], v[10:11], 0, s[0:1]
	flat_load_dwordx2 v[22:23], v[20:21]
	v_add_lshl_u32 v10, v9, v18, 3
	v_lshl_add_u64 v[16:17], v[16:17], 3, v[20:21]
	v_lshl_add_u64 v[14:15], v[14:15], 3, v[20:21]
	v_lshl_add_u64 v[12:13], v[12:13], 3, v[20:21]
	v_add_u32_e32 v11, 0x1000, v10
	s_waitcnt vmcnt(0) lgkmcnt(0)
	ds_write_b64 v10, v[22:23] offset:4096
	flat_load_dwordx2 v[16:17], v[16:17]
	s_waitcnt vmcnt(0) lgkmcnt(0)
	ds_write_b64 v10, v[16:17] offset:5120
	flat_load_dwordx2 v[14:15], v[14:15]
	;; [unrolled: 3-line block ×3, first 2 shown]
	v_sub_u32_e32 v14, v18, v19
	v_sub_u32_e32 v16, 0, v14
	v_lshlrev_b32_e32 v15, 5, v18
	v_max_i32_e32 v17, v14, v16
	v_cmp_lt_u32_e64 s[0:1], 16, v17
	v_add_lshl_u32 v15, v19, v15, 3
	s_waitcnt vmcnt(0) lgkmcnt(0)
	ds_write_b64 v10, v[12:13] offset:7168
	s_waitcnt lgkmcnt(0)
	s_barrier
	s_and_saveexec_b64 s[2:3], s[0:1]
	s_cbranch_execz .LBB155_26
; %bb.25:
	ds_read_b64 v[12:13], v15 offset:128
	s_waitcnt lgkmcnt(0)
	ds_write_b64 v11, v[12:13]
.LBB155_26:
	s_or_b64 exec, exec, s[2:3]
	v_add_u32_e32 v12, 0x1400, v10
	v_cmp_lt_u32_e64 s[0:1], 20, v17
	s_and_saveexec_b64 s[2:3], s[0:1]
	s_cbranch_execz .LBB155_28
; %bb.27:
	ds_read_b64 v[20:21], v15 offset:160
	s_waitcnt lgkmcnt(0)
	ds_write_b64 v12, v[20:21]
.LBB155_28:
	s_or_b64 exec, exec, s[2:3]
	v_add_u32_e32 v13, 0x1800, v10
	v_cmp_lt_u32_e64 s[0:1], 24, v17
	;; [unrolled: 10-line block ×3, first 2 shown]
	s_and_saveexec_b64 s[2:3], s[0:1]
	s_cbranch_execz .LBB155_32
; %bb.31:
	ds_read_b64 v[20:21], v15 offset:224
	s_waitcnt lgkmcnt(0)
	ds_write_b64 v14, v[20:21]
.LBB155_32:
	s_or_b64 exec, exec, s[2:3]
	v_add_u32_e32 v16, v9, v18
	v_cmp_ge_u32_e64 s[0:1], v18, v19
	v_lshlrev_b32_e32 v16, 3, v16
	s_and_saveexec_b64 s[2:3], s[0:1]
	s_cbranch_execnz .LBB155_41
; %bb.33:
	s_or_b64 exec, exec, s[2:3]
	v_cmp_lt_u32_e64 s[0:1], 4, v17
	s_and_saveexec_b64 s[2:3], s[0:1]
	s_cbranch_execnz .LBB155_42
.LBB155_34:
	s_or_b64 exec, exec, s[2:3]
	v_cmp_lt_u32_e64 s[0:1], 8, v17
	s_and_saveexec_b64 s[2:3], s[0:1]
	s_cbranch_execz .LBB155_36
.LBB155_35:
	ds_read_b64 v[20:21], v15 offset:64
	s_waitcnt lgkmcnt(0)
	ds_write_b64 v10, v[20:21] offset:2048
.LBB155_36:
	s_or_b64 exec, exec, s[2:3]
	s_movk_i32 s2, 0x180
	v_add3_u32 v9, v9, v18, s2
	v_cmp_lt_u32_e64 s[0:1], 12, v17
	v_lshlrev_b32_e32 v9, 3, v9
	s_and_saveexec_b64 s[2:3], s[0:1]
	s_cbranch_execz .LBB155_38
; %bb.37:
	ds_read_b64 v[20:21], v15 offset:96
	s_waitcnt lgkmcnt(0)
	ds_write_b64 v9, v[20:21]
.LBB155_38:
	s_or_b64 exec, exec, s[2:3]
	v_lshlrev_b32_e32 v15, 3, v19
	v_add_u32_e32 v15, 0x2800, v15
	s_waitcnt lgkmcnt(0)
	s_barrier
	ds_read2_b64 v[20:23], v15 offset1:4
	ds_read_b64 v[32:33], v16
	ds_read2st64_b64 v[24:27], v10 offset0:2 offset1:4
	ds_read2_b64 v[28:31], v15 offset0:8 offset1:12
	ds_read_b64 v[34:35], v9
	s_waitcnt lgkmcnt(3)
	v_fma_f64 v[32:33], v[32:33], v[20:21], 0
	s_waitcnt lgkmcnt(2)
	v_fmac_f64_e32 v[32:33], v[24:25], v[22:23]
	s_waitcnt lgkmcnt(1)
	v_fmac_f64_e32 v[32:33], v[26:27], v[28:29]
	ds_read2_b64 v[20:23], v15 offset0:16 offset1:20
	ds_read2_b64 v[24:27], v15 offset0:24 offset1:28
	ds_read_b64 v[10:11], v11
	ds_read_b64 v[28:29], v12
	;; [unrolled: 1-line block ×4, first 2 shown]
	s_waitcnt lgkmcnt(6)
	v_fmac_f64_e32 v[32:33], v[34:35], v[30:31]
	s_waitcnt lgkmcnt(3)
	v_fmac_f64_e32 v[32:33], v[10:11], v[20:21]
	;; [unrolled: 2-line block ×5, first 2 shown]
	ds_write_b64 v16, v[32:33] offset:8192
	s_waitcnt lgkmcnt(0)
	s_barrier
	s_and_saveexec_b64 s[0:1], vcc
	s_cbranch_execz .LBB155_40
; %bb.39:
	v_add_u32_e32 v12, 0x2000, v8
	ds_read2_b64 v[8:11], v12 offset1:32
	ds_read2_b64 v[12:15], v12 offset0:64 offset1:96
	v_cmp_neq_f64_e32 vcc, 0, v[4:5]
	v_mad_u64_u32 v[4:5], s[0:1], v18, s6, 0
	s_waitcnt lgkmcnt(1)
	v_add_f64 v[8:9], v[8:9], 0
	v_add_f64 v[8:9], v[8:9], v[10:11]
	s_waitcnt lgkmcnt(0)
	v_add_f64 v[8:9], v[8:9], v[12:13]
	v_add_f64 v[8:9], v[8:9], v[14:15]
	v_mul_f64 v[10:11], v[2:3], v[8:9]
	v_fmac_f64_e32 v[6:7], v[2:3], v[8:9]
	v_cndmask_b32_e32 v2, v10, v6, vcc
	v_mov_b32_e32 v6, v5
	v_cndmask_b32_e32 v3, v11, v7, vcc
	v_mad_u64_u32 v[6:7], s[0:1], v18, s7, v[6:7]
	v_mov_b32_e32 v5, v6
	v_lshl_add_u64 v[0:1], v[4:5], 3, v[0:1]
	global_store_dwordx2 v[0:1], v[2:3], off
.LBB155_40:
	s_endpgm
.LBB155_41:
	ds_read_b64 v[20:21], v15
	s_waitcnt lgkmcnt(0)
	ds_write_b64 v16, v[20:21]
	s_or_b64 exec, exec, s[2:3]
	v_cmp_lt_u32_e64 s[0:1], 4, v17
	s_and_saveexec_b64 s[2:3], s[0:1]
	s_cbranch_execz .LBB155_34
.LBB155_42:
	ds_read_b64 v[20:21], v15 offset:32
	s_waitcnt lgkmcnt(0)
	ds_write_b64 v10, v[20:21] offset:1024
	s_or_b64 exec, exec, s[2:3]
	v_cmp_lt_u32_e64 s[0:1], 8, v17
	s_and_saveexec_b64 s[2:3], s[0:1]
	s_cbranch_execnz .LBB155_35
	s_branch .LBB155_36
	.section	.rodata,"a",@progbits
	.p2align	6, 0x0
	.amdhsa_kernel _ZL50rocblas_symv_kernel_upper_double_buffered_diagonalILi32ELi4E24rocblas_internal_val_ptrIdEPKPKdPKPdEvbiT1_lT2_lllSA_lllS9_lT3_llli
		.amdhsa_group_segment_fixed_size 10496
		.amdhsa_private_segment_fixed_size 0
		.amdhsa_kernarg_size 140
		.amdhsa_user_sgpr_count 2
		.amdhsa_user_sgpr_dispatch_ptr 0
		.amdhsa_user_sgpr_queue_ptr 0
		.amdhsa_user_sgpr_kernarg_segment_ptr 1
		.amdhsa_user_sgpr_dispatch_id 0
		.amdhsa_user_sgpr_kernarg_preload_length 0
		.amdhsa_user_sgpr_kernarg_preload_offset 0
		.amdhsa_user_sgpr_private_segment_size 0
		.amdhsa_uses_dynamic_stack 0
		.amdhsa_enable_private_segment 0
		.amdhsa_system_sgpr_workgroup_id_x 1
		.amdhsa_system_sgpr_workgroup_id_y 0
		.amdhsa_system_sgpr_workgroup_id_z 1
		.amdhsa_system_sgpr_workgroup_info 0
		.amdhsa_system_vgpr_workitem_id 1
		.amdhsa_next_free_vgpr 36
		.amdhsa_next_free_sgpr 24
		.amdhsa_accum_offset 36
		.amdhsa_reserve_vcc 1
		.amdhsa_float_round_mode_32 0
		.amdhsa_float_round_mode_16_64 0
		.amdhsa_float_denorm_mode_32 3
		.amdhsa_float_denorm_mode_16_64 3
		.amdhsa_dx10_clamp 1
		.amdhsa_ieee_mode 1
		.amdhsa_fp16_overflow 0
		.amdhsa_tg_split 0
		.amdhsa_exception_fp_ieee_invalid_op 0
		.amdhsa_exception_fp_denorm_src 0
		.amdhsa_exception_fp_ieee_div_zero 0
		.amdhsa_exception_fp_ieee_overflow 0
		.amdhsa_exception_fp_ieee_underflow 0
		.amdhsa_exception_fp_ieee_inexact 0
		.amdhsa_exception_int_div_zero 0
	.end_amdhsa_kernel
	.section	.text._ZL50rocblas_symv_kernel_upper_double_buffered_diagonalILi32ELi4E24rocblas_internal_val_ptrIdEPKPKdPKPdEvbiT1_lT2_lllSA_lllS9_lT3_llli,"axG",@progbits,_ZL50rocblas_symv_kernel_upper_double_buffered_diagonalILi32ELi4E24rocblas_internal_val_ptrIdEPKPKdPKPdEvbiT1_lT2_lllSA_lllS9_lT3_llli,comdat
.Lfunc_end155:
	.size	_ZL50rocblas_symv_kernel_upper_double_buffered_diagonalILi32ELi4E24rocblas_internal_val_ptrIdEPKPKdPKPdEvbiT1_lT2_lllSA_lllS9_lT3_llli, .Lfunc_end155-_ZL50rocblas_symv_kernel_upper_double_buffered_diagonalILi32ELi4E24rocblas_internal_val_ptrIdEPKPKdPKPdEvbiT1_lT2_lllSA_lllS9_lT3_llli
                                        ; -- End function
	.section	.AMDGPU.csdata,"",@progbits
; Kernel info:
; codeLenInByte = 1960
; NumSgprs: 30
; NumVgprs: 36
; NumAgprs: 0
; TotalNumVgprs: 36
; ScratchSize: 0
; MemoryBound: 0
; FloatMode: 240
; IeeeMode: 1
; LDSByteSize: 10496 bytes/workgroup (compile time only)
; SGPRBlocks: 3
; VGPRBlocks: 4
; NumSGPRsForWavesPerEU: 30
; NumVGPRsForWavesPerEU: 36
; AccumOffset: 36
; Occupancy: 3
; WaveLimiterHint : 1
; COMPUTE_PGM_RSRC2:SCRATCH_EN: 0
; COMPUTE_PGM_RSRC2:USER_SGPR: 2
; COMPUTE_PGM_RSRC2:TRAP_HANDLER: 0
; COMPUTE_PGM_RSRC2:TGID_X_EN: 1
; COMPUTE_PGM_RSRC2:TGID_Y_EN: 0
; COMPUTE_PGM_RSRC2:TGID_Z_EN: 1
; COMPUTE_PGM_RSRC2:TIDIG_COMP_CNT: 1
; COMPUTE_PGM_RSRC3_GFX90A:ACCUM_OFFSET: 8
; COMPUTE_PGM_RSRC3_GFX90A:TG_SPLIT: 0
	.section	.text._ZL54rocblas_symv_kernel_upper_double_buffered_non_diagonalILi32ELi4ELi4E24rocblas_internal_val_ptrIdEPKPKdPKPdEvbiT2_lT3_lllSA_lllT4_llli,"axG",@progbits,_ZL54rocblas_symv_kernel_upper_double_buffered_non_diagonalILi32ELi4ELi4E24rocblas_internal_val_ptrIdEPKPKdPKPdEvbiT2_lT3_lllSA_lllT4_llli,comdat
	.globl	_ZL54rocblas_symv_kernel_upper_double_buffered_non_diagonalILi32ELi4ELi4E24rocblas_internal_val_ptrIdEPKPKdPKPdEvbiT2_lT3_lllSA_lllT4_llli ; -- Begin function _ZL54rocblas_symv_kernel_upper_double_buffered_non_diagonalILi32ELi4ELi4E24rocblas_internal_val_ptrIdEPKPKdPKPdEvbiT2_lT3_lllSA_lllT4_llli
	.p2align	8
	.type	_ZL54rocblas_symv_kernel_upper_double_buffered_non_diagonalILi32ELi4ELi4E24rocblas_internal_val_ptrIdEPKPKdPKPdEvbiT2_lT3_lllSA_lllT4_llli,@function
_ZL54rocblas_symv_kernel_upper_double_buffered_non_diagonalILi32ELi4ELi4E24rocblas_internal_val_ptrIdEPKPKdPKPdEvbiT2_lT3_lllSA_lllT4_llli: ; @_ZL54rocblas_symv_kernel_upper_double_buffered_non_diagonalILi32ELi4ELi4E24rocblas_internal_val_ptrIdEPKPKdPKPdEvbiT2_lT3_lllSA_lllT4_llli
; %bb.0:
	s_load_dword s5, s[0:1], 0x0
	s_load_dwordx8 s[8:15], s[0:1], 0x8
	s_load_dwordx2 s[16:17], s[0:1], 0x28
	s_waitcnt lgkmcnt(0)
	s_bitcmp1_b32 s5, 0
	s_cselect_b64 s[6:7], -1, 0
	s_and_b64 vcc, exec, s[6:7]
	v_mov_b64_e32 v[8:9], s[8:9]
	s_cbranch_vccnz .LBB156_2
; %bb.1:
	s_mul_i32 s5, s4, s11
	s_mul_hi_u32 s6, s4, s10
	s_add_i32 s7, s6, s5
	s_mul_i32 s6, s4, s10
	s_lshl_b64 s[6:7], s[6:7], 3
	s_add_u32 s6, s8, s6
	s_addc_u32 s7, s9, s7
	v_mov_b64_e32 v[2:3], s[6:7]
	flat_load_dwordx2 v[8:9], v[2:3]
.LBB156_2:
	s_waitcnt vmcnt(0) lgkmcnt(0)
	v_cmp_neq_f64_e32 vcc, 0, v[8:9]
	s_and_saveexec_b64 s[6:7], vcc
	s_cbranch_execz .LBB156_19
; %bb.3:
	s_load_dword s6, s[0:1], 0x84
	s_mov_b32 s5, 0
	s_cmp_eq_u32 s2, 0
	s_waitcnt lgkmcnt(0)
	v_cvt_f32_u32_e32 v1, s6
	v_rcp_iflag_f32_e32 v1, v1
	s_nop 0
	v_mul_f32_e32 v1, 0x4f7ffffe, v1
	v_cvt_u32_f32_e32 v1, v1
	s_nop 0
	v_readfirstlane_b32 s7, v1
	s_cbranch_scc1 .LBB156_19
; %bb.4:
	s_sub_i32 s8, 0, s6
	s_mul_i32 s8, s8, s7
	s_mul_hi_u32 s8, s7, s8
	s_add_i32 s7, s7, s8
	s_load_dwordx4 s[8:11], s[0:1], 0x38
	s_load_dwordx2 s[18:19], s[0:1], 0x48
	s_lshl_b64 s[4:5], s[4:5], 3
	s_add_u32 s12, s12, s4
	s_addc_u32 s13, s13, s5
	s_waitcnt lgkmcnt(0)
	s_add_u32 s8, s8, s4
	s_addc_u32 s9, s9, s5
	s_load_dwordx2 s[20:21], s[8:9], 0x0
	s_load_dwordx2 s[22:23], s[0:1], 0x58
	s_lshl_b64 s[8:9], s[10:11], 3
	v_and_b32_e32 v76, 0x3ff, v0
	v_bfe_u32 v0, v0, 10, 10
	s_waitcnt lgkmcnt(0)
	s_add_u32 s10, s20, s8
	s_addc_u32 s11, s21, s9
	s_add_u32 s20, s22, s4
	s_addc_u32 s21, s23, s5
	s_lshl_b32 s8, s2, 5
	s_mul_hi_u32 s7, s2, s7
	s_ashr_i32 s9, s8, 31
	v_cmp_eq_u32_e32 vcc, 0, v0
	s_and_saveexec_b64 s[4:5], vcc
	s_cbranch_execz .LBB156_6
; %bb.5:
	s_mul_i32 s22, s8, s19
	s_mul_hi_u32 s23, s8, s18
	s_add_i32 s22, s23, s22
	s_mul_i32 s23, s9, s18
	s_add_i32 s23, s22, s23
	s_mul_i32 s22, s8, s18
	v_mad_u64_u32 v[2:3], s[24:25], v76, s18, 0
	s_lshl_b64 s[22:23], s[22:23], 3
	v_mov_b32_e32 v4, v3
	s_add_u32 s22, s10, s22
	v_mad_u64_u32 v[4:5], s[24:25], v76, s19, v[4:5]
	s_addc_u32 s23, s11, s23
	v_mov_b32_e32 v3, v4
	v_lshl_add_u64 v[2:3], v[2:3], 3, s[22:23]
	global_load_dwordx2 v[2:3], v[2:3], off
	v_lshlrev_b32_e32 v1, 3, v76
	s_waitcnt vmcnt(0)
	ds_write_b64 v1, v[2:3] offset:6144
.LBB156_6:
	s_or_b64 exec, exec, s[4:5]
	s_mul_i32 s4, s7, s6
	s_sub_i32 s4, s2, s4
	s_add_i32 s5, s7, 1
	s_sub_i32 s22, s4, s6
	s_cmp_ge_u32 s4, s6
	s_cselect_b32 s5, s5, s7
	s_cselect_b32 s4, s22, s4
	s_add_i32 s7, s5, 1
	s_cmp_ge_u32 s4, s6
	s_cselect_b32 s23, s7, s5
	s_add_i32 s4, s6, -1
	s_cmp_lg_u32 s3, s4
	s_mov_b32 s22, s23
	s_cbranch_scc1 .LBB156_8
; %bb.7:
	s_mul_i32 s4, s23, s6
	s_sub_i32 s2, s2, s4
	s_add_i32 s22, s2, s23
.LBB156_8:
	s_cmp_eq_u32 s22, 0
	s_cbranch_scc1 .LBB156_19
; %bb.9:
	s_load_dwordx4 s[4:7], s[0:1], 0x60
	s_load_dwordx2 s[24:25], s[20:21], 0x0
	v_lshl_add_u32 v0, v0, 5, v76
	v_and_b32_e32 v10, 15, v76
	v_mov_b64_e32 v[38:39], 0
	s_waitcnt lgkmcnt(0)
	s_lshl_b64 s[0:1], s[4:5], 3
	s_add_u32 s20, s24, s0
	s_addc_u32 s21, s25, s1
	v_lshrrev_b32_e32 v77, 4, v0
	s_cmp_lt_i32 s22, 1
	v_lshlrev_b32_e32 v12, 3, v10
	v_mov_b64_e32 v[40:41], v[38:39]
	v_mov_b64_e32 v[42:43], v[38:39]
	;; [unrolled: 1-line block ×3, first 2 shown]
	s_barrier
	s_cbranch_scc1 .LBB156_17
; %bb.10:
	v_lshlrev_b32_e32 v1, 2, v77
	v_mov_b32_e32 v11, 0
	v_mad_u64_u32 v[2:3], s[4:5], v1, s16, v[10:11]
	v_mov_b32_e32 v4, v3
	v_mad_u64_u32 v[4:5], s[4:5], v1, s17, v[4:5]
	;; [unrolled: 2-line block ×3, first 2 shown]
	v_mov_b32_e32 v6, v5
	s_mul_i32 s3, s3, s23
	v_mad_u64_u32 v[6:7], s[4:5], v10, s19, v[6:7]
	s_lshl_b32 s2, s3, 5
	s_ashr_i32 s3, s2, 31
	s_mul_i32 s4, s2, s7
	s_mul_hi_u32 s5, s2, s6
	s_load_dwordx2 s[0:1], s[12:13], 0x0
	s_add_i32 s4, s5, s4
	s_mul_i32 s5, s3, s6
	s_add_i32 s5, s4, s5
	s_mul_i32 s4, s2, s6
	s_lshl_b64 s[4:5], s[4:5], 3
	s_add_u32 s12, s20, s4
	s_addc_u32 s13, s21, s5
	s_lshl_b64 s[4:5], s[14:15], 3
	s_waitcnt lgkmcnt(0)
	s_add_u32 s14, s0, s4
	s_addc_u32 s15, s1, s5
	s_mul_i32 s0, s8, s17
	s_mul_hi_u32 s1, s8, s16
	s_add_i32 s0, s1, s0
	s_mul_i32 s1, s9, s16
	s_add_i32 s1, s0, s1
	s_mul_i32 s0, s8, s16
	s_lshl_b64 s[0:1], s[0:1], 3
	s_lshl_b64 s[4:5], s[2:3], 3
	s_add_u32 s14, s14, s4
	s_addc_u32 s15, s15, s5
	s_add_u32 s0, s14, s0
	s_mul_i32 s23, s2, s19
	s_mul_hi_u32 s24, s2, s18
	s_addc_u32 s1, s15, s1
	s_add_i32 s23, s24, s23
	s_mul_i32 s3, s3, s18
	s_add_i32 s3, s23, s3
	s_mul_i32 s2, s2, s18
	s_lshl_b64 s[2:3], s[2:3], 3
	s_add_u32 s2, s10, s2
	v_mov_b32_e32 v5, v6
	s_addc_u32 s3, s11, s3
	v_lshl_add_u64 v[2:3], v[2:3], 3, s[0:1]
	s_lshl_b64 s[0:1], s[16:17], 3
	v_lshl_add_u64 v[6:7], v[2:3], 0, s[0:1]
	global_load_dwordx2 v[20:21], v[2:3], off
	global_load_dwordx2 v[22:23], v[6:7], off
	v_lshl_add_u64 v[2:3], v[4:5], 3, s[2:3]
	global_load_dwordx2 v[18:19], v[2:3], off
	v_lshl_add_u64 v[2:3], v[6:7], 0, s[0:1]
	;; [unrolled: 2-line block ×3, first 2 shown]
	global_load_dwordx2 v[28:29], v[2:3], off
	v_lshlrev_b32_e32 v1, 5, v77
	v_or_b32_e32 v2, v1, v10
	v_mov_b32_e32 v4, 0x1000
	v_mad_u64_u32 v[14:15], s[2:3], v76, s6, 0
	v_lshlrev_b32_e32 v0, 1, v0
	v_lshl_add_u32 v78, v2, 3, v4
	v_mov_b32_e32 v2, v15
	v_add_u32_e32 v79, 0x1800, v1
	v_and_b32_e32 v0, 0x1ffe0, v0
	v_mov_b32_e32 v1, v11
	v_mad_u64_u32 v[2:3], s[2:3], v76, s7, v[2:3]
	v_lshl_add_u64 v[0:1], s[8:9], 3, v[0:1]
	v_mov_b32_e32 v15, v2
	v_lshl_add_u32 v80, v76, 3, v4
	v_lshl_add_u64 v[2:3], v[0:1], 0, 8
	v_mov_b64_e32 v[4:5], s[14:15]
	v_mad_u64_u32 v[16:17], s[14:15], s16, v2, v[4:5]
	v_mul_lo_u32 v3, s16, v3
	v_mul_lo_u32 v2, s17, v2
	v_add3_u32 v17, v2, v17, v3
	v_lshl_add_u64 v[2:3], v[0:1], 0, 16
	v_mad_u64_u32 v[24:25], s[14:15], s16, v2, v[4:5]
	v_mul_lo_u32 v3, s16, v3
	v_mul_lo_u32 v2, s17, v2
	v_add3_u32 v25, v2, v25, v3
	v_lshl_add_u64 v[2:3], v[0:1], 0, 24
	v_mad_u64_u32 v[32:33], s[14:15], s16, v0, v[4:5]
	v_mul_lo_u32 v1, s16, v1
	v_mul_lo_u32 v0, s17, v0
	v_mad_u64_u32 v[30:31], s[14:15], s16, v2, v[4:5]
	v_mul_lo_u32 v3, s16, v3
	v_mul_lo_u32 v2, s17, v2
	v_add3_u32 v33, v0, v33, v1
	v_or_b32_e32 v0, s4, v12
	v_add3_u32 v31, v2, v31, v3
	v_or_b32_e32 v2, 0x80, v0
	v_mov_b32_e32 v1, s5
	s_mul_i32 s14, s18, s5
	v_mad_u64_u32 v[36:37], s[4:5], s18, v2, 0
	s_mov_b64 s[4:5], 0x100
	v_mul_lo_u32 v3, s19, v2
	v_lshl_add_u64 v[0:1], v[0:1], 0, s[4:5]
	v_add3_u32 v37, v37, s14, v3
	v_mul_lo_u32 v2, s19, v0
	v_mul_lo_u32 v1, s18, v1
	v_mad_u64_u32 v[44:45], s[14:15], s18, v0, 0
	v_mov_b64_e32 v[34:35], 0
	s_lshl_b64 s[0:1], s[18:19], 8
	s_lshl_b64 s[2:3], s[6:7], 8
	v_mov_b32_e32 v13, v11
	v_add3_u32 v45, v45, v1, v2
	v_mov_b64_e32 v[46:47], s[12:13]
	v_mov_b64_e32 v[42:43], v[34:35]
	;; [unrolled: 1-line block ×4, first 2 shown]
	s_waitcnt vmcnt(4)
	v_mov_b64_e32 v[48:49], v[20:21]
	s_waitcnt vmcnt(3)
	v_mov_b64_e32 v[50:51], v[22:23]
	;; [unrolled: 2-line block ×5, first 2 shown]
.LBB156_11:                             ; =>This Inner Loop Header: Depth=1
	v_lshl_add_u64 v[0:1], s[10:11], 0, v[36:37]
	v_lshl_add_u64 v[68:69], v[32:33], 0, v[12:13]
	;; [unrolled: 1-line block ×5, first 2 shown]
	global_load_dwordx2 v[58:59], v[0:1], off
	global_load_dwordx2 v[60:61], v[68:69], off offset:128
	global_load_dwordx2 v[62:63], v[72:73], off offset:128
	;; [unrolled: 1-line block ×4, first 2 shown]
	ds_read_b128 v[4:7], v79
	ds_read_b128 v[0:3], v79 offset:16
	s_cmp_eq_u32 s22, 1
	s_cbranch_scc1 .LBB156_13
; %bb.12:                               ;   in Loop: Header=BB156_11 Depth=1
	global_load_dwordx2 v[48:49], v[68:69], off offset:256
	global_load_dwordx2 v[50:51], v[72:73], off offset:256
	;; [unrolled: 1-line block ×4, first 2 shown]
	v_lshl_add_u64 v[56:57], s[10:11], 0, v[44:45]
	global_load_dwordx2 v[56:57], v[56:57], off
.LBB156_13:                             ;   in Loop: Header=BB156_11 Depth=1
	s_waitcnt lgkmcnt(1)
	v_fma_f64 v[68:69], v[20:21], v[4:5], 0
	s_waitcnt vmcnt(3)
	v_fma_f64 v[4:5], v[60:61], v[4:5], 0
	v_fmac_f64_e32 v[68:69], v[22:23], v[6:7]
	s_waitcnt vmcnt(2)
	v_fmac_f64_e32 v[4:5], v[62:63], v[6:7]
	s_waitcnt lgkmcnt(0)
	v_fmac_f64_e32 v[68:69], v[26:27], v[0:1]
	s_waitcnt vmcnt(1)
	v_fmac_f64_e32 v[4:5], v[64:65], v[0:1]
	v_fmac_f64_e32 v[68:69], v[28:29], v[2:3]
	s_waitcnt vmcnt(0)
	v_fmac_f64_e32 v[4:5], v[66:67], v[2:3]
	s_barrier
	ds_write2_b64 v78, v[68:69], v[4:5] offset1:16
	s_waitcnt lgkmcnt(0)
	s_barrier
	s_and_saveexec_b64 s[12:13], vcc
	s_cbranch_execz .LBB156_15
; %bb.14:                               ;   in Loop: Header=BB156_11 Depth=1
	ds_read2_b64 v[0:3], v80 offset1:32
	ds_read2_b64 v[4:7], v80 offset0:64 offset1:96
	ds_read2_b64 v[68:71], v80 offset0:128 offset1:160
	;; [unrolled: 1-line block ×3, first 2 shown]
	s_waitcnt lgkmcnt(3)
	v_add_f64 v[0:1], v[0:1], 0
	v_add_f64 v[0:1], v[0:1], v[2:3]
	s_waitcnt lgkmcnt(2)
	v_add_f64 v[0:1], v[0:1], v[4:5]
	v_add_f64 v[0:1], v[0:1], v[6:7]
	;; [unrolled: 3-line block ×4, first 2 shown]
	v_lshl_add_u64 v[2:3], v[14:15], 3, v[46:47]
	v_mul_f64 v[0:1], v[8:9], v[0:1]
	global_atomic_add_f64 v[2:3], v[0:1], off
	v_lshl_add_u64 v[46:47], v[46:47], 0, s[2:3]
.LBB156_15:                             ;   in Loop: Header=BB156_11 Depth=1
	s_or_b64 exec, exec, s[12:13]
	s_add_i32 s22, s22, -1
	s_add_u32 s10, s10, s0
	v_fmac_f64_e32 v[34:35], v[18:19], v[20:21]
	v_fmac_f64_e32 v[42:43], v[18:19], v[22:23]
	;; [unrolled: 1-line block ×4, first 2 shown]
	s_addc_u32 s11, s11, s1
	v_fmac_f64_e32 v[34:35], v[58:59], v[60:61]
	v_fmac_f64_e32 v[42:43], v[58:59], v[62:63]
	;; [unrolled: 1-line block ×4, first 2 shown]
	v_lshl_add_u64 v[16:17], v[16:17], 0, s[4:5]
	v_lshl_add_u64 v[24:25], v[24:25], 0, s[4:5]
	;; [unrolled: 1-line block ×3, first 2 shown]
	s_cmp_eq_u32 s22, 0
	v_lshl_add_u64 v[32:33], v[32:33], 0, s[4:5]
	s_cbranch_scc1 .LBB156_17
; %bb.16:                               ;   in Loop: Header=BB156_11 Depth=1
	v_mov_b64_e32 v[18:19], v[56:57]
	v_mov_b64_e32 v[20:21], v[48:49]
	;; [unrolled: 1-line block ×5, first 2 shown]
	s_branch .LBB156_11
.LBB156_17:
	v_lshl_or_b32 v0, v77, 9, v12
	ds_write2_b64 v0, v[34:35], v[42:43] offset1:16
	ds_write2_b64 v0, v[40:41], v[38:39] offset0:32 offset1:48
	s_waitcnt lgkmcnt(0)
	s_barrier
	s_and_b64 exec, exec, vcc
	s_cbranch_execz .LBB156_19
; %bb.18:
	v_lshlrev_b32_e32 v14, 4, v76
	v_add_u32_e32 v1, 1, v76
	v_and_or_b32 v1, v1, 15, v14
	v_lshlrev_b32_e32 v2, 3, v1
	v_add_u32_e32 v1, 2, v76
	v_or_b32_e32 v15, v10, v14
	v_and_or_b32 v1, v1, 15, v14
	v_lshlrev_b32_e32 v0, 3, v15
	v_lshlrev_b32_e32 v4, 3, v1
	v_add_u32_e32 v1, 3, v76
	v_and_or_b32 v6, v1, 15, v14
	ds_read_b64 v[0:1], v0
	ds_read_b64 v[2:3], v2
	;; [unrolled: 1-line block ×3, first 2 shown]
	v_lshlrev_b32_e32 v6, 3, v6
	ds_read_b64 v[6:7], v6
	s_waitcnt lgkmcnt(3)
	v_add_f64 v[0:1], v[0:1], 0
	s_waitcnt lgkmcnt(2)
	v_add_f64 v[0:1], v[0:1], v[2:3]
	v_add_u32_e32 v3, 5, v76
	v_and_or_b32 v3, v3, 15, v14
	s_waitcnt lgkmcnt(1)
	v_add_f64 v[0:1], v[0:1], v[4:5]
	v_lshlrev_b32_e32 v4, 3, v3
	v_add_u32_e32 v3, 6, v76
	v_and_or_b32 v3, v3, 15, v14
	v_add_u32_e32 v2, 4, v76
	v_lshlrev_b32_e32 v10, 3, v3
	v_add_u32_e32 v3, 7, v76
	v_and_or_b32 v2, v2, 15, v14
	v_and_or_b32 v3, v3, 15, v14
	v_lshlrev_b32_e32 v2, 3, v2
	v_lshlrev_b32_e32 v12, 3, v3
	ds_read_b64 v[2:3], v2
	ds_read_b64 v[4:5], v4
	;; [unrolled: 1-line block ×4, first 2 shown]
	s_waitcnt lgkmcnt(4)
	v_add_f64 v[0:1], v[0:1], v[6:7]
	s_waitcnt lgkmcnt(3)
	v_add_f64 v[0:1], v[0:1], v[2:3]
	v_add_u32_e32 v3, 9, v76
	v_and_or_b32 v3, v3, 15, v14
	s_waitcnt lgkmcnt(2)
	v_add_f64 v[0:1], v[0:1], v[4:5]
	v_lshlrev_b32_e32 v4, 3, v3
	v_add_u32_e32 v3, 10, v76
	v_xor_b32_e32 v2, 8, v15
	v_and_or_b32 v3, v3, 15, v14
	v_lshlrev_b32_e32 v2, 3, v2
	v_lshlrev_b32_e32 v6, 3, v3
	v_add_u32_e32 v3, 11, v76
	s_waitcnt lgkmcnt(1)
	v_add_f64 v[0:1], v[0:1], v[10:11]
	v_and_or_b32 v10, v3, 15, v14
	ds_read_b64 v[2:3], v2
	ds_read_b64 v[4:5], v4
	;; [unrolled: 1-line block ×3, first 2 shown]
	s_waitcnt lgkmcnt(3)
	v_add_f64 v[0:1], v[0:1], v[12:13]
	v_lshlrev_b32_e32 v10, 3, v10
	s_waitcnt lgkmcnt(2)
	v_add_f64 v[0:1], v[0:1], v[2:3]
	v_add_u32_e32 v3, 13, v76
	v_and_or_b32 v3, v3, 15, v14
	s_waitcnt lgkmcnt(1)
	v_add_f64 v[0:1], v[0:1], v[4:5]
	v_lshlrev_b32_e32 v4, 3, v3
	v_add_u32_e32 v3, 14, v76
	ds_read_b64 v[10:11], v10
	v_and_or_b32 v3, v3, 15, v14
	s_waitcnt lgkmcnt(1)
	v_add_f64 v[0:1], v[0:1], v[6:7]
	v_add_u32_e32 v2, 12, v76
	v_lshlrev_b32_e32 v6, 3, v3
	v_add_u32_e32 v3, -1, v76
	v_and_or_b32 v2, v2, 15, v14
	v_and_or_b32 v3, v3, 15, v14
	v_lshlrev_b32_e32 v2, 3, v2
	v_lshlrev_b32_e32 v12, 3, v3
	s_mul_i32 s0, s8, s7
	s_mul_hi_u32 s1, s8, s6
	ds_read_b64 v[2:3], v2
	ds_read_b64 v[4:5], v4
	;; [unrolled: 1-line block ×4, first 2 shown]
	s_add_i32 s0, s1, s0
	s_mul_i32 s1, s9, s6
	s_waitcnt lgkmcnt(4)
	v_add_f64 v[0:1], v[0:1], v[10:11]
	s_add_i32 s1, s0, s1
	s_mul_i32 s0, s8, s6
	s_waitcnt lgkmcnt(3)
	v_add_f64 v[0:1], v[0:1], v[2:3]
	v_mad_u64_u32 v[2:3], s[2:3], v76, s6, 0
	s_lshl_b64 s[0:1], s[0:1], 3
	s_waitcnt lgkmcnt(2)
	v_add_f64 v[0:1], v[0:1], v[4:5]
	v_mov_b32_e32 v4, v3
	s_add_u32 s0, s20, s0
	s_waitcnt lgkmcnt(1)
	v_add_f64 v[0:1], v[0:1], v[6:7]
	v_mad_u64_u32 v[4:5], s[2:3], v76, s7, v[4:5]
	s_addc_u32 s1, s21, s1
	s_waitcnt lgkmcnt(0)
	v_add_f64 v[0:1], v[0:1], v[12:13]
	v_mov_b32_e32 v3, v4
	v_lshl_add_u64 v[2:3], v[2:3], 3, s[0:1]
	v_mul_f64 v[0:1], v[8:9], v[0:1]
	global_atomic_add_f64 v[2:3], v[0:1], off
.LBB156_19:
	s_endpgm
	.section	.rodata,"a",@progbits
	.p2align	6, 0x0
	.amdhsa_kernel _ZL54rocblas_symv_kernel_upper_double_buffered_non_diagonalILi32ELi4ELi4E24rocblas_internal_val_ptrIdEPKPKdPKPdEvbiT2_lT3_lllSA_lllT4_llli
		.amdhsa_group_segment_fixed_size 6400
		.amdhsa_private_segment_fixed_size 0
		.amdhsa_kernarg_size 384
		.amdhsa_user_sgpr_count 2
		.amdhsa_user_sgpr_dispatch_ptr 0
		.amdhsa_user_sgpr_queue_ptr 0
		.amdhsa_user_sgpr_kernarg_segment_ptr 1
		.amdhsa_user_sgpr_dispatch_id 0
		.amdhsa_user_sgpr_kernarg_preload_length 0
		.amdhsa_user_sgpr_kernarg_preload_offset 0
		.amdhsa_user_sgpr_private_segment_size 0
		.amdhsa_uses_dynamic_stack 0
		.amdhsa_enable_private_segment 0
		.amdhsa_system_sgpr_workgroup_id_x 1
		.amdhsa_system_sgpr_workgroup_id_y 1
		.amdhsa_system_sgpr_workgroup_id_z 1
		.amdhsa_system_sgpr_workgroup_info 0
		.amdhsa_system_vgpr_workitem_id 1
		.amdhsa_next_free_vgpr 81
		.amdhsa_next_free_sgpr 26
		.amdhsa_accum_offset 84
		.amdhsa_reserve_vcc 1
		.amdhsa_float_round_mode_32 0
		.amdhsa_float_round_mode_16_64 0
		.amdhsa_float_denorm_mode_32 3
		.amdhsa_float_denorm_mode_16_64 3
		.amdhsa_dx10_clamp 1
		.amdhsa_ieee_mode 1
		.amdhsa_fp16_overflow 0
		.amdhsa_tg_split 0
		.amdhsa_exception_fp_ieee_invalid_op 0
		.amdhsa_exception_fp_denorm_src 0
		.amdhsa_exception_fp_ieee_div_zero 0
		.amdhsa_exception_fp_ieee_overflow 0
		.amdhsa_exception_fp_ieee_underflow 0
		.amdhsa_exception_fp_ieee_inexact 0
		.amdhsa_exception_int_div_zero 0
	.end_amdhsa_kernel
	.section	.text._ZL54rocblas_symv_kernel_upper_double_buffered_non_diagonalILi32ELi4ELi4E24rocblas_internal_val_ptrIdEPKPKdPKPdEvbiT2_lT3_lllSA_lllT4_llli,"axG",@progbits,_ZL54rocblas_symv_kernel_upper_double_buffered_non_diagonalILi32ELi4ELi4E24rocblas_internal_val_ptrIdEPKPKdPKPdEvbiT2_lT3_lllSA_lllT4_llli,comdat
.Lfunc_end156:
	.size	_ZL54rocblas_symv_kernel_upper_double_buffered_non_diagonalILi32ELi4ELi4E24rocblas_internal_val_ptrIdEPKPKdPKPdEvbiT2_lT3_lllSA_lllT4_llli, .Lfunc_end156-_ZL54rocblas_symv_kernel_upper_double_buffered_non_diagonalILi32ELi4ELi4E24rocblas_internal_val_ptrIdEPKPKdPKPdEvbiT2_lT3_lllSA_lllT4_llli
                                        ; -- End function
	.section	.AMDGPU.csdata,"",@progbits
; Kernel info:
; codeLenInByte = 2444
; NumSgprs: 32
; NumVgprs: 81
; NumAgprs: 0
; TotalNumVgprs: 81
; ScratchSize: 0
; MemoryBound: 0
; FloatMode: 240
; IeeeMode: 1
; LDSByteSize: 6400 bytes/workgroup (compile time only)
; SGPRBlocks: 3
; VGPRBlocks: 10
; NumSGPRsForWavesPerEU: 32
; NumVGPRsForWavesPerEU: 81
; AccumOffset: 84
; Occupancy: 5
; WaveLimiterHint : 1
; COMPUTE_PGM_RSRC2:SCRATCH_EN: 0
; COMPUTE_PGM_RSRC2:USER_SGPR: 2
; COMPUTE_PGM_RSRC2:TRAP_HANDLER: 0
; COMPUTE_PGM_RSRC2:TGID_X_EN: 1
; COMPUTE_PGM_RSRC2:TGID_Y_EN: 1
; COMPUTE_PGM_RSRC2:TGID_Z_EN: 1
; COMPUTE_PGM_RSRC2:TIDIG_COMP_CNT: 1
; COMPUTE_PGM_RSRC3_GFX90A:ACCUM_OFFSET: 20
; COMPUTE_PGM_RSRC3_GFX90A:TG_SPLIT: 0
	.section	.text._ZL58rocblas_symv_kernel_upper_double_buffered_diagonal_genericILi32ELi8E24rocblas_internal_val_ptrIdEPKPKdPKPdEvbiT1_lT2_lllSA_lllS9_lT3_lllii,"axG",@progbits,_ZL58rocblas_symv_kernel_upper_double_buffered_diagonal_genericILi32ELi8E24rocblas_internal_val_ptrIdEPKPKdPKPdEvbiT1_lT2_lllSA_lllS9_lT3_lllii,comdat
	.globl	_ZL58rocblas_symv_kernel_upper_double_buffered_diagonal_genericILi32ELi8E24rocblas_internal_val_ptrIdEPKPKdPKPdEvbiT1_lT2_lllSA_lllS9_lT3_lllii ; -- Begin function _ZL58rocblas_symv_kernel_upper_double_buffered_diagonal_genericILi32ELi8E24rocblas_internal_val_ptrIdEPKPKdPKPdEvbiT1_lT2_lllSA_lllS9_lT3_lllii
	.p2align	8
	.type	_ZL58rocblas_symv_kernel_upper_double_buffered_diagonal_genericILi32ELi8E24rocblas_internal_val_ptrIdEPKPKdPKPdEvbiT1_lT2_lllSA_lllS9_lT3_lllii,@function
_ZL58rocblas_symv_kernel_upper_double_buffered_diagonal_genericILi32ELi8E24rocblas_internal_val_ptrIdEPKPKdPKPdEvbiT1_lT2_lllSA_lllS9_lT3_lllii: ; @_ZL58rocblas_symv_kernel_upper_double_buffered_diagonal_genericILi32ELi8E24rocblas_internal_val_ptrIdEPKPKdPKPdEvbiT1_lT2_lllSA_lllS9_lT3_lllii
; %bb.0:
	s_mov_b32 s18, s3
	s_load_dword s3, s[0:1], 0x0
	s_load_dwordx8 s[4:11], s[0:1], 0x8
	s_load_dwordx2 s[16:17], s[0:1], 0x28
	s_load_dwordx4 s[12:15], s[0:1], 0x58
	s_waitcnt lgkmcnt(0)
	s_bitcmp1_b32 s3, 0
	s_cselect_b64 s[22:23], -1, 0
	s_xor_b64 s[20:21], s[22:23], -1
	s_and_b64 vcc, exec, s[22:23]
	v_mov_b64_e32 v[4:5], s[4:5]
	s_cbranch_vccnz .LBB157_2
; %bb.1:
	s_mul_i32 s3, s18, s7
	s_mul_hi_u32 s7, s18, s6
	s_add_i32 s7, s7, s3
	s_mul_i32 s6, s18, s6
	s_lshl_b64 s[6:7], s[6:7], 3
	s_add_u32 s4, s4, s6
	s_addc_u32 s5, s5, s7
	v_mov_b64_e32 v[2:3], s[4:5]
	flat_load_dwordx2 v[4:5], v[2:3]
.LBB157_2:
	s_andn2_b64 vcc, exec, s[20:21]
	v_mov_b64_e32 v[2:3], s[12:13]
	s_cbranch_vccnz .LBB157_4
; %bb.3:
	s_mul_i32 s3, s18, s15
	s_mul_hi_u32 s4, s18, s14
	s_add_i32 s5, s4, s3
	s_mul_i32 s4, s18, s14
	s_lshl_b64 s[4:5], s[4:5], 3
	s_add_u32 s4, s12, s4
	s_addc_u32 s5, s13, s5
	v_mov_b64_e32 v[2:3], s[4:5]
	flat_load_dwordx2 v[2:3], v[2:3]
.LBB157_4:
	s_waitcnt vmcnt(0) lgkmcnt(0)
	v_cmp_neq_f64_e32 vcc, 0, v[4:5]
	v_cmp_neq_f64_e64 s[4:5], 1.0, v[2:3]
	s_or_b64 s[4:5], vcc, s[4:5]
	s_and_saveexec_b64 s[6:7], s[4:5]
	s_cbranch_execz .LBB157_55
; %bb.5:
	v_cmp_neq_f64_e64 s[4:5], 0, v[4:5]
	v_cmp_eq_f64_e32 vcc, 0, v[4:5]
                                        ; implicit-def: $sgpr14_sgpr15
	s_and_saveexec_b64 s[6:7], vcc
	s_xor_b64 s[6:7], exec, s[6:7]
; %bb.6:
	s_mov_b32 s19, 0
	s_mov_b64 s[14:15], 0
; %bb.7:
	s_or_saveexec_b64 s[12:13], s[6:7]
	s_load_dwordx2 s[6:7], s[0:1], 0x68
	v_mov_b64_e32 v[6:7], s[18:19]
	v_mov_b64_e32 v[10:11], s[14:15]
	s_xor_b64 exec, exec, s[12:13]
	s_cbranch_execz .LBB157_9
; %bb.8:
	s_mov_b32 s19, 0
	s_lshl_b64 s[14:15], s[18:19], 3
	s_add_u32 s8, s8, s14
	s_addc_u32 s9, s9, s15
	s_load_dwordx2 s[8:9], s[8:9], 0x0
	s_lshl_b64 s[10:11], s[10:11], 3
	v_mov_b64_e32 v[6:7], s[18:19]
	s_waitcnt lgkmcnt(0)
	s_add_u32 s8, s8, s10
	s_addc_u32 s9, s9, s11
	v_mov_b64_e32 v[10:11], s[8:9]
.LBB157_9:
	s_or_b64 exec, exec, s[12:13]
	s_load_dwordx4 s[8:11], s[0:1], 0x38
	s_load_dwordx2 s[12:13], s[0:1], 0x48
	v_mov_b64_e32 v[8:9], 0
	s_and_saveexec_b64 s[14:15], s[4:5]
	s_cbranch_execz .LBB157_11
; %bb.10:
	s_waitcnt lgkmcnt(0)
	v_mov_b32_e32 v8, s8
	v_mov_b32_e32 v9, s9
	v_lshl_add_u64 v[8:9], v[6:7], 3, v[8:9]
	global_load_dwordx2 v[8:9], v[8:9], off
	s_waitcnt vmcnt(0)
	v_lshl_add_u64 v[8:9], s[10:11], 3, v[8:9]
.LBB157_11:
	s_or_b64 exec, exec, s[14:15]
	s_waitcnt lgkmcnt(0)
	v_lshl_add_u64 v[6:7], v[6:7], 3, s[6:7]
	global_load_dwordx2 v[6:7], v[6:7], off
	s_load_dwordx4 s[8:11], s[0:1], 0x70
	s_load_dword s3, s[0:1], 0x88
	s_lshl_b32 s22, s2, 5
	s_ashr_i32 s23, s22, 31
	v_and_b32_e32 v22, 0x3ff, v0
	s_waitcnt lgkmcnt(0)
	s_mul_i32 s6, s22, s11
	s_mul_hi_u32 s7, s22, s10
	s_add_i32 s6, s7, s6
	s_mul_i32 s7, s23, s10
	s_add_i32 s7, s6, s7
	s_mul_i32 s6, s22, s10
	s_lshl_b64 s[4:5], s[8:9], 3
	s_lshl_b64 s[6:7], s[6:7], 3
	s_add_u32 s4, s6, s4
	s_addc_u32 s5, s7, s5
	v_bfe_u32 v23, v0, 10, 10
	s_waitcnt vmcnt(0)
	v_lshl_add_u64 v[0:1], s[4:5], 0, v[6:7]
	s_and_saveexec_b64 s[4:5], vcc
	s_xor_b64 s[4:5], exec, s[4:5]
	s_cbranch_execz .LBB157_18
; %bb.12:
	v_cmp_eq_u32_e32 vcc, 0, v23
	s_and_saveexec_b64 s[6:7], vcc
	s_cbranch_execz .LBB157_17
; %bb.13:
	v_cmp_gt_i32_e64 s[8:9], s3, v22
	v_cmp_le_i32_e32 vcc, s3, v22
	s_and_saveexec_b64 s[14:15], vcc
	s_cbranch_execz .LBB157_15
; %bb.14:
	s_load_dword s18, s[0:1], 0x90
	s_waitcnt lgkmcnt(0)
	s_add_i32 s18, s18, -1
	s_cmp_lt_u32 s2, s18
	s_cselect_b64 s[18:19], -1, 0
	s_andn2_b64 s[8:9], s[8:9], exec
	s_and_b64 s[18:19], s[18:19], exec
	s_or_b64 s[8:9], s[8:9], s[18:19]
.LBB157_15:
	s_or_b64 exec, exec, s[14:15]
	s_and_b64 exec, exec, s[8:9]
	s_cbranch_execz .LBB157_17
; %bb.16:
	v_mad_u64_u32 v[4:5], s[8:9], v22, s10, 0
	v_mov_b32_e32 v6, v5
	v_mad_u64_u32 v[6:7], s[8:9], v22, s11, v[6:7]
	v_mov_b32_e32 v5, v6
	v_lshl_add_u64 v[0:1], v[4:5], 3, v[0:1]
	global_load_dwordx2 v[4:5], v[0:1], off
	s_waitcnt vmcnt(0)
	v_mul_f64 v[2:3], v[2:3], v[4:5]
	global_store_dwordx2 v[0:1], v[2:3], off
.LBB157_17:
	s_or_b64 exec, exec, s[6:7]
                                        ; implicit-def: $vgpr23
                                        ; implicit-def: $vgpr22
                                        ; implicit-def: $vgpr2_vgpr3
                                        ; implicit-def: $vgpr4_vgpr5
                                        ; implicit-def: $vgpr0_vgpr1
                                        ; implicit-def: $vgpr10_vgpr11
                                        ; implicit-def: $vgpr8_vgpr9
.LBB157_18:
	s_andn2_saveexec_b64 s[4:5], s[4:5]
	s_cbranch_execz .LBB157_55
; %bb.19:
	v_cmp_ne_u32_e64 s[4:5], 0, v23
	v_cmp_eq_u32_e64 s[6:7], 0, v23
	v_mov_b64_e32 v[6:7], 0
	s_and_saveexec_b64 s[8:9], s[6:7]
	s_cbranch_execz .LBB157_27
; %bb.20:
	v_cmp_gt_i32_e64 s[18:19], s3, v22
	v_cmp_le_i32_e32 vcc, s3, v22
                                        ; implicit-def: $sgpr14_sgpr15
	s_and_saveexec_b64 s[20:21], vcc
	s_cbranch_execz .LBB157_22
; %bb.21:
	s_load_dword s24, s[0:1], 0x90
	s_mov_b64 s[14:15], 0
	s_waitcnt lgkmcnt(0)
	s_add_i32 s24, s24, -1
	s_cmp_lt_u32 s2, s24
	s_cselect_b64 s[24:25], -1, 0
	s_andn2_b64 s[18:19], s[18:19], exec
	s_and_b64 s[24:25], s[24:25], exec
	s_or_b64 s[18:19], s[18:19], s[24:25]
.LBB157_22:
	s_or_b64 exec, exec, s[20:21]
	v_mov_b64_e32 v[6:7], s[14:15]
	s_and_saveexec_b64 s[14:15], s[18:19]
	s_cbranch_execz .LBB157_26
; %bb.23:
	s_mul_i32 s18, s22, s13
	s_mul_hi_u32 s19, s22, s12
	s_add_i32 s18, s19, s18
	s_mul_i32 s19, s23, s12
	s_add_i32 s19, s18, s19
	s_mul_i32 s18, s22, s12
	v_lshl_add_u64 v[6:7], s[18:19], 3, v[8:9]
	v_mad_u64_u32 v[8:9], s[18:19], v22, s12, 0
	v_mov_b32_e32 v12, v9
	v_mad_u64_u32 v[12:13], s[12:13], v22, s13, v[12:13]
	v_mov_b32_e32 v9, v12
	v_lshl_add_u64 v[6:7], v[8:9], 3, v[6:7]
	flat_load_dwordx2 v[6:7], v[6:7]
	v_lshlrev_b32_e32 v8, 3, v22
	v_cmp_neq_f64_e32 vcc, 0, v[2:3]
	s_waitcnt vmcnt(0) lgkmcnt(0)
	ds_write_b64 v8, v[6:7] offset:12288
	v_mov_b64_e32 v[6:7], 0
	s_and_saveexec_b64 s[12:13], vcc
	s_cbranch_execz .LBB157_25
; %bb.24:
	v_mad_u64_u32 v[6:7], s[18:19], v22, s10, 0
	v_mov_b32_e32 v8, v7
	v_mad_u64_u32 v[8:9], s[18:19], v22, s11, v[8:9]
	v_mov_b32_e32 v7, v8
	v_lshl_add_u64 v[6:7], v[6:7], 3, v[0:1]
	global_load_dwordx2 v[6:7], v[6:7], off
	s_waitcnt vmcnt(0)
	v_mul_f64 v[6:7], v[2:3], v[6:7]
.LBB157_25:
	s_or_b64 exec, exec, s[12:13]
.LBB157_26:
	s_or_b64 exec, exec, s[14:15]
.LBB157_27:
	s_or_b64 exec, exec, s[8:9]
	s_add_u32 s8, s16, 1
	s_addc_u32 s9, s17, 0
	s_mul_i32 s12, s8, s23
	s_mul_hi_u32 s13, s8, s22
	s_add_i32 s12, s13, s12
	s_mul_i32 s9, s9, s22
	s_load_dword s14, s[0:1], 0x90
	s_add_i32 s9, s12, s9
	v_mad_u64_u32 v[14:15], s[12:13], v23, s16, 0
	v_mov_b32_e32 v9, 0
	v_mov_b32_e32 v8, v15
	s_mul_i32 s8, s8, s22
	v_mad_u64_u32 v[16:17], s[12:13], v23, s17, v[8:9]
	v_lshl_add_u64 v[12:13], s[8:9], 3, v[10:11]
	v_mov_b32_e32 v15, v16
	v_lshl_add_u64 v[14:15], v[14:15], 3, v[12:13]
	v_lshlrev_b32_e32 v8, 3, v22
	v_lshl_add_u32 v26, v23, 5, v22
	s_waitcnt lgkmcnt(0)
	s_add_i32 s14, s14, -1
	v_lshl_add_u64 v[12:13], v[14:15], 0, v[8:9]
	s_cmp_eq_u32 s2, s14
	v_lshlrev_b32_e32 v24, 3, v26
	v_add_u32_e32 v25, 16, v23
	s_cbranch_scc1 .LBB157_30
; %bb.28:
	flat_load_dwordx2 v[16:17], v[12:13]
	v_lshlrev_b32_e32 v9, 3, v26
	s_lshl_b64 s[0:1], s[16:17], 6
	v_lshl_add_u64 v[18:19], v[12:13], 0, s[0:1]
	s_mul_i32 s15, s17, 0xc0
	s_waitcnt vmcnt(0) lgkmcnt(0)
	ds_write_b64 v9, v[16:17]
	flat_load_dwordx2 v[16:17], v[18:19]
	v_lshl_add_u64 v[18:19], v[18:19], 0, s[0:1]
	s_waitcnt vmcnt(0) lgkmcnt(0)
	ds_write_b64 v9, v[16:17] offset:2048
	flat_load_dwordx2 v[20:21], v[18:19]
	v_add_u32_e32 v18, 16, v23
	v_mov_b32_e32 v16, 0xc0
	v_lshlrev_b32_e32 v19, 5, v18
	v_mad_u64_u32 v[16:17], s[0:1], s16, v16, v[12:13]
	v_add_u32_e32 v9, 0x300, v26
	v_add_lshl_u32 v19, v19, v22, 3
	v_add_u32_e32 v17, s15, v17
	s_mov_b64 s[0:1], -1
	s_waitcnt vmcnt(0) lgkmcnt(0)
	ds_write_b64 v19, v[20:21]
	s_cbranch_execz .LBB157_31
; %bb.29:
                                        ; implicit-def: $vgpr25
	s_and_saveexec_b64 s[4:5], s[0:1]
	s_cbranch_execnz .LBB157_45
	s_branch .LBB157_46
.LBB157_30:
	s_mov_b64 s[0:1], 0
                                        ; implicit-def: $vgpr18
                                        ; implicit-def: $vgpr16_vgpr17
                                        ; implicit-def: $vgpr9
.LBB157_31:
	s_mov_b32 s12, 0
	v_cmp_gt_i32_e32 vcc, s3, v22
	s_mov_b32 s13, s12
	v_lshlrev_b32_e32 v9, 5, v25
	s_or_b64 s[4:5], s[4:5], vcc
	v_mov_b64_e32 v[16:17], s[12:13]
	v_add_lshl_u32 v9, v9, v22, 3
	s_xor_b64 s[12:13], s[4:5], -1
	ds_write2st64_b64 v24, v[16:17], v[16:17] offset1:4
	ds_write_b64 v9, v[16:17]
	ds_write_b64 v24, v[16:17] offset:6144
	s_and_saveexec_b64 s[4:5], s[12:13]
	s_cbranch_execz .LBB157_33
; %bb.32:
	v_mov_b32_e32 v16, 0
	v_mov_b32_e32 v17, v16
	ds_write_b64 v8, v[16:17] offset:12288
.LBB157_33:
	s_or_b64 exec, exec, s[4:5]
                                        ; implicit-def: $vgpr18
                                        ; implicit-def: $vgpr16_vgpr17
                                        ; implicit-def: $vgpr9
	s_and_saveexec_b64 s[4:5], vcc
	s_cbranch_execz .LBB157_44
; %bb.34:
	s_cmp_lt_u32 s3, 8
	s_mov_b32 s15, 0
	s_cbranch_scc1 .LBB157_41
; %bb.35:
	s_lshr_b32 s15, s3, 3
	s_add_i32 s12, s15, -1
	s_cmp_lt_u32 s12, 3
	s_mov_b32 s18, 0
	s_cbranch_scc1 .LBB157_38
; %bb.36:
	s_lshl_b64 s[12:13], s[8:9], 3
	v_lshlrev_b32_e32 v27, 3, v23
	v_add_u32_e32 v19, 0xc0, v27
	v_mov_b64_e32 v[20:21], s[12:13]
	v_mad_u64_u32 v[16:17], s[12:13], s16, v19, v[20:21]
	v_mov_b32_e32 v18, v17
	v_mad_u64_u32 v[18:19], s[12:13], s17, v19, v[18:19]
	v_add_u32_e32 v29, 0x80, v27
	v_mov_b32_e32 v17, v18
	v_mad_u64_u32 v[18:19], s[20:21], s16, v29, v[20:21]
	v_mov_b32_e32 v28, v19
	v_add_u32_e32 v27, 64, v27
	v_mad_u64_u32 v[28:29], s[20:21], s17, v29, v[28:29]
	v_mad_u64_u32 v[20:21], s[20:21], s16, v27, v[20:21]
	v_mov_b32_e32 v19, v28
	v_mov_b32_e32 v28, v21
	v_mad_u64_u32 v[28:29], s[20:21], s17, v27, v[28:29]
	v_mov_b32_e32 v21, v28
	s_and_b32 s18, s15, 0x1ffffffc
	v_mov_b32_e32 v9, 0
	v_lshl_add_u64 v[16:17], v[10:11], 0, v[16:17]
	s_lshl_b64 s[12:13], s[16:17], 8
	v_lshl_add_u64 v[18:19], v[10:11], 0, v[18:19]
	v_lshl_add_u64 v[20:21], v[10:11], 0, v[20:21]
	s_mov_b32 s19, 0
	v_mov_b32_e32 v27, v24
.LBB157_37:                             ; =>This Inner Loop Header: Depth=1
	v_lshl_add_u64 v[28:29], v[14:15], 0, v[8:9]
	flat_load_dwordx2 v[28:29], v[28:29]
	v_lshl_add_u64 v[30:31], v[20:21], 0, v[8:9]
	s_add_i32 s19, s19, 4
	v_lshl_add_u64 v[20:21], v[20:21], 0, s[12:13]
	v_lshl_add_u64 v[14:15], v[14:15], 0, s[12:13]
	s_cmp_lg_u32 s18, s19
	s_waitcnt vmcnt(0) lgkmcnt(0)
	ds_write_b64 v27, v[28:29]
	flat_load_dwordx2 v[28:29], v[30:31]
	v_lshl_add_u64 v[30:31], v[18:19], 0, v[8:9]
	v_lshl_add_u64 v[18:19], v[18:19], 0, s[12:13]
	s_waitcnt vmcnt(0) lgkmcnt(0)
	ds_write_b64 v27, v[28:29] offset:2048
	flat_load_dwordx2 v[28:29], v[30:31]
	v_lshl_add_u64 v[30:31], v[16:17], 0, v[8:9]
	v_lshl_add_u64 v[16:17], v[16:17], 0, s[12:13]
	s_waitcnt vmcnt(0) lgkmcnt(0)
	ds_write_b64 v27, v[28:29] offset:4096
	flat_load_dwordx2 v[28:29], v[30:31]
	s_waitcnt vmcnt(0) lgkmcnt(0)
	ds_write_b64 v27, v[28:29] offset:6144
	v_add_u32_e32 v27, 0x2000, v27
	s_cbranch_scc1 .LBB157_37
.LBB157_38:
	s_bfe_u32 s19, s3, 0x20003
	s_cmp_eq_u32 s19, 0
	s_mov_b32 s13, 0
	s_cbranch_scc1 .LBB157_41
; %bb.39:
	s_lshl_b32 s12, s18, 11
	v_lshlrev_b32_e32 v9, 8, v23
	v_add3_u32 v14, s12, v9, v8
	s_lshl_b64 s[8:9], s[8:9], 3
	v_lshlrev_b32_e32 v16, 3, v23
	v_mov_b32_e32 v17, 0
	s_lshl_b32 s12, s18, 3
	v_lshl_add_u64 v[18:19], s[12:13], 3, v[16:17]
	v_mov_b64_e32 v[20:21], s[8:9]
	v_mul_lo_u32 v9, s16, v19
	v_mul_lo_u32 v15, s17, v18
	v_mad_u64_u32 v[18:19], s[8:9], s16, v18, v[20:21]
	v_add3_u32 v19, v15, v19, v9
	v_mov_b32_e32 v9, v17
	v_lshl_add_u64 v[16:17], v[18:19], 0, v[8:9]
	v_lshl_add_u64 v[10:11], v[10:11], 0, v[16:17]
	s_lshl_b64 s[8:9], s[16:17], 6
.LBB157_40:                             ; =>This Inner Loop Header: Depth=1
	flat_load_dwordx2 v[16:17], v[10:11]
	s_add_i32 s19, s19, -1
	v_lshl_add_u64 v[10:11], v[10:11], 0, s[8:9]
	s_cmp_lg_u32 s19, 0
	s_waitcnt vmcnt(0) lgkmcnt(0)
	ds_write_b64 v14, v[16:17]
	v_add_u32_e32 v14, 0x800, v14
	s_cbranch_scc1 .LBB157_40
.LBB157_41:
	s_and_b32 s8, s3, 7
	v_cmp_gt_u32_e32 vcc, s8, v23
	s_mov_b64 s[8:9], s[0:1]
                                        ; implicit-def: $vgpr16_vgpr17
                                        ; implicit-def: $vgpr9
	s_and_saveexec_b64 s[12:13], vcc
; %bb.42:
	s_lshl_b32 s8, s15, 3
	s_mul_i32 s9, s8, s17
	s_mul_hi_u32 s17, s8, s16
	s_add_i32 s9, s17, s9
	s_mul_i32 s8, s8, s16
	v_lshl_add_u64 v[16:17], s[8:9], 3, v[12:13]
	v_lshl_add_u32 v9, s15, 8, v26
	s_or_b64 s[8:9], s[0:1], exec
; %bb.43:
	s_or_b64 exec, exec, s[12:13]
	s_andn2_b64 s[0:1], s[0:1], exec
	s_and_b64 s[8:9], s[8:9], exec
	s_or_b64 s[0:1], s[0:1], s[8:9]
	v_mov_b32_e32 v18, v25
.LBB157_44:
	s_or_b64 exec, exec, s[4:5]
	s_and_saveexec_b64 s[4:5], s[0:1]
	s_cbranch_execz .LBB157_46
.LBB157_45:
	flat_load_dwordx2 v[10:11], v[16:17]
	v_lshlrev_b32_e32 v9, 3, v9
	v_mov_b32_e32 v25, v18
	s_waitcnt vmcnt(0) lgkmcnt(0)
	ds_write_b64 v9, v[10:11]
.LBB157_46:
	s_or_b64 exec, exec, s[4:5]
	v_sub_u32_e32 v9, v22, v23
	v_sub_u32_e32 v10, 0, v9
	v_max_i32_e32 v11, v9, v10
	v_lshlrev_b32_e32 v10, 5, v22
	v_add_u32_e32 v12, v25, v10
	v_cmp_lt_u32_e32 vcc, 16, v11
	v_lshlrev_b32_e32 v9, 5, v25
	v_lshlrev_b32_e32 v12, 3, v12
	s_waitcnt lgkmcnt(0)
	s_barrier
	s_and_saveexec_b64 s[0:1], vcc
	s_cbranch_execnz .LBB157_56
; %bb.47:
	s_or_b64 exec, exec, s[0:1]
	v_cmp_lt_u32_e32 vcc, 24, v11
	s_and_saveexec_b64 s[0:1], vcc
	s_cbranch_execnz .LBB157_57
.LBB157_48:
	s_or_b64 exec, exec, s[0:1]
	v_cmp_ge_u32_e32 vcc, v22, v23
	s_and_saveexec_b64 s[0:1], vcc
	s_cbranch_execz .LBB157_50
.LBB157_49:
	v_add_lshl_u32 v12, v10, v23, 3
	ds_read_b64 v[12:13], v12
	s_waitcnt lgkmcnt(0)
	ds_write_b64 v24, v[12:13]
.LBB157_50:
	s_or_b64 exec, exec, s[0:1]
	v_cmp_lt_u32_e32 vcc, 8, v11
	v_lshlrev_b32_e32 v11, 5, v23
	s_movk_i32 s0, 0x100
	v_add3_u32 v12, v11, v22, s0
	v_lshlrev_b32_e32 v12, 3, v12
	s_and_saveexec_b64 s[0:1], vcc
	s_cbranch_execz .LBB157_52
; %bb.51:
	v_add_lshl_u32 v10, v23, v10, 3
	ds_read_b64 v[14:15], v10 offset:64
	s_waitcnt lgkmcnt(0)
	ds_write_b64 v12, v[14:15]
.LBB157_52:
	s_or_b64 exec, exec, s[0:1]
	v_lshlrev_b32_e32 v23, 3, v23
	v_add_u32_e32 v10, 0x3000, v23
	s_waitcnt lgkmcnt(0)
	s_barrier
	ds_read2_b64 v[14:17], v10 offset1:8
	ds_read_b64 v[18:19], v24
	ds_read_b64 v[12:13], v12
	v_lshlrev_b32_e32 v10, 3, v25
	v_add_lshl_u32 v20, v11, v22, 3
	v_add_lshl_u32 v9, v9, v22, 3
	ds_read_b64 v[10:11], v10 offset:12288
	ds_read_b64 v[20:21], v20 offset:6144
	ds_read_b64 v[26:27], v9
	ds_read_b64 v[28:29], v23 offset:12480
	s_waitcnt lgkmcnt(5)
	v_fma_f64 v[14:15], v[18:19], v[14:15], 0
	s_waitcnt lgkmcnt(4)
	v_fmac_f64_e32 v[14:15], v[12:13], v[16:17]
	s_waitcnt lgkmcnt(1)
	v_fmac_f64_e32 v[14:15], v[26:27], v[10:11]
	;; [unrolled: 2-line block ×3, first 2 shown]
	ds_write_b64 v24, v[14:15] offset:8192
	s_waitcnt lgkmcnt(0)
	s_barrier
	s_and_saveexec_b64 s[0:1], s[6:7]
	s_cbranch_execz .LBB157_55
; %bb.53:
	s_cmp_lt_u32 s2, s14
	v_cmp_gt_i32_e32 vcc, s3, v22
	s_cselect_b64 s[0:1], -1, 0
	s_or_b64 s[0:1], vcc, s[0:1]
	s_and_b64 exec, exec, s[0:1]
	s_cbranch_execz .LBB157_55
; %bb.54:
	v_add_u32_e32 v20, 0x2000, v8
	ds_read2_b64 v[8:11], v20 offset1:32
	ds_read2_b64 v[12:15], v20 offset0:64 offset1:96
	ds_read2_b64 v[16:19], v20 offset0:128 offset1:160
	;; [unrolled: 1-line block ×3, first 2 shown]
	v_cmp_neq_f64_e32 vcc, 0, v[2:3]
	s_waitcnt lgkmcnt(3)
	v_add_f64 v[8:9], v[8:9], 0
	v_add_f64 v[8:9], v[8:9], v[10:11]
	s_waitcnt lgkmcnt(2)
	v_add_f64 v[8:9], v[8:9], v[12:13]
	v_add_f64 v[8:9], v[8:9], v[14:15]
	;; [unrolled: 3-line block ×4, first 2 shown]
	v_mul_f64 v[10:11], v[4:5], v[8:9]
	v_fmac_f64_e32 v[6:7], v[4:5], v[8:9]
	v_mad_u64_u32 v[4:5], s[0:1], v22, s10, 0
	v_cndmask_b32_e32 v2, v10, v6, vcc
	v_mov_b32_e32 v6, v5
	v_cndmask_b32_e32 v3, v11, v7, vcc
	v_mad_u64_u32 v[6:7], s[0:1], v22, s11, v[6:7]
	v_mov_b32_e32 v5, v6
	v_lshl_add_u64 v[0:1], v[4:5], 3, v[0:1]
	global_store_dwordx2 v[0:1], v[2:3], off
.LBB157_55:
	s_endpgm
.LBB157_56:
	ds_read_b64 v[14:15], v12
	v_add_lshl_u32 v13, v9, v22, 3
	s_waitcnt lgkmcnt(0)
	ds_write_b64 v13, v[14:15]
	s_or_b64 exec, exec, s[0:1]
	v_cmp_lt_u32_e32 vcc, 24, v11
	s_and_saveexec_b64 s[0:1], vcc
	s_cbranch_execz .LBB157_48
.LBB157_57:
	ds_read_b64 v[12:13], v12 offset:64
	s_waitcnt lgkmcnt(0)
	ds_write_b64 v24, v[12:13] offset:6144
	s_or_b64 exec, exec, s[0:1]
	v_cmp_ge_u32_e32 vcc, v22, v23
	s_and_saveexec_b64 s[0:1], vcc
	s_cbranch_execnz .LBB157_49
	s_branch .LBB157_50
	.section	.rodata,"a",@progbits
	.p2align	6, 0x0
	.amdhsa_kernel _ZL58rocblas_symv_kernel_upper_double_buffered_diagonal_genericILi32ELi8E24rocblas_internal_val_ptrIdEPKPKdPKPdEvbiT1_lT2_lllSA_lllS9_lT3_lllii
		.amdhsa_group_segment_fixed_size 12544
		.amdhsa_private_segment_fixed_size 0
		.amdhsa_kernarg_size 400
		.amdhsa_user_sgpr_count 2
		.amdhsa_user_sgpr_dispatch_ptr 0
		.amdhsa_user_sgpr_queue_ptr 0
		.amdhsa_user_sgpr_kernarg_segment_ptr 1
		.amdhsa_user_sgpr_dispatch_id 0
		.amdhsa_user_sgpr_kernarg_preload_length 0
		.amdhsa_user_sgpr_kernarg_preload_offset 0
		.amdhsa_user_sgpr_private_segment_size 0
		.amdhsa_uses_dynamic_stack 0
		.amdhsa_enable_private_segment 0
		.amdhsa_system_sgpr_workgroup_id_x 1
		.amdhsa_system_sgpr_workgroup_id_y 0
		.amdhsa_system_sgpr_workgroup_id_z 1
		.amdhsa_system_sgpr_workgroup_info 0
		.amdhsa_system_vgpr_workitem_id 1
		.amdhsa_next_free_vgpr 32
		.amdhsa_next_free_sgpr 26
		.amdhsa_accum_offset 32
		.amdhsa_reserve_vcc 1
		.amdhsa_float_round_mode_32 0
		.amdhsa_float_round_mode_16_64 0
		.amdhsa_float_denorm_mode_32 3
		.amdhsa_float_denorm_mode_16_64 3
		.amdhsa_dx10_clamp 1
		.amdhsa_ieee_mode 1
		.amdhsa_fp16_overflow 0
		.amdhsa_tg_split 0
		.amdhsa_exception_fp_ieee_invalid_op 0
		.amdhsa_exception_fp_denorm_src 0
		.amdhsa_exception_fp_ieee_div_zero 0
		.amdhsa_exception_fp_ieee_overflow 0
		.amdhsa_exception_fp_ieee_underflow 0
		.amdhsa_exception_fp_ieee_inexact 0
		.amdhsa_exception_int_div_zero 0
	.end_amdhsa_kernel
	.section	.text._ZL58rocblas_symv_kernel_upper_double_buffered_diagonal_genericILi32ELi8E24rocblas_internal_val_ptrIdEPKPKdPKPdEvbiT1_lT2_lllSA_lllS9_lT3_lllii,"axG",@progbits,_ZL58rocblas_symv_kernel_upper_double_buffered_diagonal_genericILi32ELi8E24rocblas_internal_val_ptrIdEPKPKdPKPdEvbiT1_lT2_lllSA_lllS9_lT3_lllii,comdat
.Lfunc_end157:
	.size	_ZL58rocblas_symv_kernel_upper_double_buffered_diagonal_genericILi32ELi8E24rocblas_internal_val_ptrIdEPKPKdPKPdEvbiT1_lT2_lllSA_lllS9_lT3_lllii, .Lfunc_end157-_ZL58rocblas_symv_kernel_upper_double_buffered_diagonal_genericILi32ELi8E24rocblas_internal_val_ptrIdEPKPKdPKPdEvbiT1_lT2_lllSA_lllS9_lT3_lllii
                                        ; -- End function
	.section	.AMDGPU.csdata,"",@progbits
; Kernel info:
; codeLenInByte = 2564
; NumSgprs: 32
; NumVgprs: 32
; NumAgprs: 0
; TotalNumVgprs: 32
; ScratchSize: 0
; MemoryBound: 0
; FloatMode: 240
; IeeeMode: 1
; LDSByteSize: 12544 bytes/workgroup (compile time only)
; SGPRBlocks: 3
; VGPRBlocks: 3
; NumSGPRsForWavesPerEU: 32
; NumVGPRsForWavesPerEU: 32
; AccumOffset: 32
; Occupancy: 5
; WaveLimiterHint : 1
; COMPUTE_PGM_RSRC2:SCRATCH_EN: 0
; COMPUTE_PGM_RSRC2:USER_SGPR: 2
; COMPUTE_PGM_RSRC2:TRAP_HANDLER: 0
; COMPUTE_PGM_RSRC2:TGID_X_EN: 1
; COMPUTE_PGM_RSRC2:TGID_Y_EN: 0
; COMPUTE_PGM_RSRC2:TGID_Z_EN: 1
; COMPUTE_PGM_RSRC2:TIDIG_COMP_CNT: 1
; COMPUTE_PGM_RSRC3_GFX90A:ACCUM_OFFSET: 7
; COMPUTE_PGM_RSRC3_GFX90A:TG_SPLIT: 0
	.section	.text._ZL62rocblas_symv_kernel_upper_double_buffered_non_diagonal_genericILi32ELi8ELi2ELi0E24rocblas_internal_val_ptrIdEPKPKdPKPdEvbiT3_lT4_lllSA_lllT5_lllii,"axG",@progbits,_ZL62rocblas_symv_kernel_upper_double_buffered_non_diagonal_genericILi32ELi8ELi2ELi0E24rocblas_internal_val_ptrIdEPKPKdPKPdEvbiT3_lT4_lllSA_lllT5_lllii,comdat
	.globl	_ZL62rocblas_symv_kernel_upper_double_buffered_non_diagonal_genericILi32ELi8ELi2ELi0E24rocblas_internal_val_ptrIdEPKPKdPKPdEvbiT3_lT4_lllSA_lllT5_lllii ; -- Begin function _ZL62rocblas_symv_kernel_upper_double_buffered_non_diagonal_genericILi32ELi8ELi2ELi0E24rocblas_internal_val_ptrIdEPKPKdPKPdEvbiT3_lT4_lllSA_lllT5_lllii
	.p2align	8
	.type	_ZL62rocblas_symv_kernel_upper_double_buffered_non_diagonal_genericILi32ELi8ELi2ELi0E24rocblas_internal_val_ptrIdEPKPKdPKPdEvbiT3_lT4_lllSA_lllT5_lllii,@function
_ZL62rocblas_symv_kernel_upper_double_buffered_non_diagonal_genericILi32ELi8ELi2ELi0E24rocblas_internal_val_ptrIdEPKPKdPKPdEvbiT3_lT4_lllSA_lllT5_lllii: ; @_ZL62rocblas_symv_kernel_upper_double_buffered_non_diagonal_genericILi32ELi8ELi2ELi0E24rocblas_internal_val_ptrIdEPKPKdPKPdEvbiT3_lT4_lllSA_lllT5_lllii
; %bb.0:
	s_load_dword s5, s[0:1], 0x0
	s_load_dwordx8 s[8:15], s[0:1], 0x8
	s_load_dwordx2 s[16:17], s[0:1], 0x28
	s_waitcnt lgkmcnt(0)
	s_bitcmp1_b32 s5, 0
	s_cselect_b64 s[6:7], -1, 0
	s_and_b64 vcc, exec, s[6:7]
	v_mov_b64_e32 v[12:13], s[8:9]
	s_cbranch_vccnz .LBB158_2
; %bb.1:
	s_mul_i32 s5, s4, s11
	s_mul_hi_u32 s6, s4, s10
	s_add_i32 s7, s6, s5
	s_mul_i32 s6, s4, s10
	s_lshl_b64 s[6:7], s[6:7], 3
	s_add_u32 s6, s8, s6
	s_addc_u32 s7, s9, s7
	v_mov_b64_e32 v[2:3], s[6:7]
	flat_load_dwordx2 v[12:13], v[2:3]
.LBB158_2:
	s_waitcnt vmcnt(0) lgkmcnt(0)
	v_cmp_neq_f64_e32 vcc, 0, v[12:13]
	s_and_saveexec_b64 s[6:7], vcc
	s_cbranch_execz .LBB158_36
; %bb.3:
	s_load_dword s20, s[0:1], 0x84
	s_add_u32 s18, s0, 0x80
	s_addc_u32 s19, s1, 0
	s_mov_b32 s5, 0
	s_cmp_eq_u32 s2, 0
	s_waitcnt lgkmcnt(0)
	v_cvt_f32_u32_e32 v1, s20
	v_rcp_iflag_f32_e32 v1, v1
	s_nop 0
	v_mul_f32_e32 v1, 0x4f7ffffe, v1
	v_cvt_u32_f32_e32 v1, v1
	s_nop 0
	v_readfirstlane_b32 s6, v1
	s_cbranch_scc1 .LBB158_36
; %bb.4:
	s_sub_i32 s7, 0, s20
	s_mul_i32 s7, s7, s6
	s_load_dwordx2 s[22:23], s[0:1], 0x58
	s_load_dwordx4 s[8:11], s[0:1], 0x38
	s_mul_hi_u32 s7, s6, s7
	s_add_i32 s6, s6, s7
	s_lshl_b64 s[24:25], s[4:5], 3
	s_add_u32 s4, s12, s24
	s_addc_u32 s5, s13, s25
	s_mul_hi_u32 s21, s2, s6
	s_waitcnt lgkmcnt(0)
	s_add_u32 s6, s8, s24
	s_addc_u32 s7, s9, s25
	s_add_u32 s8, s22, s24
	s_mul_i32 s12, s21, s20
	s_addc_u32 s9, s23, s25
	s_sub_i32 s12, s2, s12
	s_add_i32 s13, s21, 1
	s_sub_i32 s22, s12, s20
	s_cmp_ge_u32 s12, s20
	s_cselect_b32 s13, s13, s21
	s_cselect_b32 s12, s22, s12
	s_add_i32 s21, s13, 1
	s_cmp_ge_u32 s12, s20
	s_cselect_b32 s31, s21, s13
	s_add_i32 s12, s20, -1
	s_cmp_lg_u32 s3, s12
	s_mov_b32 s28, s31
	s_cbranch_scc1 .LBB158_6
; %bb.5:
	s_mul_i32 s12, s31, s20
	s_sub_i32 s12, s2, s12
	s_add_i32 s28, s12, s31
.LBB158_6:
	s_cmp_eq_u32 s28, 0
	s_cbranch_scc1 .LBB158_36
; %bb.7:
	s_load_dwordx2 s[12:13], s[6:7], 0x0
	s_load_dwordx2 s[22:23], s[4:5], 0x0
	;; [unrolled: 1-line block ×4, first 2 shown]
	s_load_dword s29, s[0:1], 0x78
	s_lshl_b64 s[4:5], s[10:11], 3
	s_waitcnt lgkmcnt(0)
	s_add_u32 s12, s12, s4
	s_addc_u32 s13, s13, s5
	s_lshl_b32 s6, s2, 5
	s_ashr_i32 s7, s6, 31
	s_mul_i32 s4, s6, s21
	s_mul_hi_u32 s5, s6, s20
	s_load_dword s30, s[18:19], 0x0
	s_add_i32 s4, s5, s4
	s_mul_i32 s5, s7, s20
	s_add_i32 s5, s4, s5
	s_mul_i32 s4, s6, s20
	s_lshl_b64 s[4:5], s[4:5], 3
	s_add_u32 s10, s12, s4
	s_addc_u32 s11, s13, s5
	s_waitcnt lgkmcnt(0)
	s_add_i32 s30, s30, -1
	v_and_b32_e32 v44, 0x3ff, v0
	v_bfe_u32 v0, v0, 10, 10
	s_cmp_lg_u32 s2, s30
	v_lshl_add_u32 v4, v0, 5, v44
	s_cselect_b64 s[8:9], -1, 0
	v_and_b32_e32 v14, 15, v44
	v_lshrrev_b32_e32 v5, 4, v4
	v_cmp_eq_u32_e64 s[4:5], 0, v0
	s_mov_b64 s[18:19], -1
	s_and_b64 vcc, exec, s[8:9]
	s_cbranch_vccnz .LBB158_13
; %bb.8:
	s_and_saveexec_b64 s[18:19], s[4:5]
	s_cbranch_execz .LBB158_12
; %bb.9:
	v_cmp_gt_i32_e32 vcc, s29, v44
	v_mov_b64_e32 v[0:1], 0
	s_and_saveexec_b64 s[26:27], vcc
	s_cbranch_execz .LBB158_11
; %bb.10:
	v_mad_u64_u32 v[0:1], s[34:35], v44, s20, 0
	v_mov_b32_e32 v2, v1
	v_mad_u64_u32 v[2:3], s[34:35], v44, s21, v[2:3]
	v_mov_b32_e32 v1, v2
	v_lshl_add_u64 v[0:1], v[0:1], 3, s[10:11]
	global_load_dwordx2 v[0:1], v[0:1], off
.LBB158_11:
	s_or_b64 exec, exec, s[26:27]
	v_lshlrev_b32_e32 v2, 3, v44
	s_waitcnt vmcnt(0)
	ds_write_b64 v2, v[0:1] offset:8192
.LBB158_12:
	s_or_b64 exec, exec, s[18:19]
	s_mov_b32 s18, 0
	v_lshlrev_b32_e32 v0, 3, v14
	s_mov_b32 s19, s18
	v_lshl_or_b32 v2, v5, 8, v0
	v_mov_b64_e32 v[0:1], s[18:19]
	ds_write2_b64 v2, v[0:1], v[0:1] offset1:16
	v_add_u32_e32 v2, 0x1000, v2
	s_mov_b64 s[18:19], 0
	ds_write2_b64 v2, v[0:1], v[0:1] offset1:16
.LBB158_13:
	s_and_b64 vcc, exec, s[18:19]
	s_cbranch_vccz .LBB158_17
; %bb.14:
	s_and_saveexec_b64 s[18:19], s[4:5]
	s_cbranch_execz .LBB158_16
; %bb.15:
	v_mad_u64_u32 v[0:1], s[26:27], v44, s20, 0
	v_mov_b32_e32 v2, v1
	v_mad_u64_u32 v[2:3], s[26:27], v44, s21, v[2:3]
	v_mov_b32_e32 v1, v2
	v_lshl_add_u64 v[0:1], v[0:1], 3, s[10:11]
	global_load_dwordx2 v[0:1], v[0:1], off
	v_lshlrev_b32_e32 v2, 3, v44
	s_waitcnt vmcnt(0)
	ds_write_b64 v2, v[0:1] offset:8192
.LBB158_16:
	s_or_b64 exec, exec, s[18:19]
.LBB158_17:
	s_lshr_b32 s10, s29, 31
	s_add_i32 s10, s29, s10
	s_ashr_i32 s10, s10, 1
	v_cmp_gt_i32_e32 vcc, s10, v5
	s_or_b64 s[18:19], s[8:9], vcc
	s_mov_b32 s8, 0
	s_mul_i32 s3, s3, s31
	s_mov_b32 s9, s8
	s_lshl_b32 s26, s3, 5
	s_mov_b32 s10, s8
	s_mov_b32 s11, s8
	v_mov_b64_e32 v[0:1], s[8:9]
	s_ashr_i32 s27, s26, 31
	v_lshlrev_b32_e32 v6, 1, v5
	v_mov_b32_e32 v15, 0
	v_mov_b64_e32 v[2:3], s[10:11]
	s_waitcnt lgkmcnt(0)
	s_barrier
	s_and_saveexec_b64 s[8:9], s[18:19]
	s_cbranch_execz .LBB158_19
; %bb.18:
	v_mad_u64_u32 v[0:1], s[10:11], v6, s16, v[14:15]
	v_mov_b32_e32 v2, v1
	v_mad_u64_u32 v[2:3], s[10:11], v6, s17, v[2:3]
	s_lshl_b64 s[10:11], s[14:15], 3
	s_add_u32 s3, s22, s10
	s_addc_u32 s31, s23, s11
	s_mul_i32 s10, s6, s17
	s_mul_hi_u32 s11, s6, s16
	s_add_i32 s10, s11, s10
	s_mul_i32 s11, s7, s16
	s_add_i32 s11, s10, s11
	s_mul_i32 s10, s6, s16
	s_lshl_b64 s[10:11], s[10:11], 3
	s_add_u32 s3, s3, s10
	s_addc_u32 s31, s31, s11
	s_lshl_b64 s[10:11], s[26:27], 3
	s_add_u32 s10, s3, s10
	v_mov_b32_e32 v1, v2
	s_addc_u32 s11, s31, s11
	v_lshl_add_u64 v[8:9], v[0:1], 3, s[10:11]
	v_lshl_add_u64 v[10:11], s[16:17], 3, v[8:9]
	global_load_dwordx2 v[0:1], v[8:9], off
	global_load_dwordx2 v[2:3], v[10:11], off
.LBB158_19:
	s_or_b64 exec, exec, s[8:9]
	s_load_dwordx4 s[8:11], s[0:1], 0x60
	v_lshl_or_b32 v15, v5, 5, v14
	s_waitcnt lgkmcnt(0)
	s_lshl_b64 s[0:1], s[8:9], 3
	s_add_u32 s3, s24, s0
	s_addc_u32 s24, s25, s1
	s_cmp_gt_i32 s28, 0
	s_cbranch_scc1 .LBB158_21
; %bb.20:
	v_lshl_or_b32 v5, v5, 5, v14
	v_or_b32_e32 v45, 16, v5
	s_mov_b64 s[8:9], 0
	v_mov_b64_e32 v[28:29], s[8:9]
	v_mov_b64_e32 v[26:27], s[8:9]
	s_cbranch_execz .LBB158_22
	s_branch .LBB158_33
.LBB158_21:
                                        ; implicit-def: $sgpr8_sgpr9
                                        ; implicit-def: $vgpr5
                                        ; implicit-def: $vgpr45
	v_mov_b64_e32 v[28:29], s[8:9]
	v_mov_b64_e32 v[26:27], s[8:9]
.LBB158_22:
	v_mad_u64_u32 v[8:9], s[0:1], v14, s20, 0
	v_mov_b32_e32 v10, v9
	v_mad_u64_u32 v[10:11], s[0:1], v14, s21, v[10:11]
	s_mul_i32 s0, s26, s21
	s_mul_hi_u32 s1, s26, s20
	s_add_i32 s0, s1, s0
	s_mul_i32 s1, s27, s20
	s_add_i32 s1, s0, s1
	s_mul_i32 s0, s26, s20
	s_lshl_b64 s[0:1], s[0:1], 3
	s_add_u32 s0, s12, s0
	v_mov_b32_e32 v9, v10
	s_addc_u32 s1, s13, s1
	v_lshl_add_u64 v[8:9], v[8:9], 3, s[0:1]
	global_load_dwordx2 v[18:19], v[8:9], off
	s_mul_i32 s0, s26, s11
	s_mul_hi_u32 s1, s26, s10
	s_add_i32 s0, s1, s0
	s_mul_i32 s1, s27, s10
	s_add_i32 s1, s0, s1
	s_mul_i32 s0, s26, s10
	v_mad_u64_u32 v[16:17], s[8:9], v44, s10, 0
	s_lshl_b64 s[0:1], s[0:1], 3
	v_mov_b32_e32 v8, v17
	s_add_u32 s34, s3, s0
	v_mad_u64_u32 v[8:9], s[8:9], v44, s11, v[8:9]
	s_addc_u32 s35, s24, s1
	s_lshl_b64 s[0:1], s[20:21], 8
	s_lshl_b64 s[8:9], s[10:11], 8
	;; [unrolled: 1-line block ×4, first 2 shown]
	s_add_u32 s22, s22, s26
	v_mov_b32_e32 v5, 0x2000
	v_mov_b32_e32 v21, 0
	s_addc_u32 s23, s23, s27
	v_lshl_add_u32 v47, v6, 3, v5
	v_and_b32_e32 v4, 0xfff0, v4
	v_mov_b32_e32 v5, v21
	s_add_u32 s14, s22, s14
	v_lshl_add_u64 v[4:5], s[6:7], 3, v[4:5]
	s_addc_u32 s15, s23, s15
	v_mov_b32_e32 v17, v8
	v_lshl_add_u64 v[6:7], v[4:5], 0, 8
	v_mov_b64_e32 v[8:9], s[14:15]
	v_lshlrev_b32_e32 v20, 3, v14
	v_mad_u64_u32 v[22:23], s[14:15], s16, v6, v[8:9]
	v_mad_u64_u32 v[24:25], s[14:15], s16, v4, v[8:9]
	v_mul_lo_u32 v5, s16, v5
	v_mul_lo_u32 v4, s17, v4
	;; [unrolled: 1-line block ×4, first 2 shown]
	v_add3_u32 v25, v4, v25, v5
	v_lshl_add_u64 v[4:5], s[26:27], 0, v[20:21]
	s_mov_b64 s[14:15], 0x80
	v_add3_u32 v23, v6, v23, v7
	v_lshl_add_u64 v[6:7], v[4:5], 0, s[14:15]
	v_mad_u64_u32 v[30:31], s[14:15], s20, v6, 0
	s_mov_b64 s[14:15], 0x100
	s_nop 0
	v_lshl_add_u64 v[4:5], v[4:5], 0, s[14:15]
	v_mul_lo_u32 v8, s21, v6
	v_mul_lo_u32 v7, s20, v7
	;; [unrolled: 1-line block ×4, first 2 shown]
	v_mad_u64_u32 v[32:33], s[16:17], s20, v4, 0
	v_mov_b64_e32 v[26:27], 0
	v_lshlrev_b32_e32 v46, 3, v15
	v_or_b32_e32 v45, 16, v15
	v_lshlrev_b32_e32 v48, 3, v44
	v_add3_u32 v31, v31, v7, v8
	v_add3_u32 v33, v33, v5, v6
	v_mov_b64_e32 v[34:35], s[34:35]
	v_mov_b64_e32 v[28:29], v[26:27]
	;; [unrolled: 1-line block ×4, first 2 shown]
	v_lshl_add_u64 v[4:5], s[12:13], 0, v[30:31]
	global_load_dwordx2 v[40:41], v[4:5], off
	s_and_saveexec_b64 s[16:17], s[18:19]
	s_cbranch_execz .LBB158_24
.LBB158_23:
	v_lshl_add_u64 v[6:7], v[24:25], 0, v[20:21]
	v_lshl_add_u64 v[4:5], v[22:23], 0, v[20:21]
	global_load_dwordx2 v[36:37], v[6:7], off offset:128
	global_load_dwordx2 v[38:39], v[4:5], off offset:128
.LBB158_24:                             ; =>This Inner Loop Header: Depth=1
	s_or_b64 exec, exec, s[16:17]
	ds_read_b128 v[8:11], v47
	s_waitcnt vmcnt(2)
	v_mov_b64_e32 v[6:7], v[2:3]
	s_cmp_eq_u32 s28, 1
	s_waitcnt vmcnt(1)
	v_mov_b64_e32 v[42:43], v[18:19]
	v_mov_b64_e32 v[4:5], v[0:1]
	s_cbranch_scc1 .LBB158_28
; %bb.25:                               ;   in Loop: Header=BB158_24 Depth=1
	v_mov_b64_e32 v[6:7], v[2:3]
	v_mov_b64_e32 v[4:5], v[0:1]
	s_and_saveexec_b64 s[16:17], s[18:19]
	s_cbranch_execz .LBB158_27
; %bb.26:                               ;   in Loop: Header=BB158_24 Depth=1
	v_lshl_add_u64 v[42:43], v[24:25], 0, v[20:21]
	v_lshl_add_u64 v[50:51], v[22:23], 0, v[20:21]
	global_load_dwordx2 v[4:5], v[42:43], off offset:256
	global_load_dwordx2 v[6:7], v[50:51], off offset:256
.LBB158_27:                             ;   in Loop: Header=BB158_24 Depth=1
	s_or_b64 exec, exec, s[16:17]
	v_lshl_add_u64 v[42:43], s[12:13], 0, v[32:33]
	global_load_dwordx2 v[42:43], v[42:43], off
.LBB158_28:                             ;   in Loop: Header=BB158_24 Depth=1
	s_waitcnt lgkmcnt(0)
	v_fma_f64 v[50:51], v[0:1], v[8:9], 0
	v_fma_f64 v[8:9], v[36:37], v[8:9], 0
	v_fmac_f64_e32 v[50:51], v[2:3], v[10:11]
	s_waitcnt vmcnt(0)
	v_fmac_f64_e32 v[8:9], v[38:39], v[10:11]
	s_barrier
	ds_write2_b64 v46, v[50:51], v[8:9] offset1:16
	s_waitcnt lgkmcnt(0)
	s_barrier
	s_and_saveexec_b64 s[16:17], s[4:5]
	s_cbranch_execz .LBB158_30
; %bb.29:                               ;   in Loop: Header=BB158_24 Depth=1
	ds_read2_b64 v[8:11], v48 offset1:32
	ds_read2_b64 v[50:53], v48 offset0:64 offset1:96
	ds_read2_b64 v[54:57], v48 offset0:128 offset1:160
	;; [unrolled: 1-line block ×3, first 2 shown]
	v_add_u32_e32 v49, 0x800, v48
	s_waitcnt lgkmcnt(3)
	v_add_f64 v[8:9], v[8:9], 0
	v_add_f64 v[8:9], v[8:9], v[10:11]
	s_waitcnt lgkmcnt(2)
	v_add_f64 v[8:9], v[8:9], v[50:51]
	v_add_f64 v[8:9], v[8:9], v[52:53]
	s_waitcnt lgkmcnt(1)
	v_add_f64 v[50:51], v[8:9], v[54:55]
	ds_read2_b64 v[8:11], v49 offset1:32
	v_add_f64 v[50:51], v[50:51], v[56:57]
	s_waitcnt lgkmcnt(1)
	v_add_f64 v[50:51], v[50:51], v[58:59]
	v_add_f64 v[54:55], v[50:51], v[60:61]
	ds_read2_b64 v[50:53], v49 offset0:64 offset1:96
	s_waitcnt lgkmcnt(1)
	v_add_f64 v[8:9], v[54:55], v[8:9]
	ds_read2_b64 v[54:57], v49 offset0:128 offset1:160
	v_add_f64 v[58:59], v[8:9], v[10:11]
	ds_read2_b64 v[8:11], v49 offset0:192 offset1:224
	s_waitcnt lgkmcnt(2)
	v_add_f64 v[50:51], v[58:59], v[50:51]
	v_add_f64 v[50:51], v[50:51], v[52:53]
	s_waitcnt lgkmcnt(1)
	v_add_f64 v[50:51], v[50:51], v[54:55]
	v_add_f64 v[50:51], v[50:51], v[56:57]
	;; [unrolled: 3-line block ×3, first 2 shown]
	v_lshl_add_u64 v[10:11], v[16:17], 3, v[34:35]
	v_mul_f64 v[8:9], v[12:13], v[8:9]
	global_atomic_add_f64 v[10:11], v[8:9], off
	v_lshl_add_u64 v[34:35], v[34:35], 0, s[8:9]
.LBB158_30:                             ;   in Loop: Header=BB158_24 Depth=1
	s_or_b64 exec, exec, s[16:17]
	s_add_i32 s28, s28, -1
	s_add_u32 s12, s12, s0
	v_fmac_f64_e32 v[26:27], v[18:19], v[0:1]
	v_fmac_f64_e32 v[28:29], v[18:19], v[2:3]
	s_addc_u32 s13, s13, s1
	v_fmac_f64_e32 v[26:27], v[40:41], v[36:37]
	v_fmac_f64_e32 v[28:29], v[40:41], v[38:39]
	v_lshl_add_u64 v[22:23], v[22:23], 0, s[14:15]
	s_cmp_eq_u32 s28, 0
	v_lshl_add_u64 v[24:25], v[24:25], 0, s[14:15]
	s_cbranch_scc1 .LBB158_32
; %bb.31:                               ;   in Loop: Header=BB158_24 Depth=1
	v_mov_b64_e32 v[0:1], v[4:5]
	v_mov_b64_e32 v[18:19], v[42:43]
	;; [unrolled: 1-line block ×3, first 2 shown]
	v_lshl_add_u64 v[4:5], s[12:13], 0, v[30:31]
	global_load_dwordx2 v[40:41], v[4:5], off
	s_and_saveexec_b64 s[16:17], s[18:19]
	s_cbranch_execnz .LBB158_23
	s_branch .LBB158_24
.LBB158_32:
	v_mov_b32_e32 v5, v15
.LBB158_33:
	s_waitcnt vmcnt(1)
	v_lshlrev_b32_e32 v0, 3, v5
	ds_write_b64 v0, v[26:27] offset:4096
	v_lshlrev_b32_e32 v0, 3, v45
	ds_write_b64 v0, v[28:29] offset:4096
	s_waitcnt lgkmcnt(0)
	s_barrier
	s_and_b64 exec, exec, s[4:5]
	s_cbranch_execz .LBB158_36
; %bb.34:
	s_cmp_lt_u32 s2, s30
	v_cmp_gt_i32_e32 vcc, s29, v44
	s_cselect_b64 s[0:1], -1, 0
	s_or_b64 s[0:1], vcc, s[0:1]
	s_and_b64 exec, exec, s[0:1]
	s_cbranch_execz .LBB158_36
; %bb.35:
	v_lshlrev_b32_e32 v15, 4, v44
	v_add_u32_e32 v1, 1, v44
	v_and_or_b32 v1, v1, 15, v15
	s_waitcnt vmcnt(0)
	v_lshlrev_b32_e32 v2, 3, v1
	v_add_u32_e32 v1, 2, v44
	v_or_b32_e32 v14, v14, v15
	v_and_or_b32 v1, v1, 15, v15
	v_lshlrev_b32_e32 v0, 3, v14
	v_lshlrev_b32_e32 v4, 3, v1
	v_add_u32_e32 v1, 3, v44
	v_and_or_b32 v6, v1, 15, v15
	ds_read_b64 v[0:1], v0 offset:4096
	ds_read_b64 v[2:3], v2 offset:4096
	;; [unrolled: 1-line block ×3, first 2 shown]
	v_lshlrev_b32_e32 v6, 3, v6
	ds_read_b64 v[6:7], v6 offset:4096
	s_waitcnt lgkmcnt(3)
	v_add_f64 v[0:1], v[0:1], 0
	s_waitcnt lgkmcnt(2)
	v_add_f64 v[0:1], v[0:1], v[2:3]
	v_add_u32_e32 v3, 5, v44
	v_and_or_b32 v3, v3, 15, v15
	s_waitcnt lgkmcnt(1)
	v_add_f64 v[0:1], v[0:1], v[4:5]
	v_lshlrev_b32_e32 v4, 3, v3
	v_add_u32_e32 v3, 6, v44
	v_and_or_b32 v3, v3, 15, v15
	v_add_u32_e32 v2, 4, v44
	v_lshlrev_b32_e32 v8, 3, v3
	v_add_u32_e32 v3, 7, v44
	v_and_or_b32 v2, v2, 15, v15
	v_and_or_b32 v3, v3, 15, v15
	v_lshlrev_b32_e32 v2, 3, v2
	v_lshlrev_b32_e32 v10, 3, v3
	ds_read_b64 v[2:3], v2 offset:4096
	ds_read_b64 v[4:5], v4 offset:4096
	;; [unrolled: 1-line block ×4, first 2 shown]
	s_waitcnt lgkmcnt(4)
	v_add_f64 v[0:1], v[0:1], v[6:7]
	s_waitcnt lgkmcnt(3)
	v_add_f64 v[0:1], v[0:1], v[2:3]
	v_add_u32_e32 v3, 9, v44
	v_and_or_b32 v3, v3, 15, v15
	s_waitcnt lgkmcnt(2)
	v_add_f64 v[0:1], v[0:1], v[4:5]
	v_lshlrev_b32_e32 v4, 3, v3
	v_add_u32_e32 v3, 10, v44
	v_xor_b32_e32 v2, 8, v14
	v_and_or_b32 v3, v3, 15, v15
	v_lshlrev_b32_e32 v2, 3, v2
	v_lshlrev_b32_e32 v6, 3, v3
	v_add_u32_e32 v3, 11, v44
	s_waitcnt lgkmcnt(1)
	v_add_f64 v[0:1], v[0:1], v[8:9]
	v_and_or_b32 v8, v3, 15, v15
	ds_read_b64 v[2:3], v2 offset:4096
	ds_read_b64 v[4:5], v4 offset:4096
	;; [unrolled: 1-line block ×3, first 2 shown]
	s_waitcnt lgkmcnt(3)
	v_add_f64 v[0:1], v[0:1], v[10:11]
	v_lshlrev_b32_e32 v8, 3, v8
	s_waitcnt lgkmcnt(2)
	v_add_f64 v[0:1], v[0:1], v[2:3]
	v_add_u32_e32 v3, 13, v44
	v_and_or_b32 v3, v3, 15, v15
	s_waitcnt lgkmcnt(1)
	v_add_f64 v[0:1], v[0:1], v[4:5]
	v_lshlrev_b32_e32 v4, 3, v3
	v_add_u32_e32 v3, 14, v44
	ds_read_b64 v[8:9], v8 offset:4096
	v_and_or_b32 v3, v3, 15, v15
	s_waitcnt lgkmcnt(1)
	v_add_f64 v[0:1], v[0:1], v[6:7]
	v_add_u32_e32 v2, 12, v44
	v_lshlrev_b32_e32 v6, 3, v3
	v_add_u32_e32 v3, -1, v44
	s_mul_i32 s0, s6, s11
	s_mul_hi_u32 s1, s6, s10
	v_and_or_b32 v2, v2, 15, v15
	v_and_or_b32 v3, v3, 15, v15
	s_add_i32 s0, s1, s0
	s_mul_i32 s1, s7, s10
	v_lshlrev_b32_e32 v2, 3, v2
	v_lshlrev_b32_e32 v10, 3, v3
	s_add_i32 s1, s0, s1
	s_mul_i32 s0, s6, s10
	ds_read_b64 v[2:3], v2 offset:4096
	ds_read_b64 v[4:5], v4 offset:4096
	;; [unrolled: 1-line block ×4, first 2 shown]
	s_lshl_b64 s[0:1], s[0:1], 3
	s_waitcnt lgkmcnt(4)
	v_add_f64 v[0:1], v[0:1], v[8:9]
	s_add_u32 s0, s3, s0
	s_waitcnt lgkmcnt(3)
	v_add_f64 v[0:1], v[0:1], v[2:3]
	v_mad_u64_u32 v[2:3], s[2:3], v44, s10, 0
	s_waitcnt lgkmcnt(2)
	v_add_f64 v[0:1], v[0:1], v[4:5]
	v_mov_b32_e32 v4, v3
	s_waitcnt lgkmcnt(1)
	v_add_f64 v[0:1], v[0:1], v[6:7]
	v_mad_u64_u32 v[4:5], s[2:3], v44, s11, v[4:5]
	s_addc_u32 s1, s24, s1
	s_waitcnt lgkmcnt(0)
	v_add_f64 v[0:1], v[0:1], v[10:11]
	v_mov_b32_e32 v3, v4
	v_lshl_add_u64 v[2:3], v[2:3], 3, s[0:1]
	v_mul_f64 v[0:1], v[12:13], v[0:1]
	global_atomic_add_f64 v[2:3], v[0:1], off
.LBB158_36:
	s_endpgm
	.section	.rodata,"a",@progbits
	.p2align	6, 0x0
	.amdhsa_kernel _ZL62rocblas_symv_kernel_upper_double_buffered_non_diagonal_genericILi32ELi8ELi2ELi0E24rocblas_internal_val_ptrIdEPKPKdPKPdEvbiT3_lT4_lllSA_lllT5_lllii
		.amdhsa_group_segment_fixed_size 8448
		.amdhsa_private_segment_fixed_size 0
		.amdhsa_kernarg_size 384
		.amdhsa_user_sgpr_count 2
		.amdhsa_user_sgpr_dispatch_ptr 0
		.amdhsa_user_sgpr_queue_ptr 0
		.amdhsa_user_sgpr_kernarg_segment_ptr 1
		.amdhsa_user_sgpr_dispatch_id 0
		.amdhsa_user_sgpr_kernarg_preload_length 0
		.amdhsa_user_sgpr_kernarg_preload_offset 0
		.amdhsa_user_sgpr_private_segment_size 0
		.amdhsa_uses_dynamic_stack 0
		.amdhsa_enable_private_segment 0
		.amdhsa_system_sgpr_workgroup_id_x 1
		.amdhsa_system_sgpr_workgroup_id_y 1
		.amdhsa_system_sgpr_workgroup_id_z 1
		.amdhsa_system_sgpr_workgroup_info 0
		.amdhsa_system_vgpr_workitem_id 1
		.amdhsa_next_free_vgpr 62
		.amdhsa_next_free_sgpr 36
		.amdhsa_accum_offset 64
		.amdhsa_reserve_vcc 1
		.amdhsa_float_round_mode_32 0
		.amdhsa_float_round_mode_16_64 0
		.amdhsa_float_denorm_mode_32 3
		.amdhsa_float_denorm_mode_16_64 3
		.amdhsa_dx10_clamp 1
		.amdhsa_ieee_mode 1
		.amdhsa_fp16_overflow 0
		.amdhsa_tg_split 0
		.amdhsa_exception_fp_ieee_invalid_op 0
		.amdhsa_exception_fp_denorm_src 0
		.amdhsa_exception_fp_ieee_div_zero 0
		.amdhsa_exception_fp_ieee_overflow 0
		.amdhsa_exception_fp_ieee_underflow 0
		.amdhsa_exception_fp_ieee_inexact 0
		.amdhsa_exception_int_div_zero 0
	.end_amdhsa_kernel
	.section	.text._ZL62rocblas_symv_kernel_upper_double_buffered_non_diagonal_genericILi32ELi8ELi2ELi0E24rocblas_internal_val_ptrIdEPKPKdPKPdEvbiT3_lT4_lllSA_lllT5_lllii,"axG",@progbits,_ZL62rocblas_symv_kernel_upper_double_buffered_non_diagonal_genericILi32ELi8ELi2ELi0E24rocblas_internal_val_ptrIdEPKPKdPKPdEvbiT3_lT4_lllSA_lllT5_lllii,comdat
.Lfunc_end158:
	.size	_ZL62rocblas_symv_kernel_upper_double_buffered_non_diagonal_genericILi32ELi8ELi2ELi0E24rocblas_internal_val_ptrIdEPKPKdPKPdEvbiT3_lT4_lllSA_lllT5_lllii, .Lfunc_end158-_ZL62rocblas_symv_kernel_upper_double_buffered_non_diagonal_genericILi32ELi8ELi2ELi0E24rocblas_internal_val_ptrIdEPKPKdPKPdEvbiT3_lT4_lllSA_lllT5_lllii
                                        ; -- End function
	.section	.AMDGPU.csdata,"",@progbits
; Kernel info:
; codeLenInByte = 2728
; NumSgprs: 42
; NumVgprs: 62
; NumAgprs: 0
; TotalNumVgprs: 62
; ScratchSize: 0
; MemoryBound: 0
; FloatMode: 240
; IeeeMode: 1
; LDSByteSize: 8448 bytes/workgroup (compile time only)
; SGPRBlocks: 5
; VGPRBlocks: 7
; NumSGPRsForWavesPerEU: 42
; NumVGPRsForWavesPerEU: 62
; AccumOffset: 64
; Occupancy: 7
; WaveLimiterHint : 1
; COMPUTE_PGM_RSRC2:SCRATCH_EN: 0
; COMPUTE_PGM_RSRC2:USER_SGPR: 2
; COMPUTE_PGM_RSRC2:TRAP_HANDLER: 0
; COMPUTE_PGM_RSRC2:TGID_X_EN: 1
; COMPUTE_PGM_RSRC2:TGID_Y_EN: 1
; COMPUTE_PGM_RSRC2:TGID_Z_EN: 1
; COMPUTE_PGM_RSRC2:TIDIG_COMP_CNT: 1
; COMPUTE_PGM_RSRC3_GFX90A:ACCUM_OFFSET: 15
; COMPUTE_PGM_RSRC3_GFX90A:TG_SPLIT: 0
	.section	.text._ZL62rocblas_symv_kernel_upper_double_buffered_non_diagonal_genericILi32ELi8ELi2ELi1E24rocblas_internal_val_ptrIdEPKPKdPKPdEvbiT3_lT4_lllSA_lllT5_lllii,"axG",@progbits,_ZL62rocblas_symv_kernel_upper_double_buffered_non_diagonal_genericILi32ELi8ELi2ELi1E24rocblas_internal_val_ptrIdEPKPKdPKPdEvbiT3_lT4_lllSA_lllT5_lllii,comdat
	.globl	_ZL62rocblas_symv_kernel_upper_double_buffered_non_diagonal_genericILi32ELi8ELi2ELi1E24rocblas_internal_val_ptrIdEPKPKdPKPdEvbiT3_lT4_lllSA_lllT5_lllii ; -- Begin function _ZL62rocblas_symv_kernel_upper_double_buffered_non_diagonal_genericILi32ELi8ELi2ELi1E24rocblas_internal_val_ptrIdEPKPKdPKPdEvbiT3_lT4_lllSA_lllT5_lllii
	.p2align	8
	.type	_ZL62rocblas_symv_kernel_upper_double_buffered_non_diagonal_genericILi32ELi8ELi2ELi1E24rocblas_internal_val_ptrIdEPKPKdPKPdEvbiT3_lT4_lllSA_lllT5_lllii,@function
_ZL62rocblas_symv_kernel_upper_double_buffered_non_diagonal_genericILi32ELi8ELi2ELi1E24rocblas_internal_val_ptrIdEPKPKdPKPdEvbiT3_lT4_lllSA_lllT5_lllii: ; @_ZL62rocblas_symv_kernel_upper_double_buffered_non_diagonal_genericILi32ELi8ELi2ELi1E24rocblas_internal_val_ptrIdEPKPKdPKPdEvbiT3_lT4_lllSA_lllT5_lllii
; %bb.0:
	s_load_dword s5, s[0:1], 0x0
	s_load_dwordx8 s[8:15], s[0:1], 0x8
	s_load_dwordx2 s[18:19], s[0:1], 0x28
	s_waitcnt lgkmcnt(0)
	s_bitcmp1_b32 s5, 0
	s_cselect_b64 s[6:7], -1, 0
	s_and_b64 vcc, exec, s[6:7]
	v_mov_b64_e32 v[12:13], s[8:9]
	s_cbranch_vccnz .LBB159_2
; %bb.1:
	s_mul_i32 s5, s4, s11
	s_mul_hi_u32 s6, s4, s10
	s_add_i32 s7, s6, s5
	s_mul_i32 s6, s4, s10
	s_lshl_b64 s[6:7], s[6:7], 3
	s_add_u32 s6, s8, s6
	s_addc_u32 s7, s9, s7
	v_mov_b64_e32 v[2:3], s[6:7]
	flat_load_dwordx2 v[12:13], v[2:3]
.LBB159_2:
	s_waitcnt vmcnt(0) lgkmcnt(0)
	v_cmp_neq_f64_e32 vcc, 0, v[12:13]
	s_and_saveexec_b64 s[6:7], vcc
	s_cbranch_execz .LBB159_60
; %bb.3:
	s_load_dword s16, s[0:1], 0x84
	s_add_u32 s6, s0, 0x80
	s_addc_u32 s7, s1, 0
	s_mov_b32 s5, 0
	s_cmp_eq_u32 s2, 0
	s_waitcnt lgkmcnt(0)
	v_cvt_f32_u32_e32 v1, s16
	v_rcp_iflag_f32_e32 v1, v1
	s_nop 0
	v_mul_f32_e32 v1, 0x4f7ffffe, v1
	v_cvt_u32_f32_e32 v1, v1
	s_nop 0
	v_readfirstlane_b32 s8, v1
	s_cbranch_scc1 .LBB159_60
; %bb.4:
	s_sub_i32 s9, 0, s16
	s_mul_i32 s9, s9, s8
	s_mul_hi_u32 s9, s8, s9
	s_add_i32 s17, s8, s9
	s_load_dwordx2 s[20:21], s[0:1], 0x58
	s_load_dwordx4 s[8:11], s[0:1], 0x38
	s_lshl_b64 s[22:23], s[4:5], 3
	s_add_u32 s4, s12, s22
	s_addc_u32 s5, s13, s23
	s_mul_hi_u32 s17, s2, s17
	s_waitcnt lgkmcnt(0)
	s_add_u32 s8, s8, s22
	s_addc_u32 s9, s9, s23
	s_add_u32 s12, s20, s22
	s_mul_i32 s20, s17, s16
	s_addc_u32 s13, s21, s23
	s_sub_i32 s20, s2, s20
	s_add_i32 s21, s17, 1
	s_sub_i32 s22, s20, s16
	s_cmp_ge_u32 s20, s16
	s_cselect_b32 s17, s21, s17
	s_cselect_b32 s20, s22, s20
	s_add_i32 s21, s17, 1
	s_cmp_ge_u32 s20, s16
	s_cselect_b32 s28, s21, s17
	s_add_i32 s17, s16, -1
	s_cmp_lg_u32 s3, s17
	s_mov_b32 s33, s28
	s_cbranch_scc1 .LBB159_6
; %bb.5:
	s_mul_i32 s16, s28, s16
	s_sub_i32 s16, s2, s16
	s_add_i32 s33, s16, s28
.LBB159_6:
	s_cmp_eq_u32 s33, 0
	s_cbranch_scc1 .LBB159_60
; %bb.7:
	s_load_dwordx2 s[16:17], s[8:9], 0x0
	s_load_dwordx2 s[20:21], s[0:1], 0x48
	;; [unrolled: 1-line block ×4, first 2 shown]
	s_lshl_b64 s[4:5], s[10:11], 3
	s_waitcnt lgkmcnt(0)
	s_add_u32 s16, s16, s4
	s_addc_u32 s17, s17, s5
	s_lshl_b32 s10, s2, 5
	s_ashr_i32 s11, s10, 31
	s_mul_i32 s4, s10, s21
	s_mul_hi_u32 s5, s10, s20
	s_load_dword s34, s[6:7], 0x0
	s_add_i32 s4, s5, s4
	s_mul_i32 s5, s11, s20
	s_add_i32 s5, s4, s5
	s_mul_i32 s4, s10, s20
	s_lshl_b64 s[4:5], s[4:5], 3
	s_add_u32 s8, s16, s4
	s_addc_u32 s9, s17, s5
	s_waitcnt lgkmcnt(0)
	s_add_i32 s34, s34, -1
	s_cmp_lg_u32 s2, s34
	v_and_b32_e32 v44, 0x3ff, v0
	v_bfe_u32 v0, v0, 10, 10
	s_cselect_b64 s[6:7], -1, 0
	v_lshl_add_u32 v6, v0, 5, v44
	v_cmp_eq_u32_e64 s[4:5], 0, v0
	s_mov_b64 s[12:13], -1
	s_and_b64 vcc, exec, s[6:7]
	s_cbranch_vccz .LBB159_11
; %bb.8:
	s_and_saveexec_b64 s[12:13], s[4:5]
	s_cbranch_execz .LBB159_10
; %bb.9:
	v_mad_u64_u32 v[0:1], s[26:27], v44, s20, 0
	v_mov_b32_e32 v2, v1
	v_mad_u64_u32 v[2:3], s[26:27], v44, s21, v[2:3]
	v_mov_b32_e32 v1, v2
	v_lshl_add_u64 v[0:1], v[0:1], 3, s[8:9]
	global_load_dwordx2 v[0:1], v[0:1], off
	v_lshlrev_b32_e32 v2, 3, v44
	s_waitcnt vmcnt(0)
	ds_write_b64 v2, v[0:1] offset:8192
.LBB159_10:
	s_or_b64 exec, exec, s[12:13]
	s_mov_b64 s[12:13], 0
.LBB159_11:
	s_load_dword s35, s[0:1], 0x78
	v_and_b32_e32 v14, 15, v44
	s_andn2_b64 vcc, exec, s[12:13]
	v_lshrrev_b32_e32 v7, 4, v6
	s_cbranch_vccnz .LBB159_17
; %bb.12:
	s_and_saveexec_b64 s[12:13], s[4:5]
	s_cbranch_execz .LBB159_16
; %bb.13:
	s_waitcnt lgkmcnt(0)
	v_cmp_gt_i32_e32 vcc, s35, v44
	v_mov_b64_e32 v[0:1], 0
	s_and_saveexec_b64 s[26:27], vcc
	s_cbranch_execz .LBB159_15
; %bb.14:
	v_mad_u64_u32 v[0:1], s[30:31], v44, s20, 0
	v_mov_b32_e32 v2, v1
	v_mad_u64_u32 v[2:3], s[30:31], v44, s21, v[2:3]
	v_mov_b32_e32 v1, v2
	v_lshl_add_u64 v[0:1], v[0:1], 3, s[8:9]
	global_load_dwordx2 v[0:1], v[0:1], off
.LBB159_15:
	s_or_b64 exec, exec, s[26:27]
	v_lshlrev_b32_e32 v2, 3, v44
	s_waitcnt vmcnt(0)
	ds_write_b64 v2, v[0:1] offset:8192
.LBB159_16:
	s_or_b64 exec, exec, s[12:13]
	s_mov_b32 s8, 0
	v_lshlrev_b32_e32 v0, 3, v14
	s_mov_b32 s9, s8
	v_lshl_or_b32 v2, v7, 8, v0
	v_mov_b64_e32 v[0:1], s[8:9]
	ds_write2_b64 v2, v[0:1], v[0:1] offset1:16
	v_add_u32_e32 v2, 0x1000, v2
	ds_write2_b64 v2, v[0:1], v[0:1] offset1:16
.LBB159_17:
	s_waitcnt lgkmcnt(0)
	s_lshr_b32 s8, s35, 31
	s_add_i32 s8, s35, s8
	s_ashr_i32 s37, s8, 1
	s_lshl_b64 s[26:27], s[14:15], 3
	s_add_u32 s12, s22, s26
	s_mul_i32 s8, s10, s19
	s_mul_hi_u32 s9, s10, s18
	s_addc_u32 s13, s23, s27
	s_add_i32 s8, s9, s8
	s_mul_i32 s9, s11, s18
	s_add_i32 s9, s8, s9
	s_mul_i32 s8, s10, s18
	s_lshl_b64 s[8:9], s[8:9], 3
	s_add_u32 s8, s12, s8
	s_mul_i32 s3, s3, s28
	s_addc_u32 s9, s13, s9
	s_lshl_b32 s30, s3, 5
	s_ashr_i32 s31, s30, 31
	s_lshl_b64 s[28:29], s[30:31], 3
	s_add_u32 s12, s8, s28
	v_lshlrev_b32_e32 v8, 1, v7
	v_mov_b32_e32 v15, 0
	s_addc_u32 s13, s9, s29
	v_mad_u64_u32 v[4:5], s[8:9], v8, s18, v[14:15]
	v_mov_b32_e32 v0, v5
	v_mad_u64_u32 v[0:1], s[8:9], v8, s19, v[0:1]
	v_cndmask_b32_e64 v1, 0, 1, s[6:7]
	v_cmp_ne_u32_e64 s[8:9], 1, v1
	s_andn2_b64 vcc, exec, s[6:7]
	v_mov_b32_e32 v5, v0
	s_barrier
	s_cbranch_vccnz .LBB159_19
; %bb.18:
	v_lshl_add_u64 v[10:11], v[4:5], 3, s[12:13]
	v_lshl_add_u64 v[16:17], s[18:19], 3, v[10:11]
	global_load_dwordx2 v[0:1], v[10:11], off
	global_load_dwordx2 v[2:3], v[16:17], off
	v_cmp_le_i32_e64 s[6:7], s37, v7
	s_cbranch_execz .LBB159_20
	s_branch .LBB159_27
.LBB159_19:
                                        ; implicit-def: $vgpr0_vgpr1_vgpr2_vgpr3
	v_cmp_le_i32_e64 s[6:7], s37, v7
.LBB159_20:
                                        ; implicit-def: $vgpr0_vgpr1_vgpr2_vgpr3
	s_and_saveexec_b64 s[14:15], s[6:7]
	s_xor_b64 s[6:7], exec, s[14:15]
	s_cbranch_execz .LBB159_24
; %bb.21:
	s_mov_b32 s40, 0
	s_mov_b32 s41, s40
	;; [unrolled: 1-line block ×4, first 2 shown]
	s_waitcnt vmcnt(0)
	v_mov_b64_e32 v[0:1], s[40:41]
	v_cmp_eq_u32_e32 vcc, s37, v7
	v_mov_b64_e32 v[2:3], s[42:43]
	s_and_saveexec_b64 s[14:15], vcc
	s_cbranch_execz .LBB159_23
; %bb.22:
	v_lshl_add_u64 v[0:1], v[4:5], 3, s[12:13]
	global_load_dwordx2 v[0:1], v[0:1], off
	v_mov_b32_e32 v2, 0
	v_mov_b32_e32 v3, v2
.LBB159_23:
	s_or_b64 exec, exec, s[14:15]
                                        ; implicit-def: $vgpr4_vgpr5
.LBB159_24:
	s_andn2_saveexec_b64 s[6:7], s[6:7]
	s_cbranch_execz .LBB159_26
; %bb.25:
	v_lshl_add_u64 v[4:5], v[4:5], 3, s[12:13]
	v_lshl_add_u64 v[10:11], s[18:19], 3, v[4:5]
	global_load_dwordx2 v[0:1], v[4:5], off
	global_load_dwordx2 v[2:3], v[10:11], off
.LBB159_26:
	s_or_b64 exec, exec, s[6:7]
.LBB159_27:
	s_load_dwordx4 s[12:15], s[0:1], 0x60
	v_lshl_or_b32 v15, v7, 5, v14
	s_waitcnt lgkmcnt(0)
	s_lshl_b64 s[0:1], s[12:13], 3
	s_add_u32 s3, s24, s0
	s_addc_u32 s36, s25, s1
	s_cmp_gt_i32 s33, 0
	s_cbranch_scc1 .LBB159_29
; %bb.28:
	v_lshl_or_b32 v4, v7, 5, v14
	v_or_b32_e32 v45, 16, v4
	s_mov_b64 s[6:7], 0
	v_mov_b64_e32 v[28:29], s[6:7]
	v_mov_b64_e32 v[26:27], s[6:7]
	s_cbranch_execz .LBB159_30
	s_branch .LBB159_57
.LBB159_29:
                                        ; implicit-def: $sgpr6_sgpr7
                                        ; implicit-def: $vgpr4
                                        ; implicit-def: $vgpr45
	v_mov_b64_e32 v[28:29], s[6:7]
	v_mov_b64_e32 v[26:27], s[6:7]
.LBB159_30:
	v_mad_u64_u32 v[4:5], s[0:1], v14, s20, 0
	v_mov_b32_e32 v10, v5
	v_mad_u64_u32 v[10:11], s[0:1], v14, s21, v[10:11]
	s_mul_i32 s0, s30, s21
	s_mul_hi_u32 s1, s30, s20
	s_add_i32 s0, s1, s0
	s_mul_i32 s1, s31, s20
	s_add_i32 s1, s0, s1
	s_mul_i32 s0, s30, s20
	s_lshl_b64 s[0:1], s[0:1], 3
	s_add_u32 s0, s16, s0
	v_mov_b32_e32 v5, v10
	s_addc_u32 s1, s17, s1
	v_lshl_add_u64 v[4:5], v[4:5], 3, s[0:1]
	global_load_dwordx2 v[18:19], v[4:5], off
	s_mul_i32 s0, s30, s15
	s_mul_hi_u32 s1, s30, s14
	s_add_i32 s0, s1, s0
	s_mul_i32 s1, s31, s14
	s_add_i32 s1, s0, s1
	s_mul_i32 s0, s30, s14
	v_mad_u64_u32 v[16:17], s[24:25], v44, s14, 0
	s_lshl_b64 s[0:1], s[0:1], 3
	v_mov_b32_e32 v4, v17
	s_add_u32 s30, s3, s0
	v_mad_u64_u32 v[4:5], s[24:25], v44, s15, v[4:5]
	s_addc_u32 s31, s36, s1
	s_lshl_b64 s[12:13], s[20:21], 8
	s_lshl_b64 s[24:25], s[14:15], 8
	s_add_u32 s22, s22, s28
	s_addc_u32 s23, s23, s29
	v_mov_b32_e32 v17, v4
	v_mov_b32_e32 v4, 0x2000
	;; [unrolled: 1-line block ×3, first 2 shown]
	s_add_u32 s22, s22, s26
	v_lshl_add_u32 v47, v8, 3, v4
	v_and_b32_e32 v4, 0xfff0, v6
	v_mov_b32_e32 v5, v21
	s_addc_u32 s23, s23, s27
	v_cmp_le_i32_e64 s[0:1], s37, v7
	v_cmp_eq_u32_e64 s[6:7], s37, v7
	v_lshl_add_u64 v[4:5], s[10:11], 3, v[4:5]
	v_mov_b64_e32 v[6:7], s[22:23]
	v_mad_u64_u32 v[22:23], s[22:23], s18, v4, v[6:7]
	v_mul_lo_u32 v8, s18, v5
	v_mul_lo_u32 v9, s19, v4
	v_lshl_add_u64 v[4:5], v[4:5], 0, 8
	v_lshlrev_b32_e32 v20, 3, v14
	v_mad_u64_u32 v[24:25], s[22:23], s18, v4, v[6:7]
	v_mul_lo_u32 v5, s18, v5
	v_mul_lo_u32 v4, s19, v4
	v_add3_u32 v25, v4, v25, v5
	v_lshl_add_u64 v[4:5], s[28:29], 0, v[20:21]
	s_mov_b64 s[18:19], 0x80
	v_lshl_add_u64 v[6:7], v[4:5], 0, s[18:19]
	v_mad_u64_u32 v[30:31], s[18:19], s20, v6, 0
	s_mov_b64 s[18:19], 0x100
	s_nop 0
	v_lshl_add_u64 v[4:5], v[4:5], 0, s[18:19]
	v_add3_u32 v23, v9, v23, v8
	v_mul_lo_u32 v8, s21, v6
	v_mul_lo_u32 v7, s20, v7
	;; [unrolled: 1-line block ×4, first 2 shown]
	v_mad_u64_u32 v[32:33], s[20:21], s20, v4, 0
	v_mov_b64_e32 v[26:27], 0
	v_lshlrev_b32_e32 v46, 3, v15
	v_or_b32_e32 v45, 16, v15
	v_lshlrev_b32_e32 v48, 3, v44
	v_add3_u32 v31, v31, v7, v8
	v_add3_u32 v33, v33, v5, v6
	v_mov_b64_e32 v[34:35], s[30:31]
	v_mov_b64_e32 v[28:29], v[26:27]
	v_mov_b64_e32 v[4:5], v[26:27]
	v_mov_b64_e32 v[6:7], v[26:27]
	v_lshl_add_u64 v[8:9], s[16:17], 0, v[30:31]
	global_load_dwordx2 v[36:37], v[8:9], off
	s_and_b64 vcc, exec, s[8:9]
	s_cbranch_vccnz .LBB159_32
.LBB159_31:
	v_lshl_add_u64 v[8:9], v[22:23], 0, v[20:21]
	global_load_dwordx2 v[38:39], v[8:9], off offset:128
	v_lshl_add_u64 v[8:9], v[24:25], 0, v[20:21]
	global_load_dwordx2 v[40:41], v[8:9], off offset:128
	s_cbranch_execz .LBB159_33
	s_branch .LBB159_40
.LBB159_32:
                                        ; implicit-def: $vgpr40_vgpr41
                                        ; implicit-def: $vgpr38_vgpr39
.LBB159_33:
	s_and_saveexec_b64 s[20:21], s[0:1]
	s_xor_b64 s[20:21], exec, s[20:21]
	s_cbranch_execz .LBB159_37
; %bb.34:
	s_and_saveexec_b64 s[22:23], s[6:7]
	s_cbranch_execz .LBB159_36
; %bb.35:
	v_lshl_add_u64 v[4:5], v[22:23], 0, v[20:21]
	global_load_dwordx2 v[4:5], v[4:5], off offset:128
.LBB159_36:
	s_or_b64 exec, exec, s[22:23]
.LBB159_37:
	s_andn2_saveexec_b64 s[20:21], s[20:21]
	s_cbranch_execz .LBB159_39
; %bb.38:
	s_waitcnt vmcnt(0)
	v_lshl_add_u64 v[4:5], v[22:23], 0, v[20:21]
	v_lshl_add_u64 v[6:7], v[24:25], 0, v[20:21]
	global_load_dwordx2 v[4:5], v[4:5], off offset:128
	s_nop 0
	global_load_dwordx2 v[6:7], v[6:7], off offset:128
.LBB159_39:
	s_or_b64 exec, exec, s[20:21]
	s_waitcnt vmcnt(0)
	v_mov_b64_e32 v[38:39], v[4:5]
	v_mov_b64_e32 v[40:41], v[6:7]
.LBB159_40:
	ds_read_b128 v[8:11], v47
	s_waitcnt vmcnt(2)
	v_mov_b64_e32 v[6:7], v[2:3]
	s_cmp_eq_u32 s33, 1
	s_waitcnt vmcnt(1)
	v_mov_b64_e32 v[42:43], v[18:19]
	v_mov_b64_e32 v[4:5], v[0:1]
	s_cbranch_scc1 .LBB159_52
; %bb.41:
	s_and_b64 vcc, exec, s[8:9]
	s_cbranch_vccnz .LBB159_43
; %bb.42:
	v_lshl_add_u64 v[4:5], v[22:23], 0, v[20:21]
	v_lshl_add_u64 v[6:7], v[24:25], 0, v[20:21]
	global_load_dwordx2 v[4:5], v[4:5], off offset:256
	s_nop 0
	global_load_dwordx2 v[6:7], v[6:7], off offset:256
	s_cbranch_execz .LBB159_44
	s_branch .LBB159_51
.LBB159_43:
                                        ; implicit-def: $vgpr4_vgpr5_vgpr6_vgpr7
.LBB159_44:
                                        ; implicit-def: $vgpr4_vgpr5_vgpr6_vgpr7
	s_and_saveexec_b64 s[20:21], s[0:1]
	s_xor_b64 s[20:21], exec, s[20:21]
	s_cbranch_execz .LBB159_48
; %bb.45:
	s_waitcnt vmcnt(0)
	v_mov_b64_e32 v[6:7], v[2:3]
	v_mov_b64_e32 v[4:5], v[0:1]
	s_and_saveexec_b64 s[22:23], s[6:7]
	s_cbranch_execz .LBB159_47
; %bb.46:
	v_lshl_add_u64 v[4:5], v[22:23], 0, v[20:21]
	global_load_dwordx2 v[42:43], v[4:5], off offset:256
	v_mov_b64_e32 v[6:7], v[2:3]
	v_mov_b64_e32 v[4:5], v[0:1]
	s_waitcnt vmcnt(0)
	v_mov_b32_e32 v4, v42
	v_mov_b32_e32 v5, v43
.LBB159_47:
	s_or_b64 exec, exec, s[22:23]
.LBB159_48:
	s_andn2_saveexec_b64 s[20:21], s[20:21]
	s_cbranch_execz .LBB159_50
; %bb.49:
	s_waitcnt vmcnt(1)
	v_lshl_add_u64 v[4:5], v[22:23], 0, v[20:21]
	s_waitcnt vmcnt(0)
	v_lshl_add_u64 v[6:7], v[24:25], 0, v[20:21]
	global_load_dwordx2 v[4:5], v[4:5], off offset:256
	s_nop 0
	global_load_dwordx2 v[6:7], v[6:7], off offset:256
.LBB159_50:
	s_or_b64 exec, exec, s[20:21]
.LBB159_51:
	v_lshl_add_u64 v[42:43], s[16:17], 0, v[32:33]
	global_load_dwordx2 v[42:43], v[42:43], off
.LBB159_52:
	s_waitcnt lgkmcnt(0)
	v_fma_f64 v[50:51], v[0:1], v[8:9], 0
	s_waitcnt vmcnt(1)
	v_fma_f64 v[8:9], v[38:39], v[8:9], 0
	v_fmac_f64_e32 v[50:51], v[2:3], v[10:11]
	s_waitcnt vmcnt(0)
	v_fmac_f64_e32 v[8:9], v[40:41], v[10:11]
	s_barrier
	ds_write2_b64 v46, v[50:51], v[8:9] offset1:16
	s_waitcnt lgkmcnt(0)
	s_barrier
	s_and_saveexec_b64 s[20:21], s[4:5]
	s_cbranch_execz .LBB159_54
; %bb.53:
	ds_read2_b64 v[8:11], v48 offset1:32
	ds_read2_b64 v[50:53], v48 offset0:64 offset1:96
	ds_read2_b64 v[54:57], v48 offset0:128 offset1:160
	;; [unrolled: 1-line block ×3, first 2 shown]
	v_add_u32_e32 v49, 0x800, v48
	s_waitcnt lgkmcnt(3)
	v_add_f64 v[8:9], v[8:9], 0
	v_add_f64 v[8:9], v[8:9], v[10:11]
	s_waitcnt lgkmcnt(2)
	v_add_f64 v[8:9], v[8:9], v[50:51]
	v_add_f64 v[8:9], v[8:9], v[52:53]
	s_waitcnt lgkmcnt(1)
	v_add_f64 v[50:51], v[8:9], v[54:55]
	ds_read2_b64 v[8:11], v49 offset1:32
	v_add_f64 v[50:51], v[50:51], v[56:57]
	s_waitcnt lgkmcnt(1)
	v_add_f64 v[50:51], v[50:51], v[58:59]
	v_add_f64 v[54:55], v[50:51], v[60:61]
	ds_read2_b64 v[50:53], v49 offset0:64 offset1:96
	s_waitcnt lgkmcnt(1)
	v_add_f64 v[8:9], v[54:55], v[8:9]
	ds_read2_b64 v[54:57], v49 offset0:128 offset1:160
	v_add_f64 v[58:59], v[8:9], v[10:11]
	ds_read2_b64 v[8:11], v49 offset0:192 offset1:224
	s_waitcnt lgkmcnt(2)
	v_add_f64 v[50:51], v[58:59], v[50:51]
	v_add_f64 v[50:51], v[50:51], v[52:53]
	s_waitcnt lgkmcnt(1)
	v_add_f64 v[50:51], v[50:51], v[54:55]
	v_add_f64 v[50:51], v[50:51], v[56:57]
	;; [unrolled: 3-line block ×3, first 2 shown]
	v_lshl_add_u64 v[10:11], v[16:17], 3, v[34:35]
	v_mul_f64 v[8:9], v[12:13], v[8:9]
	global_atomic_add_f64 v[10:11], v[8:9], off
	v_lshl_add_u64 v[34:35], v[34:35], 0, s[24:25]
.LBB159_54:
	s_or_b64 exec, exec, s[20:21]
	s_add_i32 s33, s33, -1
	s_add_u32 s16, s16, s12
	v_fmac_f64_e32 v[26:27], v[18:19], v[0:1]
	v_fmac_f64_e32 v[28:29], v[18:19], v[2:3]
	s_addc_u32 s17, s17, s13
	v_fmac_f64_e32 v[26:27], v[36:37], v[38:39]
	v_fmac_f64_e32 v[28:29], v[36:37], v[40:41]
	v_lshl_add_u64 v[22:23], v[22:23], 0, s[18:19]
	s_cmp_eq_u32 s33, 0
	v_lshl_add_u64 v[24:25], v[24:25], 0, s[18:19]
	s_cbranch_scc1 .LBB159_56
; %bb.55:
	v_mov_b64_e32 v[0:1], v[4:5]
	v_mov_b64_e32 v[18:19], v[42:43]
	v_mov_b64_e32 v[2:3], v[6:7]
	v_mov_b64_e32 v[4:5], v[38:39]
	v_mov_b64_e32 v[6:7], v[40:41]
	v_lshl_add_u64 v[8:9], s[16:17], 0, v[30:31]
	global_load_dwordx2 v[36:37], v[8:9], off
	s_and_b64 vcc, exec, s[8:9]
	s_cbranch_vccnz .LBB159_32
	s_branch .LBB159_31
.LBB159_56:
	v_mov_b32_e32 v4, v15
.LBB159_57:
	s_waitcnt vmcnt(0)
	v_lshlrev_b32_e32 v0, 3, v4
	ds_write_b64 v0, v[26:27] offset:4096
	v_lshlrev_b32_e32 v0, 3, v45
	ds_write_b64 v0, v[28:29] offset:4096
	s_waitcnt lgkmcnt(0)
	s_barrier
	s_and_b64 exec, exec, s[4:5]
	s_cbranch_execz .LBB159_60
; %bb.58:
	s_cmp_lt_u32 s2, s34
	v_cmp_gt_i32_e32 vcc, s35, v44
	s_cselect_b64 s[0:1], -1, 0
	s_or_b64 s[0:1], vcc, s[0:1]
	s_and_b64 exec, exec, s[0:1]
	s_cbranch_execz .LBB159_60
; %bb.59:
	v_lshlrev_b32_e32 v15, 4, v44
	v_add_u32_e32 v1, 1, v44
	v_and_or_b32 v1, v1, 15, v15
	v_lshlrev_b32_e32 v2, 3, v1
	v_add_u32_e32 v1, 2, v44
	v_or_b32_e32 v14, v14, v15
	v_and_or_b32 v1, v1, 15, v15
	v_lshlrev_b32_e32 v0, 3, v14
	v_lshlrev_b32_e32 v4, 3, v1
	v_add_u32_e32 v1, 3, v44
	v_and_or_b32 v6, v1, 15, v15
	ds_read_b64 v[0:1], v0 offset:4096
	ds_read_b64 v[2:3], v2 offset:4096
	;; [unrolled: 1-line block ×3, first 2 shown]
	v_lshlrev_b32_e32 v6, 3, v6
	ds_read_b64 v[6:7], v6 offset:4096
	s_waitcnt lgkmcnt(3)
	v_add_f64 v[0:1], v[0:1], 0
	s_waitcnt lgkmcnt(2)
	v_add_f64 v[0:1], v[0:1], v[2:3]
	v_add_u32_e32 v3, 5, v44
	v_and_or_b32 v3, v3, 15, v15
	s_waitcnt lgkmcnt(1)
	v_add_f64 v[0:1], v[0:1], v[4:5]
	v_lshlrev_b32_e32 v4, 3, v3
	v_add_u32_e32 v3, 6, v44
	v_and_or_b32 v3, v3, 15, v15
	v_add_u32_e32 v2, 4, v44
	v_lshlrev_b32_e32 v8, 3, v3
	v_add_u32_e32 v3, 7, v44
	v_and_or_b32 v2, v2, 15, v15
	v_and_or_b32 v3, v3, 15, v15
	v_lshlrev_b32_e32 v2, 3, v2
	v_lshlrev_b32_e32 v10, 3, v3
	ds_read_b64 v[2:3], v2 offset:4096
	ds_read_b64 v[4:5], v4 offset:4096
	;; [unrolled: 1-line block ×4, first 2 shown]
	s_waitcnt lgkmcnt(4)
	v_add_f64 v[0:1], v[0:1], v[6:7]
	s_waitcnt lgkmcnt(3)
	v_add_f64 v[0:1], v[0:1], v[2:3]
	v_add_u32_e32 v3, 9, v44
	v_and_or_b32 v3, v3, 15, v15
	s_waitcnt lgkmcnt(2)
	v_add_f64 v[0:1], v[0:1], v[4:5]
	v_lshlrev_b32_e32 v4, 3, v3
	v_add_u32_e32 v3, 10, v44
	v_xor_b32_e32 v2, 8, v14
	v_and_or_b32 v3, v3, 15, v15
	v_lshlrev_b32_e32 v2, 3, v2
	v_lshlrev_b32_e32 v6, 3, v3
	v_add_u32_e32 v3, 11, v44
	s_waitcnt lgkmcnt(1)
	v_add_f64 v[0:1], v[0:1], v[8:9]
	v_and_or_b32 v8, v3, 15, v15
	ds_read_b64 v[2:3], v2 offset:4096
	ds_read_b64 v[4:5], v4 offset:4096
	;; [unrolled: 1-line block ×3, first 2 shown]
	s_waitcnt lgkmcnt(3)
	v_add_f64 v[0:1], v[0:1], v[10:11]
	v_lshlrev_b32_e32 v8, 3, v8
	s_waitcnt lgkmcnt(2)
	v_add_f64 v[0:1], v[0:1], v[2:3]
	v_add_u32_e32 v3, 13, v44
	v_and_or_b32 v3, v3, 15, v15
	s_waitcnt lgkmcnt(1)
	v_add_f64 v[0:1], v[0:1], v[4:5]
	v_lshlrev_b32_e32 v4, 3, v3
	v_add_u32_e32 v3, 14, v44
	ds_read_b64 v[8:9], v8 offset:4096
	v_and_or_b32 v3, v3, 15, v15
	s_waitcnt lgkmcnt(1)
	v_add_f64 v[0:1], v[0:1], v[6:7]
	v_add_u32_e32 v2, 12, v44
	v_lshlrev_b32_e32 v6, 3, v3
	v_add_u32_e32 v3, -1, v44
	s_mul_i32 s0, s10, s15
	s_mul_hi_u32 s1, s10, s14
	v_and_or_b32 v2, v2, 15, v15
	v_and_or_b32 v3, v3, 15, v15
	s_add_i32 s0, s1, s0
	s_mul_i32 s1, s11, s14
	v_lshlrev_b32_e32 v2, 3, v2
	v_lshlrev_b32_e32 v10, 3, v3
	s_add_i32 s1, s0, s1
	s_mul_i32 s0, s10, s14
	ds_read_b64 v[2:3], v2 offset:4096
	ds_read_b64 v[4:5], v4 offset:4096
	;; [unrolled: 1-line block ×4, first 2 shown]
	s_lshl_b64 s[0:1], s[0:1], 3
	s_waitcnt lgkmcnt(4)
	v_add_f64 v[0:1], v[0:1], v[8:9]
	s_add_u32 s0, s3, s0
	s_waitcnt lgkmcnt(3)
	v_add_f64 v[0:1], v[0:1], v[2:3]
	v_mad_u64_u32 v[2:3], s[2:3], v44, s14, 0
	s_waitcnt lgkmcnt(2)
	v_add_f64 v[0:1], v[0:1], v[4:5]
	v_mov_b32_e32 v4, v3
	s_waitcnt lgkmcnt(1)
	v_add_f64 v[0:1], v[0:1], v[6:7]
	v_mad_u64_u32 v[4:5], s[2:3], v44, s15, v[4:5]
	s_addc_u32 s1, s36, s1
	s_waitcnt lgkmcnt(0)
	v_add_f64 v[0:1], v[0:1], v[10:11]
	v_mov_b32_e32 v3, v4
	v_lshl_add_u64 v[2:3], v[2:3], 3, s[0:1]
	v_mul_f64 v[0:1], v[12:13], v[0:1]
	global_atomic_add_f64 v[2:3], v[0:1], off
.LBB159_60:
	s_endpgm
	.section	.rodata,"a",@progbits
	.p2align	6, 0x0
	.amdhsa_kernel _ZL62rocblas_symv_kernel_upper_double_buffered_non_diagonal_genericILi32ELi8ELi2ELi1E24rocblas_internal_val_ptrIdEPKPKdPKPdEvbiT3_lT4_lllSA_lllT5_lllii
		.amdhsa_group_segment_fixed_size 8448
		.amdhsa_private_segment_fixed_size 0
		.amdhsa_kernarg_size 384
		.amdhsa_user_sgpr_count 2
		.amdhsa_user_sgpr_dispatch_ptr 0
		.amdhsa_user_sgpr_queue_ptr 0
		.amdhsa_user_sgpr_kernarg_segment_ptr 1
		.amdhsa_user_sgpr_dispatch_id 0
		.amdhsa_user_sgpr_kernarg_preload_length 0
		.amdhsa_user_sgpr_kernarg_preload_offset 0
		.amdhsa_user_sgpr_private_segment_size 0
		.amdhsa_uses_dynamic_stack 0
		.amdhsa_enable_private_segment 0
		.amdhsa_system_sgpr_workgroup_id_x 1
		.amdhsa_system_sgpr_workgroup_id_y 1
		.amdhsa_system_sgpr_workgroup_id_z 1
		.amdhsa_system_sgpr_workgroup_info 0
		.amdhsa_system_vgpr_workitem_id 1
		.amdhsa_next_free_vgpr 62
		.amdhsa_next_free_sgpr 44
		.amdhsa_accum_offset 64
		.amdhsa_reserve_vcc 1
		.amdhsa_float_round_mode_32 0
		.amdhsa_float_round_mode_16_64 0
		.amdhsa_float_denorm_mode_32 3
		.amdhsa_float_denorm_mode_16_64 3
		.amdhsa_dx10_clamp 1
		.amdhsa_ieee_mode 1
		.amdhsa_fp16_overflow 0
		.amdhsa_tg_split 0
		.amdhsa_exception_fp_ieee_invalid_op 0
		.amdhsa_exception_fp_denorm_src 0
		.amdhsa_exception_fp_ieee_div_zero 0
		.amdhsa_exception_fp_ieee_overflow 0
		.amdhsa_exception_fp_ieee_underflow 0
		.amdhsa_exception_fp_ieee_inexact 0
		.amdhsa_exception_int_div_zero 0
	.end_amdhsa_kernel
	.section	.text._ZL62rocblas_symv_kernel_upper_double_buffered_non_diagonal_genericILi32ELi8ELi2ELi1E24rocblas_internal_val_ptrIdEPKPKdPKPdEvbiT3_lT4_lllSA_lllT5_lllii,"axG",@progbits,_ZL62rocblas_symv_kernel_upper_double_buffered_non_diagonal_genericILi32ELi8ELi2ELi1E24rocblas_internal_val_ptrIdEPKPKdPKPdEvbiT3_lT4_lllSA_lllT5_lllii,comdat
.Lfunc_end159:
	.size	_ZL62rocblas_symv_kernel_upper_double_buffered_non_diagonal_genericILi32ELi8ELi2ELi1E24rocblas_internal_val_ptrIdEPKPKdPKPdEvbiT3_lT4_lllSA_lllT5_lllii, .Lfunc_end159-_ZL62rocblas_symv_kernel_upper_double_buffered_non_diagonal_genericILi32ELi8ELi2ELi1E24rocblas_internal_val_ptrIdEPKPKdPKPdEvbiT3_lT4_lllSA_lllT5_lllii
                                        ; -- End function
	.section	.AMDGPU.csdata,"",@progbits
; Kernel info:
; codeLenInByte = 3112
; NumSgprs: 50
; NumVgprs: 62
; NumAgprs: 0
; TotalNumVgprs: 62
; ScratchSize: 0
; MemoryBound: 1
; FloatMode: 240
; IeeeMode: 1
; LDSByteSize: 8448 bytes/workgroup (compile time only)
; SGPRBlocks: 6
; VGPRBlocks: 7
; NumSGPRsForWavesPerEU: 50
; NumVGPRsForWavesPerEU: 62
; AccumOffset: 64
; Occupancy: 7
; WaveLimiterHint : 1
; COMPUTE_PGM_RSRC2:SCRATCH_EN: 0
; COMPUTE_PGM_RSRC2:USER_SGPR: 2
; COMPUTE_PGM_RSRC2:TRAP_HANDLER: 0
; COMPUTE_PGM_RSRC2:TGID_X_EN: 1
; COMPUTE_PGM_RSRC2:TGID_Y_EN: 1
; COMPUTE_PGM_RSRC2:TGID_Z_EN: 1
; COMPUTE_PGM_RSRC2:TIDIG_COMP_CNT: 1
; COMPUTE_PGM_RSRC3_GFX90A:ACCUM_OFFSET: 15
; COMPUTE_PGM_RSRC3_GFX90A:TG_SPLIT: 0
	.section	.text._ZL26rocblas_hemvn_kernel_upperILb0ELi64ELi4ELi33ELi32ELi16ElPKdPKS1_PdEviT6_lT7_lT5_lS6_lS7_lS5_lT8_i,"axG",@progbits,_ZL26rocblas_hemvn_kernel_upperILb0ELi64ELi4ELi33ELi32ELi16ElPKdPKS1_PdEviT6_lT7_lT5_lS6_lS7_lS5_lT8_i,comdat
	.globl	_ZL26rocblas_hemvn_kernel_upperILb0ELi64ELi4ELi33ELi32ELi16ElPKdPKS1_PdEviT6_lT7_lT5_lS6_lS7_lS5_lT8_i ; -- Begin function _ZL26rocblas_hemvn_kernel_upperILb0ELi64ELi4ELi33ELi32ELi16ElPKdPKS1_PdEviT6_lT7_lT5_lS6_lS7_lS5_lT8_i
	.p2align	8
	.type	_ZL26rocblas_hemvn_kernel_upperILb0ELi64ELi4ELi33ELi32ELi16ElPKdPKS1_PdEviT6_lT7_lT5_lS6_lS7_lS5_lT8_i,@function
_ZL26rocblas_hemvn_kernel_upperILb0ELi64ELi4ELi33ELi32ELi16ElPKdPKS1_PdEviT6_lT7_lT5_lS6_lS7_lS5_lT8_i: ; @_ZL26rocblas_hemvn_kernel_upperILb0ELi64ELi4ELi33ELi32ELi16ElPKdPKS1_PdEviT6_lT7_lT5_lS6_lS7_lS5_lT8_i
; %bb.0:
	s_load_dwordx2 s[4:5], s[0:1], 0x84
	s_add_u32 s12, s0, 0x78
	s_mov_b32 s24, s3
	s_addc_u32 s13, s1, 0
	s_waitcnt lgkmcnt(0)
	s_and_b32 s3, s5, 0xffff
	s_lshr_b32 s5, s4, 16
	s_and_b32 s4, s4, 0xffff
	s_mul_i32 s4, s5, s4
	s_mul_i32 s4, s4, s3
	s_cmpk_lg_i32 s4, 0x100
	s_cbranch_scc1 .LBB160_130
; %bb.1:
	s_load_dwordx8 s[4:11], s[0:1], 0x8
	s_load_dwordx4 s[16:19], s[0:1], 0x58
	s_waitcnt lgkmcnt(0)
	s_mul_i32 s3, s24, s7
	s_mul_hi_u32 s7, s24, s6
	s_mul_i32 s6, s24, s6
	s_add_i32 s7, s7, s3
	s_lshl_b64 s[6:7], s[6:7], 3
	s_mul_i32 s14, s24, s19
	s_add_u32 s4, s4, s6
	s_mul_hi_u32 s3, s24, s18
	s_addc_u32 s5, s5, s7
	s_add_i32 s7, s3, s14
	s_mul_i32 s6, s24, s18
	s_lshl_b64 s[6:7], s[6:7], 3
	s_add_u32 s6, s16, s6
	s_addc_u32 s7, s17, s7
	s_load_dwordx2 s[4:5], s[4:5], 0x0
	s_nop 0
	s_load_dwordx2 s[14:15], s[6:7], 0x0
	s_waitcnt lgkmcnt(0)
	v_cmp_eq_f64_e64 s[6:7], s[4:5], 0
	v_cmp_eq_f64_e64 s[14:15], s[14:15], 1.0
	s_and_b64 s[14:15], s[6:7], s[14:15]
	s_and_b64 vcc, exec, s[14:15]
	s_cbranch_vccnz .LBB160_130
; %bb.2:
	s_load_dwordx2 s[22:23], s[0:1], 0x28
	s_mov_b32 s25, 0
	s_mov_b64 s[14:15], 0
	v_cmp_neq_f64_e64 s[18:19], s[4:5], 0
	s_and_b64 vcc, exec, s[6:7]
	s_mov_b64 s[6:7], 0
	s_cbranch_vccnz .LBB160_4
; %bb.3:
	s_lshl_b64 s[4:5], s[24:25], 3
	s_add_u32 s4, s8, s4
	s_addc_u32 s5, s9, s5
	s_load_dwordx2 s[4:5], s[4:5], 0x0
	s_lshl_b64 s[6:7], s[10:11], 3
	s_waitcnt lgkmcnt(0)
	s_add_u32 s6, s4, s6
	s_addc_u32 s7, s5, s7
.LBB160_4:
	s_load_dwordx4 s[8:11], s[0:1], 0x38
	s_load_dwordx2 s[16:17], s[0:1], 0x48
	v_cndmask_b32_e64 v1, 0, 1, s[18:19]
	v_cmp_ne_u32_e64 s[4:5], 1, v1
	s_andn2_b64 vcc, exec, s[18:19]
	s_cbranch_vccnz .LBB160_6
; %bb.5:
	s_lshl_b64 s[14:15], s[24:25], 3
	s_waitcnt lgkmcnt(0)
	s_add_u32 s8, s8, s14
	s_addc_u32 s9, s9, s15
	s_load_dwordx2 s[8:9], s[8:9], 0x0
	s_lshl_b64 s[10:11], s[10:11], 3
	s_waitcnt lgkmcnt(0)
	s_add_u32 s14, s8, s10
	s_addc_u32 s15, s9, s11
.LBB160_6:
	s_and_b64 vcc, exec, s[4:5]
	s_cbranch_vccnz .LBB160_130
; %bb.7:
	s_load_dword s3, s[12:13], 0x0
	s_load_dwordx2 s[28:29], s[0:1], 0x68
	s_load_dword s33, s[0:1], 0x0
	v_and_b32_e32 v122, 0x3ff, v0
	s_lshl_b32 s26, s2, 6
	v_add_u32_e32 v24, s26, v122
	s_waitcnt lgkmcnt(0)
	s_add_i32 s0, s3, -1
	s_ashr_i32 s36, s33, 31
	s_lshr_b32 s1, s36, 26
	s_add_i32 s1, s33, s1
	s_andn2_b32 s1, s1, 63
	s_sub_i32 s25, s33, s1
	v_ashrrev_i32_e32 v25, 31, v24
	v_bfe_u32 v123, v0, 10, 10
	s_cmp_eq_u32 s2, s0
	v_mul_lo_u32 v2, v25, s16
	v_mul_lo_u32 v3, v24, s17
	v_mad_u64_u32 v[0:1], s[0:1], v24, s16, 0
	v_add3_u32 v1, v1, v3, v2
	s_cselect_b32 s18, s25, 0
	v_lshl_add_u64 v[12:13], v[0:1], 3, s[14:15]
	v_cmp_eq_u32_e64 s[0:1], 0, v123
	s_and_saveexec_b64 s[4:5], s[0:1]
	s_cbranch_execz .LBB160_11
; %bb.8:
	s_cmp_eq_u32 s18, 0
	s_cselect_b64 s[8:9], -1, 0
	v_cmp_gt_i32_e32 vcc, s18, v122
	s_or_b64 s[10:11], s[8:9], vcc
	v_mov_b64_e32 v[0:1], 0
	s_and_saveexec_b64 s[8:9], s[10:11]
	s_cbranch_execz .LBB160_10
; %bb.9:
	flat_load_dwordx2 v[0:1], v[12:13]
.LBB160_10:
	s_or_b64 exec, exec, s[8:9]
	v_lshlrev_b32_e32 v2, 3, v122
	s_waitcnt vmcnt(0) lgkmcnt(0)
	ds_write_b64 v2, v[0:1] offset:9088
.LBB160_11:
	s_or_b64 exec, exec, s[4:5]
	s_ashr_i32 s27, s26, 31
	v_lshl_add_u32 v22, v123, 6, v122
	s_lshl_b64 s[4:5], s[26:27], 3
	v_and_b32_e32 v0, 31, v122
	v_lshrrev_b32_e32 v18, 5, v22
	s_add_u32 s6, s6, s4
	v_mov_b32_e32 v1, 0
	s_addc_u32 s7, s7, s5
	v_mad_u64_u32 v[14:15], s[4:5], v18, s22, v[0:1]
	v_mov_b32_e32 v2, v15
	v_mad_u64_u32 v[2:3], s[4:5], v18, s23, v[2:3]
	s_mul_i32 s4, s26, s23
	s_mul_hi_u32 s5, s26, s22
	s_add_i32 s4, s5, s4
	s_mul_i32 s5, s27, s22
	s_add_i32 s5, s4, s5
	s_mul_i32 s4, s26, s22
	s_lshl_b64 s[4:5], s[4:5], 3
	s_add_u32 s4, s4, s6
	s_addc_u32 s5, s5, s7
	s_cmp_eq_u32 s18, 0
	s_cselect_b64 s[20:21], -1, 0
	s_cmp_lg_u32 s18, 0
	v_mov_b32_e32 v15, v2
	s_cselect_b64 s[30:31], -1, 0
	v_lshl_add_u64 v[6:7], v[14:15], 3, s[4:5]
	s_and_b64 vcc, exec, s[30:31]
	v_cmp_gt_i32_e64 s[4:5], s18, v0
	v_lshlrev_b32_e32 v2, 3, v0
	s_mul_i32 s37, s23, 0xc0
	s_cbranch_vccz .LBB160_21
; %bb.12:
	v_sub_co_u32_e32 v4, vcc, v6, v2
	s_ashr_i32 s19, s18, 31
	s_nop 0
	v_subbrev_co_u32_e32 v5, vcc, 0, v7, vcc
	v_lshl_add_u64 v[4:5], s[18:19], 3, v[4:5]
	v_lshl_add_u64 v[4:5], v[4:5], 0, -8
	v_mov_b64_e32 v[8:9], 0
	v_cndmask_b32_e64 v5, v5, v7, s[4:5]
	v_cndmask_b32_e64 v4, v4, v6, s[4:5]
	v_cmp_gt_i32_e32 vcc, s18, v18
	v_mov_b64_e32 v[10:11], v[8:9]
	s_and_saveexec_b64 s[6:7], vcc
	s_cbranch_execz .LBB160_14
; %bb.13:
	flat_load_dwordx2 v[10:11], v[4:5]
.LBB160_14:
	s_or_b64 exec, exec, s[6:7]
	v_mul_u32_u24_e32 v1, 33, v18
	v_add_u32_e32 v3, 8, v18
	v_add_lshl_u32 v1, v1, v0, 3
	v_cmp_gt_i32_e32 vcc, s18, v3
	s_waitcnt vmcnt(0) lgkmcnt(0)
	ds_write_b64 v1, v[10:11]
	s_and_saveexec_b64 s[6:7], vcc
	s_cbranch_execz .LBB160_16
; %bb.15:
	s_lshl_b64 s[8:9], s[22:23], 6
	v_lshl_add_u64 v[8:9], v[4:5], 0, s[8:9]
	flat_load_dwordx2 v[8:9], v[8:9]
.LBB160_16:
	s_or_b64 exec, exec, s[6:7]
	s_waitcnt vmcnt(0) lgkmcnt(0)
	ds_write_b64 v1, v[8:9] offset:2112
	v_add_u32_e32 v3, 16, v18
	v_mov_b64_e32 v[8:9], 0
	v_cmp_gt_i32_e32 vcc, s18, v3
	v_mov_b64_e32 v[10:11], v[8:9]
	s_and_saveexec_b64 s[6:7], vcc
	s_cbranch_execz .LBB160_18
; %bb.17:
	s_lshl_b64 s[8:9], s[22:23], 7
	v_lshl_add_u64 v[10:11], v[4:5], 0, s[8:9]
	flat_load_dwordx2 v[10:11], v[10:11]
.LBB160_18:
	s_or_b64 exec, exec, s[6:7]
	v_add_u32_e32 v3, 24, v18
	v_cmp_gt_i32_e32 vcc, s18, v3
	s_waitcnt vmcnt(0) lgkmcnt(0)
	ds_write_b64 v1, v[10:11] offset:4224
	s_and_saveexec_b64 s[6:7], vcc
	s_cbranch_execz .LBB160_20
; %bb.19:
	v_mov_b32_e32 v3, 0xc0
	v_mad_u64_u32 v[8:9], s[8:9], s22, v3, v[4:5]
	v_add_u32_e32 v9, s37, v9
	flat_load_dwordx2 v[8:9], v[8:9]
.LBB160_20:
	s_or_b64 exec, exec, s[6:7]
	v_mov_b32_e32 v3, 0
	v_lshl_add_u64 v[4:5], v[4:5], 0, v[2:3]
	s_lshl_b64 s[6:7], s[18:19], 3
	s_waitcnt vmcnt(0) lgkmcnt(0)
	ds_write_b64 v1, v[8:9] offset:6336
	v_mov_b32_e32 v1, s7
	v_subrev_co_u32_e32 v4, vcc, s6, v4
	s_nop 1
	v_subb_co_u32_e32 v5, vcc, v5, v1, vcc
	v_lshl_add_u64 v[4:5], v[4:5], 0, 8
	v_cndmask_b32_e64 v5, v5, v7, s[4:5]
	v_cndmask_b32_e64 v4, v4, v6, s[4:5]
	v_mul_u32_u24_e32 v19, 33, v18
	s_branch .LBB160_23
.LBB160_21:
                                        ; implicit-def: $vgpr4_vgpr5
	v_mul_u32_u24_e32 v19, 33, v18
	s_cbranch_execz .LBB160_23
; %bb.22:
	flat_load_dwordx2 v[4:5], v[6:7]
	v_add_lshl_u32 v1, v19, v0, 3
	s_lshl_b64 s[4:5], s[22:23], 6
	v_lshl_add_u64 v[8:9], v[6:7], 0, s[4:5]
	v_mov_b32_e32 v3, 0xc0
	s_waitcnt vmcnt(0) lgkmcnt(0)
	ds_write_b64 v1, v[4:5]
	flat_load_dwordx2 v[4:5], v[8:9]
	v_lshl_add_u64 v[8:9], v[8:9], 0, s[4:5]
	s_waitcnt vmcnt(0) lgkmcnt(0)
	ds_write_b64 v1, v[4:5] offset:2112
	flat_load_dwordx2 v[4:5], v[8:9]
	v_mad_u64_u32 v[8:9], s[4:5], s22, v3, v[6:7]
	v_add_u32_e32 v9, s37, v9
	s_waitcnt vmcnt(0) lgkmcnt(0)
	ds_write_b64 v1, v[4:5] offset:4224
	flat_load_dwordx2 v[4:5], v[8:9]
	s_waitcnt vmcnt(0) lgkmcnt(0)
	ds_write_b64 v1, v[4:5] offset:6336
	v_mov_b64_e32 v[4:5], v[6:7]
.LBB160_23:
	v_lshlrev_b32_e32 v3, 2, v18
	v_mul_u32_u24_e32 v1, 33, v0
	v_cmp_gt_u32_e64 s[4:5], v3, v0
	v_add_lshl_u32 v21, v3, v1, 3
	s_waitcnt lgkmcnt(0)
	s_barrier
	s_and_saveexec_b64 s[6:7], s[4:5]
	s_cbranch_execz .LBB160_25
; %bb.24:
	v_mul_u32_u24_e32 v6, 0x84, v18
	v_add_lshl_u32 v6, v6, v0, 3
	ds_read_b64 v[6:7], v6
	s_waitcnt lgkmcnt(0)
	ds_write_b64 v21, v[6:7]
.LBB160_25:
	s_or_b64 exec, exec, s[6:7]
	v_cmp_ge_u32_e64 s[6:7], v3, v0
	s_and_saveexec_b64 s[8:9], s[6:7]
	s_cbranch_execz .LBB160_27
; %bb.26:
	v_or_b32_e32 v6, 1, v3
	v_mul_u32_u24_e32 v6, 33, v6
	v_add_lshl_u32 v6, v6, v0, 3
	ds_read_b64 v[6:7], v6
	s_waitcnt lgkmcnt(0)
	ds_write_b64 v21, v[6:7] offset:8
.LBB160_27:
	s_or_b64 exec, exec, s[8:9]
	v_or_b32_e32 v6, 2, v3
	v_cmp_gt_u32_e64 s[8:9], v6, v0
	s_and_saveexec_b64 s[10:11], s[8:9]
	s_cbranch_execz .LBB160_29
; %bb.28:
	v_mul_u32_u24_e32 v6, 33, v6
	v_add_lshl_u32 v6, v6, v0, 3
	ds_read_b64 v[6:7], v6
	s_waitcnt lgkmcnt(0)
	ds_write_b64 v21, v[6:7] offset:16
.LBB160_29:
	s_or_b64 exec, exec, s[10:11]
	v_or_b32_e32 v6, 3, v3
	v_cmp_gt_u32_e64 s[10:11], v6, v0
	v_mad_u32_u24 v6, v6, 33, v0
	v_lshlrev_b32_e32 v29, 3, v6
	s_and_saveexec_b64 s[12:13], s[10:11]
	s_cbranch_execz .LBB160_31
; %bb.30:
	ds_read_b64 v[6:7], v29
	s_waitcnt lgkmcnt(0)
	ds_write_b64 v21, v[6:7] offset:24
.LBB160_31:
	s_or_b64 exec, exec, s[12:13]
	v_mul_u32_u24_e32 v6, 0x84, v18
	v_add_lshl_u32 v20, v6, v0, 3
	s_waitcnt lgkmcnt(0)
	s_barrier
	v_lshlrev_b32_e32 v31, 3, v3
	ds_read_b64 v[10:11], v20
	ds_read_b128 v[6:9], v31 offset:9088
	v_add_u32_e32 v30, 0xfffffdf0, v29
	ds_read2_b64 v[32:35], v30 offset1:33
	ds_read_b128 v[36:39], v31 offset:9104
	ds_read_b64 v[16:17], v29
	v_mov_b64_e32 v[26:27], 0
	v_add_lshl_u32 v28, v18, v1, 3
	s_waitcnt lgkmcnt(3)
	v_fma_f64 v[6:7], v[10:11], v[6:7], 0
	s_waitcnt lgkmcnt(2)
	v_fmac_f64_e32 v[6:7], v[32:33], v[8:9]
	s_waitcnt lgkmcnt(1)
	v_fmac_f64_e32 v[6:7], v[34:35], v[36:37]
	;; [unrolled: 2-line block ×3, first 2 shown]
	v_cmp_gt_u32_e64 s[12:13], 32, v22
	v_lshlrev_b32_e32 v23, 3, v1
	s_barrier
	ds_write_b64 v28, v[6:7]
	s_waitcnt lgkmcnt(0)
	s_barrier
	s_and_saveexec_b64 s[14:15], s[12:13]
	s_cbranch_execz .LBB160_33
; %bb.32:
	ds_read2_b64 v[6:9], v23 offset1:1
	ds_read2_b64 v[32:35], v23 offset0:2 offset1:3
	ds_read2_b64 v[36:39], v23 offset0:4 offset1:5
	s_waitcnt lgkmcnt(2)
	v_add_f64 v[10:11], v[6:7], v[8:9]
	ds_read2_b64 v[6:9], v23 offset0:6 offset1:7
	s_waitcnt lgkmcnt(2)
	v_add_f64 v[10:11], v[10:11], v[32:33]
	v_add_f64 v[10:11], v[10:11], v[34:35]
	s_waitcnt lgkmcnt(1)
	v_add_f64 v[10:11], v[10:11], v[36:37]
	v_add_f64 v[10:11], v[10:11], v[38:39]
	;; [unrolled: 3-line block ×3, first 2 shown]
.LBB160_33:
	s_or_b64 exec, exec, s[14:15]
	s_lshl_b64 s[14:15], s[22:23], 8
	v_lshl_add_u64 v[8:9], v[4:5], 0, s[14:15]
	s_mov_b64 s[14:15], 0x100
	v_lshl_add_u64 v[6:7], v[8:9], 0, s[14:15]
	s_and_b64 vcc, exec, s[30:31]
	s_barrier
	s_cbranch_vccz .LBB160_43
; %bb.34:
	v_or_b32_e32 v3, 32, v0
	v_lshlrev_b32_e32 v4, 3, v3
	v_sub_co_u32_e32 v4, vcc, v6, v4
	s_ashr_i32 s19, s18, 31
	s_nop 0
	v_subbrev_co_u32_e32 v5, vcc, 0, v7, vcc
	v_lshl_add_u64 v[4:5], s[18:19], 3, v[4:5]
	v_lshl_add_u64 v[4:5], v[4:5], 0, -8
	v_cmp_gt_i32_e32 vcc, s18, v3
	s_sub_i32 s38, s18, 32
	v_mov_b64_e32 v[10:11], 0
	v_cndmask_b32_e32 v5, v5, v7, vcc
	v_cndmask_b32_e32 v4, v4, v6, vcc
	v_cmp_gt_i32_e64 s[14:15], s38, v18
	v_mov_b64_e32 v[16:17], v[10:11]
	s_and_saveexec_b64 s[34:35], s[14:15]
	s_cbranch_execz .LBB160_36
; %bb.35:
	flat_load_dwordx2 v[16:17], v[4:5]
.LBB160_36:
	s_or_b64 exec, exec, s[34:35]
	v_add_lshl_u32 v3, v19, v0, 3
	s_waitcnt vmcnt(0) lgkmcnt(0)
	ds_write_b64 v3, v[16:17]
	v_add_u32_e32 v16, 8, v18
	v_cmp_gt_i32_e64 s[14:15], s38, v16
	s_and_saveexec_b64 s[34:35], s[14:15]
	s_cbranch_execz .LBB160_38
; %bb.37:
	s_lshl_b64 s[14:15], s[22:23], 6
	v_lshl_add_u64 v[10:11], v[4:5], 0, s[14:15]
	flat_load_dwordx2 v[10:11], v[10:11]
.LBB160_38:
	s_or_b64 exec, exec, s[34:35]
	s_waitcnt vmcnt(0) lgkmcnt(0)
	ds_write_b64 v3, v[10:11] offset:2112
	v_add_u32_e32 v10, 16, v18
	v_cmp_gt_i32_e64 s[14:15], s38, v10
	v_mov_b64_e32 v[10:11], 0
	v_mov_b64_e32 v[16:17], v[10:11]
	s_and_saveexec_b64 s[34:35], s[14:15]
	s_cbranch_execz .LBB160_40
; %bb.39:
	s_lshl_b64 s[14:15], s[22:23], 7
	v_lshl_add_u64 v[16:17], v[4:5], 0, s[14:15]
	flat_load_dwordx2 v[16:17], v[16:17]
.LBB160_40:
	s_or_b64 exec, exec, s[34:35]
	s_waitcnt vmcnt(0) lgkmcnt(0)
	ds_write_b64 v3, v[16:17] offset:4224
	v_add_u32_e32 v16, 24, v18
	v_cmp_gt_i32_e64 s[14:15], s38, v16
	s_and_saveexec_b64 s[34:35], s[14:15]
	s_cbranch_execz .LBB160_42
; %bb.41:
	v_mov_b32_e32 v10, 0xc0
	v_mad_u64_u32 v[10:11], s[14:15], s22, v10, v[4:5]
	v_add_u32_e32 v11, s37, v11
	flat_load_dwordx2 v[10:11], v[10:11]
.LBB160_42:
	s_or_b64 exec, exec, s[34:35]
	s_waitcnt vmcnt(0) lgkmcnt(0)
	ds_write_b64 v3, v[10:11] offset:6336
	v_mov_b32_e32 v3, 0
	v_lshl_add_u64 v[4:5], v[4:5], 0, v[2:3]
	s_lshl_b64 s[14:15], s[18:19], 3
	v_mov_b32_e32 v3, s15
	v_subrev_co_u32_e64 v4, s[14:15], s14, v4
	s_nop 1
	v_subb_co_u32_e64 v5, s[14:15], v5, v3, s[14:15]
	s_mov_b64 s[14:15], 0x108
	s_nop 0
	v_lshl_add_u64 v[4:5], v[4:5], 0, s[14:15]
	v_cndmask_b32_e32 v5, v5, v7, vcc
	v_cndmask_b32_e32 v4, v4, v6, vcc
	s_branch .LBB160_45
.LBB160_43:
                                        ; implicit-def: $vgpr4_vgpr5
	s_cbranch_execz .LBB160_45
; %bb.44:
	flat_load_dwordx2 v[4:5], v[8:9] offset:256
	v_add_lshl_u32 v3, v19, v0, 3
	s_lshl_b64 s[14:15], s[22:23], 6
	v_lshl_add_u64 v[10:11], v[8:9], 0, s[14:15]
	s_waitcnt vmcnt(0) lgkmcnt(0)
	ds_write_b64 v3, v[4:5]
	flat_load_dwordx2 v[4:5], v[10:11] offset:256
	v_lshl_add_u64 v[10:11], v[10:11], 0, s[14:15]
	s_waitcnt vmcnt(0) lgkmcnt(0)
	ds_write_b64 v3, v[4:5] offset:2112
	flat_load_dwordx2 v[4:5], v[10:11] offset:256
	v_mov_b32_e32 v10, 0xc0
	v_mad_u64_u32 v[8:9], s[14:15], s22, v10, v[8:9]
	v_add_u32_e32 v9, s37, v9
	s_waitcnt vmcnt(0) lgkmcnt(0)
	ds_write_b64 v3, v[4:5] offset:4224
	flat_load_dwordx2 v[4:5], v[8:9] offset:256
	s_waitcnt vmcnt(0) lgkmcnt(0)
	ds_write_b64 v3, v[4:5] offset:6336
	v_mov_b64_e32 v[4:5], v[6:7]
.LBB160_45:
	s_waitcnt lgkmcnt(0)
	s_barrier
	s_and_saveexec_b64 s[14:15], s[4:5]
	s_cbranch_execnz .LBB160_62
; %bb.46:
	s_or_b64 exec, exec, s[14:15]
	s_and_saveexec_b64 s[4:5], s[6:7]
	s_cbranch_execnz .LBB160_63
.LBB160_47:
	s_or_b64 exec, exec, s[4:5]
	s_and_saveexec_b64 s[4:5], s[8:9]
	s_cbranch_execnz .LBB160_64
.LBB160_48:
	s_or_b64 exec, exec, s[4:5]
	v_add_u32_e32 v31, 0x2380, v31
	s_and_saveexec_b64 s[4:5], s[10:11]
	s_cbranch_execz .LBB160_50
.LBB160_49:
	ds_read_b64 v[6:7], v29
	s_waitcnt lgkmcnt(0)
	ds_write_b64 v21, v[6:7] offset:24
.LBB160_50:
	s_or_b64 exec, exec, s[4:5]
	s_waitcnt lgkmcnt(0)
	s_barrier
	ds_read_b64 v[10:11], v20
	ds_read_b128 v[6:9], v31 offset:256
	ds_read2_b64 v[32:35], v30 offset1:33
	ds_read_b128 v[36:39], v31 offset:272
	ds_read_b64 v[16:17], v29
	v_cmp_eq_u32_e64 s[4:5], 1, v18
	s_waitcnt lgkmcnt(3)
	v_fma_f64 v[6:7], v[10:11], v[6:7], 0
	s_waitcnt lgkmcnt(2)
	v_fmac_f64_e32 v[6:7], v[32:33], v[8:9]
	s_waitcnt lgkmcnt(1)
	v_fmac_f64_e32 v[6:7], v[34:35], v[36:37]
	;; [unrolled: 2-line block ×3, first 2 shown]
	s_barrier
	ds_write_b64 v28, v[6:7]
	s_waitcnt lgkmcnt(0)
	s_barrier
	s_and_saveexec_b64 s[6:7], s[4:5]
	s_cbranch_execz .LBB160_52
; %bb.51:
	ds_read2_b64 v[6:9], v23 offset1:1
	ds_read2_b64 v[32:35], v23 offset0:2 offset1:3
	ds_read2_b64 v[36:39], v23 offset0:4 offset1:5
	s_waitcnt lgkmcnt(2)
	v_add_f64 v[10:11], v[6:7], v[8:9]
	ds_read2_b64 v[6:9], v23 offset0:6 offset1:7
	s_waitcnt lgkmcnt(2)
	v_add_f64 v[10:11], v[10:11], v[32:33]
	v_add_f64 v[10:11], v[10:11], v[34:35]
	s_waitcnt lgkmcnt(1)
	v_add_f64 v[10:11], v[10:11], v[36:37]
	v_add_f64 v[10:11], v[10:11], v[38:39]
	;; [unrolled: 3-line block ×3, first 2 shown]
.LBB160_52:
	s_or_b64 exec, exec, s[6:7]
	s_movk_i32 s6, 0xff00
	s_mov_b32 s7, -1
	v_lshl_add_u64 v[4:5], v[4:5], 0, s[6:7]
	s_and_b64 vcc, exec, s[30:31]
	s_barrier
	s_cbranch_vccz .LBB160_65
; %bb.53:
	v_sub_co_u32_e32 v6, vcc, v4, v2
	s_ashr_i32 s19, s18, 31
	s_nop 0
	v_subbrev_co_u32_e32 v7, vcc, 0, v5, vcc
	v_lshl_add_u64 v[6:7], s[18:19], 3, v[6:7]
	v_lshl_add_u64 v[6:7], v[6:7], 0, -8
	v_cmp_gt_i32_e32 vcc, s18, v0
	s_sub_i32 s10, s18, 32
	v_mov_b64_e32 v[8:9], 0
	v_cndmask_b32_e32 v7, v7, v5, vcc
	v_cndmask_b32_e32 v6, v6, v4, vcc
	v_cmp_gt_i32_e64 s[6:7], s10, v18
	v_mov_b64_e32 v[10:11], v[8:9]
	s_and_saveexec_b64 s[8:9], s[6:7]
	s_cbranch_execz .LBB160_55
; %bb.54:
	flat_load_dwordx2 v[10:11], v[6:7]
.LBB160_55:
	s_or_b64 exec, exec, s[8:9]
	v_add_u32_e32 v21, 8, v18
	v_add_lshl_u32 v3, v19, v0, 3
	v_cmp_gt_i32_e64 s[6:7], s10, v21
	s_waitcnt vmcnt(0) lgkmcnt(0)
	ds_write_b64 v3, v[10:11]
	s_and_saveexec_b64 s[8:9], s[6:7]
	s_cbranch_execz .LBB160_57
; %bb.56:
	s_lshl_b64 s[6:7], s[22:23], 6
	v_lshl_add_u64 v[8:9], v[6:7], 0, s[6:7]
	flat_load_dwordx2 v[8:9], v[8:9]
.LBB160_57:
	s_or_b64 exec, exec, s[8:9]
	s_waitcnt vmcnt(0) lgkmcnt(0)
	ds_write_b64 v3, v[8:9] offset:2112
	v_add_u32_e32 v32, 16, v18
	v_mov_b64_e32 v[8:9], 0
	v_cmp_gt_i32_e64 s[6:7], s10, v32
	v_mov_b64_e32 v[10:11], v[8:9]
	s_and_saveexec_b64 s[8:9], s[6:7]
	s_cbranch_execz .LBB160_59
; %bb.58:
	s_lshl_b64 s[6:7], s[22:23], 7
	v_lshl_add_u64 v[10:11], v[6:7], 0, s[6:7]
	flat_load_dwordx2 v[10:11], v[10:11]
.LBB160_59:
	s_or_b64 exec, exec, s[8:9]
	s_waitcnt vmcnt(0) lgkmcnt(0)
	ds_write_b64 v3, v[10:11] offset:4224
	v_add_u32_e32 v10, 24, v18
	v_cmp_gt_i32_e64 s[6:7], s10, v10
	s_and_saveexec_b64 s[8:9], s[6:7]
	s_cbranch_execz .LBB160_61
; %bb.60:
	v_mov_b32_e32 v8, 0xc0
	v_mad_u64_u32 v[8:9], s[6:7], s22, v8, v[6:7]
	v_add_u32_e32 v9, s37, v9
	flat_load_dwordx2 v[8:9], v[8:9]
.LBB160_61:
	s_or_b64 exec, exec, s[8:9]
	s_waitcnt vmcnt(0) lgkmcnt(0)
	ds_write_b64 v3, v[8:9] offset:6336
	v_mov_b32_e32 v3, 0
	v_lshl_add_u64 v[2:3], v[6:7], 0, v[2:3]
	s_lshl_b64 s[6:7], s[18:19], 3
	v_mov_b32_e32 v6, s7
	v_subrev_co_u32_e64 v2, s[6:7], s6, v2
	s_nop 1
	v_subb_co_u32_e64 v3, s[6:7], v3, v6, s[6:7]
	v_lshl_add_u64 v[2:3], v[2:3], 0, 8
	v_cndmask_b32_e32 v17, v3, v5, vcc
	v_cndmask_b32_e32 v16, v2, v4, vcc
	s_branch .LBB160_67
.LBB160_62:
	ds_read_b64 v[6:7], v20
	s_waitcnt lgkmcnt(0)
	ds_write_b64 v21, v[6:7]
	s_or_b64 exec, exec, s[14:15]
	s_and_saveexec_b64 s[4:5], s[6:7]
	s_cbranch_execz .LBB160_47
.LBB160_63:
	ds_read_b64 v[6:7], v30
	s_waitcnt lgkmcnt(0)
	ds_write_b64 v21, v[6:7] offset:8
	s_or_b64 exec, exec, s[4:5]
	s_and_saveexec_b64 s[4:5], s[8:9]
	s_cbranch_execz .LBB160_48
.LBB160_64:
	ds_read_b64 v[6:7], v30 offset:264
	s_waitcnt lgkmcnt(0)
	ds_write_b64 v21, v[6:7] offset:16
	s_or_b64 exec, exec, s[4:5]
	v_add_u32_e32 v31, 0x2380, v31
	s_and_saveexec_b64 s[4:5], s[10:11]
	s_cbranch_execnz .LBB160_49
	s_branch .LBB160_50
.LBB160_65:
                                        ; implicit-def: $vgpr16_vgpr17
                                        ; implicit-def: $vgpr21
                                        ; implicit-def: $vgpr32
                                        ; implicit-def: $vgpr10
	s_cbranch_execz .LBB160_67
; %bb.66:
	flat_load_dwordx2 v[2:3], v[4:5]
	v_add_lshl_u32 v0, v19, v0, 3
	s_lshl_b64 s[6:7], s[22:23], 6
	v_lshl_add_u64 v[6:7], v[4:5], 0, s[6:7]
	v_add_u32_e32 v21, 8, v18
	v_add_u32_e32 v32, 16, v18
	;; [unrolled: 1-line block ×3, first 2 shown]
	v_mov_b64_e32 v[16:17], v[4:5]
	s_waitcnt vmcnt(0) lgkmcnt(0)
	ds_write_b64 v0, v[2:3]
	flat_load_dwordx2 v[2:3], v[6:7]
	v_lshl_add_u64 v[6:7], v[6:7], 0, s[6:7]
	s_waitcnt vmcnt(0) lgkmcnt(0)
	ds_write_b64 v0, v[2:3] offset:2112
	flat_load_dwordx2 v[2:3], v[6:7]
	v_mov_b32_e32 v6, 0xc0
	v_mad_u64_u32 v[6:7], s[6:7], s22, v6, v[4:5]
	v_add_u32_e32 v7, s37, v7
	s_waitcnt vmcnt(0) lgkmcnt(0)
	ds_write_b64 v0, v[2:3] offset:4224
	flat_load_dwordx2 v[2:3], v[6:7]
	s_waitcnt vmcnt(0) lgkmcnt(0)
	ds_write_b64 v0, v[2:3] offset:6336
.LBB160_67:
	v_lshlrev_b32_e32 v0, 3, v18
	s_waitcnt lgkmcnt(0)
	s_barrier
	v_add_lshl_u32 v2, v21, v1, 3
	v_lshlrev_b32_e32 v3, 3, v21
	v_add_lshl_u32 v4, v32, v1, 3
	ds_read_b64 v[34:35], v0 offset:9088
	ds_read_b64 v[36:37], v2
	ds_read_b64 v[38:39], v3 offset:9088
	ds_read_b64 v[40:41], v4
	v_lshlrev_b32_e32 v18, 3, v32
	v_add_lshl_u32 v19, v10, v1, 3
	v_lshlrev_b32_e32 v44, 3, v10
	ds_read_b64 v[20:21], v20
	ds_read_b128 v[8:11], v31 offset:256
	ds_read_b64 v[32:33], v28
	ds_read_b128 v[0:3], v31 offset:272
	ds_read2_b64 v[4:7], v30 offset1:33
	ds_read_b64 v[30:31], v18 offset:9088
	ds_read_b64 v[42:43], v19
	ds_read_b64 v[44:45], v44 offset:9088
	ds_read_b64 v[18:19], v29
	s_waitcnt lgkmcnt(6)
	v_fma_f64 v[32:33], v[32:33], v[34:35], 0
	v_fmac_f64_e32 v[32:33], v[36:37], v[38:39]
	s_waitcnt lgkmcnt(3)
	v_fmac_f64_e32 v[32:33], v[40:41], v[30:31]
	s_waitcnt lgkmcnt(1)
	;; [unrolled: 2-line block ×3, first 2 shown]
	s_barrier
	ds_write_b64 v28, v[32:33]
	s_waitcnt lgkmcnt(0)
	s_barrier
	s_and_saveexec_b64 s[6:7], s[4:5]
	s_cbranch_execz .LBB160_69
; %bb.68:
	ds_read2_b64 v[30:33], v23 offset1:1
	ds_read2_b64 v[34:37], v23 offset0:2 offset1:3
	ds_read2_b64 v[38:41], v23 offset0:4 offset1:5
	s_waitcnt lgkmcnt(2)
	v_add_f64 v[26:27], v[26:27], v[30:31]
	v_add_f64 v[26:27], v[26:27], v[32:33]
	ds_read2_b64 v[30:33], v23 offset0:6 offset1:7
	s_waitcnt lgkmcnt(2)
	v_add_f64 v[26:27], v[26:27], v[34:35]
	v_add_f64 v[26:27], v[26:27], v[36:37]
	s_waitcnt lgkmcnt(1)
	v_add_f64 v[26:27], v[26:27], v[38:39]
	v_add_f64 v[26:27], v[26:27], v[40:41]
	;; [unrolled: 3-line block ×3, first 2 shown]
.LBB160_69:
	s_or_b64 exec, exec, s[6:7]
	v_fma_f64 v[8:9], v[20:21], v[8:9], 0
	v_fmac_f64_e32 v[8:9], v[4:5], v[10:11]
	v_fmac_f64_e32 v[8:9], v[6:7], v[0:1]
	;; [unrolled: 1-line block ×3, first 2 shown]
	s_barrier
	ds_write_b64 v28, v[8:9]
	s_waitcnt lgkmcnt(0)
	s_barrier
	s_and_saveexec_b64 s[4:5], s[12:13]
	s_cbranch_execz .LBB160_71
; %bb.70:
	ds_read2_b64 v[0:3], v23 offset1:1
	ds_read2_b64 v[4:7], v23 offset0:2 offset1:3
	ds_read2_b64 v[8:11], v23 offset0:4 offset1:5
	s_waitcnt lgkmcnt(2)
	v_add_f64 v[0:1], v[26:27], v[0:1]
	v_add_f64 v[18:19], v[0:1], v[2:3]
	ds_read2_b64 v[0:3], v23 offset0:6 offset1:7
	s_waitcnt lgkmcnt(2)
	v_add_f64 v[4:5], v[18:19], v[4:5]
	v_add_f64 v[4:5], v[4:5], v[6:7]
	s_waitcnt lgkmcnt(1)
	v_add_f64 v[4:5], v[4:5], v[8:9]
	v_add_f64 v[4:5], v[4:5], v[10:11]
	s_waitcnt lgkmcnt(0)
	v_add_f64 v[0:1], v[4:5], v[0:1]
	v_add_f64 v[26:27], v[0:1], v[2:3]
.LBB160_71:
	s_or_b64 exec, exec, s[4:5]
	s_mul_hi_u32 s4, s33, s24
	s_mul_i32 s36, s36, s24
	s_add_i32 s4, s4, s36
	s_mul_i32 s6, s33, s24
	s_mul_i32 s4, s4, s3
	s_mul_hi_u32 s5, s6, s3
	s_add_i32 s5, s5, s4
	s_mul_i32 s4, s6, s3
	s_lshl_b64 s[4:5], s[4:5], 3
	s_add_u32 s6, s28, s4
	s_addc_u32 s7, s29, s5
	s_mul_hi_i32 s5, s33, s2
	s_mul_i32 s4, s33, s2
	s_lshl_b64 s[4:5], s[4:5], 3
	s_add_u32 s8, s6, s4
	s_addc_u32 s9, s7, s5
	s_add_i32 s4, s2, 1
	s_cmp_ge_u32 s4, s3
	v_lshlrev_b32_e32 v28, 3, v122
	s_barrier
	s_cbranch_scc1 .LBB160_128
; %bb.72:
	s_mul_i32 s4, s26, s17
	s_mul_hi_u32 s5, s26, s16
	s_add_i32 s4, s5, s4
	s_mul_i32 s5, s27, s16
	s_add_i32 s5, s4, s5
	s_mul_i32 s4, s26, s16
	s_lshl_b64 s[4:5], s[4:5], 3
	v_mov_b32_e32 v0, s5
	v_subrev_co_u32_e32 v30, vcc, s4, v12
	v_and_b32_e32 v2, 48, v122
	s_nop 0
	v_subb_co_u32_e32 v31, vcc, v13, v0, vcc
	v_and_b32_e32 v0, 15, v122
	v_lshlrev_b32_e32 v3, 3, v2
	s_movk_i32 s4, 0x218
	v_lshrrev_b32_e32 v1, 4, v22
	v_mad_u32_u24 v127, v0, s4, v3
	v_or_b32_e32 v3, 0x78, v28
	v_mad_u32_u24 v128, v0, s4, v3
	v_lshlrev_b32_e32 v3, 5, v1
	v_lshlrev_b32_e32 v6, 5, v123
	v_mad_u32_u24 v129, v0, s4, v3
	s_movk_i32 s4, 0x860
	v_add_u32_e32 v3, 0x118, v6
	v_mad_u32_u24 v134, v123, s4, v28
	v_mul_i32_i24_e32 v7, 0xffffffe8, v1
	v_or_b32_e32 v147, v2, v0
	v_mad_u64_u32 v[0:1], s[4:5], s22, v3, 0
	v_mov_b32_e32 v2, v1
	v_mad_u64_u32 v[2:3], s[4:5], s23, v3, v[2:3]
	v_mov_b32_e32 v1, v2
	v_lshlrev_b64 v[2:3], 3, v[14:15]
	v_sub_co_u32_e32 v0, vcc, v0, v2
	v_add_u32_e32 v5, 0x110, v6
	s_nop 0
	v_subb_co_u32_e32 v1, vcc, v1, v3, vcc
	v_lshl_add_u64 v[32:33], v[16:17], 0, v[0:1]
	v_mad_u64_u32 v[0:1], s[4:5], s22, v5, 0
	v_mov_b32_e32 v4, v1
	v_mad_u64_u32 v[4:5], s[4:5], s23, v5, v[4:5]
	v_mov_b32_e32 v1, v4
	v_sub_co_u32_e32 v0, vcc, v0, v2
	v_add_u32_e32 v5, 0x108, v6
	s_nop 0
	v_subb_co_u32_e32 v1, vcc, v1, v3, vcc
	v_lshl_add_u64 v[34:35], v[16:17], 0, v[0:1]
	v_mad_u64_u32 v[0:1], s[4:5], s22, v5, 0
	v_mov_b32_e32 v4, v1
	v_mad_u64_u32 v[4:5], s[4:5], s23, v5, v[4:5]
	v_mov_b32_e32 v1, v4
	;; [unrolled: 9-line block ×15, first 2 shown]
	v_sub_co_u32_e32 v0, vcc, v0, v2
	v_lshlrev_b32_e32 v124, 2, v123
	s_nop 0
	v_subb_co_u32_e32 v1, vcc, v1, v3, vcc
	s_add_i32 s19, s3, -2
	v_add_u32_e32 v125, 0x2180, v28
	v_add_u32_e32 v126, 0x2380, v28
	v_cmp_gt_u32_e64 s[6:7], 64, v22
	v_or_b32_e32 v130, 1, v124
	v_or_b32_e32 v131, 2, v124
	;; [unrolled: 1-line block ×3, first 2 shown]
	v_add_u32_e32 v133, 0x2180, v6
	v_add_u32_e32 v135, 16, v124
	;; [unrolled: 1-line block ×13, first 2 shown]
	s_add_i32 s24, s26, 64
	v_mov_b32_e32 v29, 0
	s_lshl_b64 s[10:11], s[22:23], 9
	v_lshl_add_u64 v[62:63], v[16:17], 0, v[0:1]
	v_add_u32_e32 v148, v129, v7
	s_cmp_eq_u32 s19, s2
	s_cselect_b32 s22, s25, 0
	s_and_saveexec_b64 s[4:5], s[0:1]
	s_cbranch_execz .LBB160_76
.LBB160_73:
	s_cmp_eq_u32 s22, 0
	s_cselect_b64 s[12:13], -1, 0
	v_cmp_gt_i32_e32 vcc, s22, v122
	s_or_b64 s[14:15], s[12:13], vcc
	v_mov_b64_e32 v[0:1], 0
	s_and_saveexec_b64 s[12:13], s[14:15]
	s_cbranch_execz .LBB160_75
; %bb.74:
	s_ashr_i32 s14, s24, 31
	s_mul_i32 s15, s24, s17
	s_mul_hi_u32 s23, s24, s16
	s_add_i32 s15, s23, s15
	s_mul_i32 s14, s14, s16
	s_add_i32 s15, s15, s14
	s_mul_i32 s14, s24, s16
	v_lshl_add_u64 v[0:1], s[14:15], 3, v[30:31]
	flat_load_dwordx2 v[0:1], v[0:1]
.LBB160_75:
	s_or_b64 exec, exec, s[12:13]
	s_waitcnt vmcnt(0) lgkmcnt(0)
	ds_write_b64 v125, v[0:1]
.LBB160_76:                             ; =>This Inner Loop Header: Depth=1
	s_or_b64 exec, exec, s[4:5]
	s_cmp_eq_u32 s22, 0
	s_cselect_b64 s[12:13], -1, 0
	s_cmp_lg_u32 s22, 0
	s_cselect_b64 s[14:15], -1, 0
	v_lshl_add_u64 v[0:1], v[38:39], 0, v[28:29]
	s_and_b64 vcc, exec, s[14:15]
	s_waitcnt lgkmcnt(0)
	s_barrier
	s_cbranch_vccz .LBB160_124
; %bb.77:                               ;   in Loop: Header=BB160_76 Depth=1
	v_mov_b64_e32 v[64:65], 0
	v_cmp_gt_i32_e32 vcc, s22, v124
	v_mov_b64_e32 v[66:67], v[64:65]
	s_and_saveexec_b64 s[4:5], vcc
	s_cbranch_execz .LBB160_79
; %bb.78:                               ;   in Loop: Header=BB160_76 Depth=1
	flat_load_dwordx2 v[66:67], v[0:1]
.LBB160_79:                             ;   in Loop: Header=BB160_76 Depth=1
	s_or_b64 exec, exec, s[4:5]
	v_cmp_gt_i32_e32 vcc, s22, v130
	s_and_saveexec_b64 s[4:5], vcc
	s_cbranch_execz .LBB160_81
; %bb.80:                               ;   in Loop: Header=BB160_76 Depth=1
	v_lshl_add_u64 v[2:3], v[36:37], 0, v[28:29]
	flat_load_dwordx2 v[64:65], v[2:3]
.LBB160_81:                             ;   in Loop: Header=BB160_76 Depth=1
	s_or_b64 exec, exec, s[4:5]
	v_mov_b64_e32 v[68:69], 0
	v_cmp_gt_i32_e32 vcc, s22, v131
	v_mov_b64_e32 v[70:71], v[68:69]
	s_and_saveexec_b64 s[4:5], vcc
	s_cbranch_execz .LBB160_83
; %bb.82:                               ;   in Loop: Header=BB160_76 Depth=1
	v_lshl_add_u64 v[2:3], v[34:35], 0, v[28:29]
	flat_load_dwordx2 v[70:71], v[2:3]
.LBB160_83:                             ;   in Loop: Header=BB160_76 Depth=1
	s_or_b64 exec, exec, s[4:5]
	v_cmp_gt_i32_e32 vcc, s22, v132
	s_and_saveexec_b64 s[4:5], vcc
	s_cbranch_execz .LBB160_85
; %bb.84:                               ;   in Loop: Header=BB160_76 Depth=1
	v_lshl_add_u64 v[2:3], v[32:33], 0, v[28:29]
	flat_load_dwordx2 v[68:69], v[2:3]
.LBB160_85:                             ;   in Loop: Header=BB160_76 Depth=1
	s_or_b64 exec, exec, s[4:5]
	s_branch .LBB160_87
.LBB160_86:                             ;   in Loop: Header=BB160_76 Depth=1
	s_waitcnt vmcnt(0) lgkmcnt(0)
	flat_load_dwordx2 v[66:67], v[0:1]
	v_lshl_add_u64 v[0:1], v[36:37], 0, v[28:29]
	flat_load_dwordx2 v[64:65], v[0:1]
	v_lshl_add_u64 v[0:1], v[34:35], 0, v[28:29]
	;; [unrolled: 2-line block ×3, first 2 shown]
	flat_load_dwordx2 v[68:69], v[0:1]
.LBB160_87:                             ;   in Loop: Header=BB160_76 Depth=1
	ds_read_b64 v[0:1], v126
	ds_read_b64 v[72:73], v133
	v_cndmask_b32_e64 v8, 0, 1, s[14:15]
	v_cmp_ne_u32_e64 s[4:5], 1, v8
	s_andn2_b64 vcc, exec, s[14:15]
	s_waitcnt vmcnt(0) lgkmcnt(0)
	v_mul_f64 v[2:3], v[66:67], v[0:1]
	v_mul_f64 v[4:5], v[64:65], v[0:1]
	ds_write_b64 v134, v[2:3]
	v_mul_f64 v[6:7], v[70:71], v[0:1]
	ds_read_b64 v[74:75], v133 offset:8
	ds_write_b64 v134, v[4:5] offset:536
	ds_read_b64 v[76:77], v133 offset:16
	ds_write_b64 v134, v[6:7] offset:1072
	v_mul_f64 v[0:1], v[68:69], v[0:1]
	ds_read_b64 v[78:79], v133 offset:24
	ds_write_b64 v134, v[0:1] offset:1608
	s_waitcnt lgkmcnt(0)
	s_barrier
	ds_read2_b64 v[4:7], v129 offset1:1
	ds_read2_b64 v[0:3], v129 offset0:2 offset1:3
	v_lshl_add_u64 v[8:9], v[46:47], 0, v[28:29]
	s_waitcnt lgkmcnt(0)
	s_barrier
	s_cbranch_vccnz .LBB160_125
; %bb.88:                               ;   in Loop: Header=BB160_76 Depth=1
	v_mov_b64_e32 v[80:81], 0
	v_cmp_gt_i32_e32 vcc, s22, v135
	v_mov_b64_e32 v[82:83], v[80:81]
	s_and_saveexec_b64 s[14:15], vcc
	s_cbranch_execz .LBB160_90
; %bb.89:                               ;   in Loop: Header=BB160_76 Depth=1
	flat_load_dwordx2 v[82:83], v[8:9]
.LBB160_90:                             ;   in Loop: Header=BB160_76 Depth=1
	s_or_b64 exec, exec, s[14:15]
	v_cmp_gt_i32_e32 vcc, s22, v136
	s_and_saveexec_b64 s[14:15], vcc
	s_cbranch_execz .LBB160_92
; %bb.91:                               ;   in Loop: Header=BB160_76 Depth=1
	v_lshl_add_u64 v[10:11], v[44:45], 0, v[28:29]
	flat_load_dwordx2 v[80:81], v[10:11]
.LBB160_92:                             ;   in Loop: Header=BB160_76 Depth=1
	s_or_b64 exec, exec, s[14:15]
	v_mov_b64_e32 v[84:85], 0
	v_cmp_gt_i32_e32 vcc, s22, v137
	v_mov_b64_e32 v[86:87], v[84:85]
	s_and_saveexec_b64 s[14:15], vcc
	s_cbranch_execz .LBB160_94
; %bb.93:                               ;   in Loop: Header=BB160_76 Depth=1
	v_lshl_add_u64 v[10:11], v[42:43], 0, v[28:29]
	flat_load_dwordx2 v[86:87], v[10:11]
.LBB160_94:                             ;   in Loop: Header=BB160_76 Depth=1
	s_or_b64 exec, exec, s[14:15]
	v_cmp_gt_i32_e32 vcc, s22, v138
	s_and_saveexec_b64 s[14:15], vcc
	s_cbranch_execz .LBB160_96
; %bb.95:                               ;   in Loop: Header=BB160_76 Depth=1
	v_lshl_add_u64 v[10:11], v[40:41], 0, v[28:29]
	flat_load_dwordx2 v[84:85], v[10:11]
.LBB160_96:                             ;   in Loop: Header=BB160_76 Depth=1
	s_or_b64 exec, exec, s[14:15]
	s_branch .LBB160_98
.LBB160_97:                             ;   in Loop: Header=BB160_76 Depth=1
	s_waitcnt vmcnt(0) lgkmcnt(0)
	flat_load_dwordx2 v[82:83], v[8:9]
	v_lshl_add_u64 v[8:9], v[44:45], 0, v[28:29]
	flat_load_dwordx2 v[80:81], v[8:9]
	v_lshl_add_u64 v[8:9], v[42:43], 0, v[28:29]
	;; [unrolled: 2-line block ×3, first 2 shown]
	flat_load_dwordx2 v[84:85], v[8:9]
.LBB160_98:                             ;   in Loop: Header=BB160_76 Depth=1
	ds_read_b64 v[8:9], v126
	ds_read_b64 v[88:89], v133 offset:128
	s_and_b64 vcc, exec, s[4:5]
	v_lshl_add_u64 v[16:17], v[54:55], 0, v[28:29]
	s_waitcnt vmcnt(0) lgkmcnt(0)
	v_mul_f64 v[10:11], v[82:83], v[8:9]
	v_mul_f64 v[12:13], v[80:81], v[8:9]
	ds_write_b64 v134, v[10:11]
	v_mul_f64 v[14:15], v[86:87], v[8:9]
	ds_read_b64 v[90:91], v133 offset:136
	ds_write_b64 v134, v[12:13] offset:536
	ds_read_b64 v[92:93], v133 offset:144
	ds_write_b64 v134, v[14:15] offset:1072
	v_mul_f64 v[8:9], v[84:85], v[8:9]
	ds_read_b64 v[94:95], v133 offset:152
	ds_write_b64 v134, v[8:9] offset:1608
	s_waitcnt lgkmcnt(0)
	s_barrier
	ds_read2_b64 v[12:15], v129 offset1:1
	ds_read2_b64 v[8:11], v129 offset0:2 offset1:3
	s_waitcnt lgkmcnt(0)
	s_barrier
	s_cbranch_vccnz .LBB160_126
; %bb.99:                               ;   in Loop: Header=BB160_76 Depth=1
	v_mov_b64_e32 v[96:97], 0
	v_cmp_gt_i32_e32 vcc, s22, v139
	v_mov_b64_e32 v[98:99], v[96:97]
	s_and_saveexec_b64 s[14:15], vcc
	s_cbranch_execz .LBB160_101
; %bb.100:                              ;   in Loop: Header=BB160_76 Depth=1
	flat_load_dwordx2 v[98:99], v[16:17]
.LBB160_101:                            ;   in Loop: Header=BB160_76 Depth=1
	s_or_b64 exec, exec, s[14:15]
	v_cmp_gt_i32_e32 vcc, s22, v140
	s_and_saveexec_b64 s[14:15], vcc
	s_cbranch_execz .LBB160_103
; %bb.102:                              ;   in Loop: Header=BB160_76 Depth=1
	v_lshl_add_u64 v[18:19], v[52:53], 0, v[28:29]
	flat_load_dwordx2 v[96:97], v[18:19]
.LBB160_103:                            ;   in Loop: Header=BB160_76 Depth=1
	s_or_b64 exec, exec, s[14:15]
	v_mov_b64_e32 v[100:101], 0
	v_cmp_gt_i32_e32 vcc, s22, v141
	v_mov_b64_e32 v[102:103], v[100:101]
	s_and_saveexec_b64 s[14:15], vcc
	s_cbranch_execz .LBB160_105
; %bb.104:                              ;   in Loop: Header=BB160_76 Depth=1
	v_lshl_add_u64 v[18:19], v[50:51], 0, v[28:29]
	flat_load_dwordx2 v[102:103], v[18:19]
.LBB160_105:                            ;   in Loop: Header=BB160_76 Depth=1
	s_or_b64 exec, exec, s[14:15]
	v_cmp_gt_i32_e32 vcc, s22, v142
	s_and_saveexec_b64 s[14:15], vcc
	s_cbranch_execz .LBB160_107
; %bb.106:                              ;   in Loop: Header=BB160_76 Depth=1
	v_lshl_add_u64 v[18:19], v[48:49], 0, v[28:29]
	flat_load_dwordx2 v[100:101], v[18:19]
.LBB160_107:                            ;   in Loop: Header=BB160_76 Depth=1
	s_or_b64 exec, exec, s[14:15]
	s_branch .LBB160_109
.LBB160_108:                            ;   in Loop: Header=BB160_76 Depth=1
	s_waitcnt vmcnt(0) lgkmcnt(0)
	flat_load_dwordx2 v[98:99], v[16:17]
	v_lshl_add_u64 v[16:17], v[52:53], 0, v[28:29]
	flat_load_dwordx2 v[96:97], v[16:17]
	v_lshl_add_u64 v[16:17], v[50:51], 0, v[28:29]
	;; [unrolled: 2-line block ×3, first 2 shown]
	flat_load_dwordx2 v[100:101], v[16:17]
.LBB160_109:                            ;   in Loop: Header=BB160_76 Depth=1
	ds_read_b64 v[16:17], v126
	ds_read_b64 v[104:105], v133 offset:256
	s_and_b64 vcc, exec, s[4:5]
	v_lshl_add_u64 v[120:121], v[62:63], 0, v[28:29]
	s_waitcnt vmcnt(0) lgkmcnt(0)
	v_mul_f64 v[18:19], v[98:99], v[16:17]
	v_mul_f64 v[20:21], v[96:97], v[16:17]
	ds_write_b64 v134, v[18:19]
	v_mul_f64 v[22:23], v[102:103], v[16:17]
	ds_read_b64 v[106:107], v133 offset:264
	ds_write_b64 v134, v[20:21] offset:536
	ds_read_b64 v[108:109], v133 offset:272
	ds_write_b64 v134, v[22:23] offset:1072
	v_mul_f64 v[16:17], v[100:101], v[16:17]
	ds_read_b64 v[110:111], v133 offset:280
	ds_write_b64 v134, v[16:17] offset:1608
	s_waitcnt lgkmcnt(0)
	s_barrier
	ds_read2_b64 v[20:23], v129 offset1:1
	ds_read2_b64 v[16:19], v129 offset0:2 offset1:3
	s_waitcnt lgkmcnt(0)
	s_barrier
	s_cbranch_vccnz .LBB160_127
; %bb.110:                              ;   in Loop: Header=BB160_76 Depth=1
	v_mov_b64_e32 v[112:113], 0
	v_cmp_gt_i32_e32 vcc, s22, v143
	v_mov_b64_e32 v[114:115], v[112:113]
	s_and_saveexec_b64 s[4:5], vcc
	s_cbranch_execz .LBB160_112
; %bb.111:                              ;   in Loop: Header=BB160_76 Depth=1
	flat_load_dwordx2 v[114:115], v[120:121]
.LBB160_112:                            ;   in Loop: Header=BB160_76 Depth=1
	s_or_b64 exec, exec, s[4:5]
	v_cmp_gt_i32_e32 vcc, s22, v144
	s_and_saveexec_b64 s[4:5], vcc
	s_cbranch_execz .LBB160_114
; %bb.113:                              ;   in Loop: Header=BB160_76 Depth=1
	v_lshl_add_u64 v[112:113], v[60:61], 0, v[28:29]
	flat_load_dwordx2 v[112:113], v[112:113]
.LBB160_114:                            ;   in Loop: Header=BB160_76 Depth=1
	s_or_b64 exec, exec, s[4:5]
	v_mov_b64_e32 v[116:117], 0
	v_cmp_gt_i32_e32 vcc, s22, v145
	v_mov_b64_e32 v[118:119], v[116:117]
	s_and_saveexec_b64 s[4:5], vcc
	s_cbranch_execz .LBB160_116
; %bb.115:                              ;   in Loop: Header=BB160_76 Depth=1
	v_lshl_add_u64 v[118:119], v[58:59], 0, v[28:29]
	flat_load_dwordx2 v[118:119], v[118:119]
.LBB160_116:                            ;   in Loop: Header=BB160_76 Depth=1
	s_or_b64 exec, exec, s[4:5]
	v_cmp_gt_i32_e32 vcc, s22, v146
	s_and_saveexec_b64 s[4:5], vcc
	s_cbranch_execz .LBB160_118
; %bb.117:                              ;   in Loop: Header=BB160_76 Depth=1
	v_lshl_add_u64 v[116:117], v[56:57], 0, v[28:29]
	flat_load_dwordx2 v[116:117], v[116:117]
.LBB160_118:                            ;   in Loop: Header=BB160_76 Depth=1
	s_or_b64 exec, exec, s[4:5]
	s_branch .LBB160_120
.LBB160_119:                            ;   in Loop: Header=BB160_76 Depth=1
	s_waitcnt vmcnt(0) lgkmcnt(0)
	v_lshl_add_u64 v[116:117], v[58:59], 0, v[28:29]
	v_lshl_add_u64 v[112:113], v[60:61], 0, v[28:29]
	flat_load_dwordx2 v[118:119], v[116:117]
	v_lshl_add_u64 v[116:117], v[56:57], 0, v[28:29]
	flat_load_dwordx2 v[114:115], v[120:121]
	s_nop 0
	flat_load_dwordx2 v[112:113], v[112:113]
	s_nop 0
	flat_load_dwordx2 v[116:117], v[116:117]
.LBB160_120:                            ;   in Loop: Header=BB160_76 Depth=1
	v_add_f64 v[12:13], v[12:13], 0
	v_add_f64 v[12:13], v[12:13], v[14:15]
	ds_read_b64 v[14:15], v126
	v_add_f64 v[20:21], v[20:21], 0
	v_add_f64 v[20:21], v[20:21], v[22:23]
	;; [unrolled: 1-line block ×7, first 2 shown]
	ds_read_b64 v[4:5], v133 offset:384
	s_waitcnt vmcnt(0) lgkmcnt(0)
	v_mul_f64 v[8:9], v[114:115], v[14:15]
	ds_write_b64 v134, v[8:9]
	v_mul_f64 v[10:11], v[112:113], v[14:15]
	ds_read_b64 v[8:9], v133 offset:392
	ds_write_b64 v134, v[10:11] offset:536
	v_mul_f64 v[12:13], v[118:119], v[14:15]
	ds_read_b64 v[10:11], v133 offset:400
	ds_write_b64 v134, v[12:13] offset:1072
	;; [unrolled: 3-line block ×3, first 2 shown]
	s_waitcnt lgkmcnt(0)
	s_barrier
	ds_read2_b64 v[14:17], v129 offset1:1
	v_add_f64 v[6:7], v[18:19], v[6:7]
	ds_read2_b64 v[18:21], v129 offset0:2 offset1:3
	v_add_f64 v[0:1], v[6:7], v[0:1]
	v_add_f64 v[0:1], v[0:1], v[2:3]
	s_waitcnt lgkmcnt(1)
	v_add_f64 v[2:3], v[14:15], 0
	v_cmp_gt_i32_e32 vcc, s22, v122
	v_add_f64 v[2:3], v[2:3], v[16:17]
	s_or_b64 s[4:5], s[12:13], vcc
	s_waitcnt lgkmcnt(0)
	v_add_f64 v[2:3], v[2:3], v[18:19]
	s_and_b64 s[12:13], s[6:7], s[4:5]
	v_add_f64 v[2:3], v[2:3], v[20:21]
	s_barrier
	ds_write2_b64 v148, v[0:1], v[120:121] offset1:16
	ds_write2_b64 v148, v[22:23], v[2:3] offset0:32 offset1:48
	s_waitcnt lgkmcnt(0)
	s_barrier
	s_and_saveexec_b64 s[4:5], s[12:13]
	s_cbranch_execz .LBB160_122
; %bb.121:                              ;   in Loop: Header=BB160_76 Depth=1
	ds_read2_b64 v[0:3], v127 offset1:1
	ds_read2_b64 v[14:17], v127 offset0:2 offset1:3
	ds_read2_b64 v[18:21], v127 offset0:4 offset1:5
	;; [unrolled: 1-line block ×3, first 2 shown]
	s_waitcnt lgkmcnt(3)
	v_add_f64 v[0:1], v[0:1], v[2:3]
	s_waitcnt lgkmcnt(2)
	v_add_f64 v[0:1], v[0:1], v[14:15]
	v_add_f64 v[0:1], v[0:1], v[16:17]
	s_waitcnt lgkmcnt(1)
	v_add_f64 v[6:7], v[0:1], v[18:19]
	ds_read2_b64 v[0:3], v127 offset0:8 offset1:9
	ds_read2_b64 v[14:17], v127 offset0:10 offset1:11
	v_add_f64 v[6:7], v[6:7], v[20:21]
	s_waitcnt lgkmcnt(2)
	v_add_f64 v[6:7], v[6:7], v[150:151]
	v_add_f64 v[6:7], v[6:7], v[152:153]
	s_waitcnt lgkmcnt(1)
	v_add_f64 v[0:1], v[6:7], v[0:1]
	v_add_f64 v[6:7], v[0:1], v[2:3]
	ds_read2_b64 v[0:3], v127 offset0:12 offset1:13
	s_waitcnt lgkmcnt(1)
	v_add_f64 v[6:7], v[6:7], v[14:15]
	ds_read_b64 v[14:15], v127 offset:112
	ds_read_b64 v[18:19], v128
	v_add_f64 v[6:7], v[6:7], v[16:17]
	s_waitcnt lgkmcnt(2)
	v_add_f64 v[0:1], v[6:7], v[0:1]
	v_add_f64 v[0:1], v[0:1], v[2:3]
	v_add_u32_e32 v2, s24, v147
	s_waitcnt lgkmcnt(1)
	v_add_f64 v[0:1], v[0:1], v[14:15]
	v_ashrrev_i32_e32 v3, 31, v2
	s_waitcnt lgkmcnt(0)
	v_add_f64 v[0:1], v[0:1], v[18:19]
	v_lshl_add_u64 v[2:3], v[2:3], 3, s[8:9]
	global_store_dwordx2 v[2:3], v[0:1], off
.LBB160_122:                            ;   in Loop: Header=BB160_76 Depth=1
	s_or_b64 exec, exec, s[4:5]
	v_fmac_f64_e32 v[26:27], v[66:67], v[72:73]
	v_fmac_f64_e32 v[26:27], v[64:65], v[74:75]
	;; [unrolled: 1-line block ×15, first 2 shown]
	s_add_i32 s4, s2, 1
	s_add_i32 s24, s24, 64
	;; [unrolled: 1-line block ×3, first 2 shown]
	v_fmac_f64_e32 v[26:27], v[116:117], v[12:13]
	v_lshl_add_u64 v[32:33], v[32:33], 0, s[10:11]
	v_lshl_add_u64 v[34:35], v[34:35], 0, s[10:11]
	;; [unrolled: 1-line block ×15, first 2 shown]
	s_cmp_ge_u32 s2, s3
	v_lshl_add_u64 v[62:63], v[62:63], 0, s[10:11]
	s_barrier
	s_cbranch_scc1 .LBB160_128
; %bb.123:                              ;   in Loop: Header=BB160_76 Depth=1
	s_mov_b32 s2, s4
	s_cmp_eq_u32 s19, s2
	s_cselect_b32 s22, s25, 0
	s_and_saveexec_b64 s[4:5], s[0:1]
	s_cbranch_execnz .LBB160_73
	s_branch .LBB160_76
.LBB160_124:                            ;   in Loop: Header=BB160_76 Depth=1
                                        ; implicit-def: $vgpr68_vgpr69
                                        ; implicit-def: $vgpr70_vgpr71
                                        ; implicit-def: $vgpr64_vgpr65
                                        ; implicit-def: $vgpr66_vgpr67
	s_cbranch_execnz .LBB160_86
	s_branch .LBB160_87
.LBB160_125:                            ;   in Loop: Header=BB160_76 Depth=1
                                        ; implicit-def: $vgpr84_vgpr85
                                        ; implicit-def: $vgpr86_vgpr87
                                        ; implicit-def: $vgpr80_vgpr81
                                        ; implicit-def: $vgpr82_vgpr83
	s_cbranch_execnz .LBB160_97
	s_branch .LBB160_98
.LBB160_126:                            ;   in Loop: Header=BB160_76 Depth=1
                                        ; implicit-def: $vgpr100_vgpr101
                                        ; implicit-def: $vgpr102_vgpr103
                                        ; implicit-def: $vgpr96_vgpr97
                                        ; implicit-def: $vgpr98_vgpr99
	s_cbranch_execnz .LBB160_108
	s_branch .LBB160_109
.LBB160_127:                            ;   in Loop: Header=BB160_76 Depth=1
                                        ; implicit-def: $vgpr116_vgpr117
                                        ; implicit-def: $vgpr118_vgpr119
                                        ; implicit-def: $vgpr112_vgpr113
                                        ; implicit-def: $vgpr114_vgpr115
	s_cbranch_execnz .LBB160_119
	s_branch .LBB160_120
.LBB160_128:
	s_movk_i32 s2, 0x218
	v_cmp_gt_i32_e32 vcc, s18, v122
	v_mad_u32_u24 v0, v123, s2, v28
	s_or_b64 s[2:3], s[20:21], vcc
	s_and_b64 s[0:1], s[0:1], s[2:3]
	ds_write_b64 v0, v[26:27]
	s_waitcnt lgkmcnt(0)
	s_barrier
	s_and_saveexec_b64 s[2:3], s[0:1]
	s_cbranch_execz .LBB160_130
; %bb.129:
	ds_read2_b64 v[0:3], v28 offset1:67
	ds_read2_b64 v[4:7], v28 offset0:134 offset1:201
	s_waitcnt lgkmcnt(1)
	v_add_f64 v[0:1], v[0:1], v[2:3]
	s_waitcnt lgkmcnt(0)
	v_add_f64 v[0:1], v[0:1], v[4:5]
	v_add_f64 v[0:1], v[0:1], v[6:7]
	v_lshl_add_u64 v[2:3], v[24:25], 3, s[8:9]
	global_store_dwordx2 v[2:3], v[0:1], off
.LBB160_130:
	s_endpgm
	.section	.rodata,"a",@progbits
	.p2align	6, 0x0
	.amdhsa_kernel _ZL26rocblas_hemvn_kernel_upperILb0ELi64ELi4ELi33ELi32ELi16ElPKdPKS1_PdEviT6_lT7_lT5_lS6_lS7_lS5_lT8_i
		.amdhsa_group_segment_fixed_size 9600
		.amdhsa_private_segment_fixed_size 0
		.amdhsa_kernarg_size 376
		.amdhsa_user_sgpr_count 2
		.amdhsa_user_sgpr_dispatch_ptr 0
		.amdhsa_user_sgpr_queue_ptr 0
		.amdhsa_user_sgpr_kernarg_segment_ptr 1
		.amdhsa_user_sgpr_dispatch_id 0
		.amdhsa_user_sgpr_kernarg_preload_length 0
		.amdhsa_user_sgpr_kernarg_preload_offset 0
		.amdhsa_user_sgpr_private_segment_size 0
		.amdhsa_uses_dynamic_stack 0
		.amdhsa_enable_private_segment 0
		.amdhsa_system_sgpr_workgroup_id_x 1
		.amdhsa_system_sgpr_workgroup_id_y 0
		.amdhsa_system_sgpr_workgroup_id_z 1
		.amdhsa_system_sgpr_workgroup_info 0
		.amdhsa_system_vgpr_workitem_id 1
		.amdhsa_next_free_vgpr 154
		.amdhsa_next_free_sgpr 39
		.amdhsa_accum_offset 156
		.amdhsa_reserve_vcc 1
		.amdhsa_float_round_mode_32 0
		.amdhsa_float_round_mode_16_64 0
		.amdhsa_float_denorm_mode_32 3
		.amdhsa_float_denorm_mode_16_64 3
		.amdhsa_dx10_clamp 1
		.amdhsa_ieee_mode 1
		.amdhsa_fp16_overflow 0
		.amdhsa_tg_split 0
		.amdhsa_exception_fp_ieee_invalid_op 0
		.amdhsa_exception_fp_denorm_src 0
		.amdhsa_exception_fp_ieee_div_zero 0
		.amdhsa_exception_fp_ieee_overflow 0
		.amdhsa_exception_fp_ieee_underflow 0
		.amdhsa_exception_fp_ieee_inexact 0
		.amdhsa_exception_int_div_zero 0
	.end_amdhsa_kernel
	.section	.text._ZL26rocblas_hemvn_kernel_upperILb0ELi64ELi4ELi33ELi32ELi16ElPKdPKS1_PdEviT6_lT7_lT5_lS6_lS7_lS5_lT8_i,"axG",@progbits,_ZL26rocblas_hemvn_kernel_upperILb0ELi64ELi4ELi33ELi32ELi16ElPKdPKS1_PdEviT6_lT7_lT5_lS6_lS7_lS5_lT8_i,comdat
.Lfunc_end160:
	.size	_ZL26rocblas_hemvn_kernel_upperILb0ELi64ELi4ELi33ELi32ELi16ElPKdPKS1_PdEviT6_lT7_lT5_lS6_lS7_lS5_lT8_i, .Lfunc_end160-_ZL26rocblas_hemvn_kernel_upperILb0ELi64ELi4ELi33ELi32ELi16ElPKdPKS1_PdEviT6_lT7_lT5_lS6_lS7_lS5_lT8_i
                                        ; -- End function
	.section	.AMDGPU.csdata,"",@progbits
; Kernel info:
; codeLenInByte = 7256
; NumSgprs: 45
; NumVgprs: 154
; NumAgprs: 0
; TotalNumVgprs: 154
; ScratchSize: 0
; MemoryBound: 0
; FloatMode: 240
; IeeeMode: 1
; LDSByteSize: 9600 bytes/workgroup (compile time only)
; SGPRBlocks: 5
; VGPRBlocks: 19
; NumSGPRsForWavesPerEU: 45
; NumVGPRsForWavesPerEU: 154
; AccumOffset: 156
; Occupancy: 3
; WaveLimiterHint : 1
; COMPUTE_PGM_RSRC2:SCRATCH_EN: 0
; COMPUTE_PGM_RSRC2:USER_SGPR: 2
; COMPUTE_PGM_RSRC2:TRAP_HANDLER: 0
; COMPUTE_PGM_RSRC2:TGID_X_EN: 1
; COMPUTE_PGM_RSRC2:TGID_Y_EN: 0
; COMPUTE_PGM_RSRC2:TGID_Z_EN: 1
; COMPUTE_PGM_RSRC2:TIDIG_COMP_CNT: 1
; COMPUTE_PGM_RSRC3_GFX90A:ACCUM_OFFSET: 38
; COMPUTE_PGM_RSRC3_GFX90A:TG_SPLIT: 0
	.section	.text._ZL36rocblas_hemvn_kernel_upper_block_sumILi64ElPKdPKPddEviT1_lS5_lT2_lT0_lPT3_i,"axG",@progbits,_ZL36rocblas_hemvn_kernel_upper_block_sumILi64ElPKdPKPddEviT1_lS5_lT2_lT0_lPT3_i,comdat
	.globl	_ZL36rocblas_hemvn_kernel_upper_block_sumILi64ElPKdPKPddEviT1_lS5_lT2_lT0_lPT3_i ; -- Begin function _ZL36rocblas_hemvn_kernel_upper_block_sumILi64ElPKdPKPddEviT1_lS5_lT2_lT0_lPT3_i
	.p2align	8
	.type	_ZL36rocblas_hemvn_kernel_upper_block_sumILi64ElPKdPKPddEviT1_lS5_lT2_lT0_lPT3_i,@function
_ZL36rocblas_hemvn_kernel_upper_block_sumILi64ElPKdPKPddEviT1_lS5_lT2_lT0_lPT3_i: ; @_ZL36rocblas_hemvn_kernel_upper_block_sumILi64ElPKdPKPddEviT1_lS5_lT2_lT0_lPT3_i
; %bb.0:
	s_load_dwordx8 s[8:15], s[0:1], 0x8
	s_mov_b32 s16, s3
	s_waitcnt lgkmcnt(0)
	s_mul_i32 s3, s3, s11
	s_mul_hi_u32 s4, s16, s10
	s_add_i32 s5, s4, s3
	s_mul_i32 s4, s16, s10
	s_lshl_b64 s[4:5], s[4:5], 3
	s_add_u32 s4, s8, s4
	s_addc_u32 s5, s9, s5
	s_load_dwordx2 s[8:9], s[4:5], 0x0
	s_mul_i32 s3, s16, s15
	s_mul_hi_u32 s4, s16, s14
	s_add_i32 s5, s4, s3
	s_mul_i32 s4, s16, s14
	s_lshl_b64 s[4:5], s[4:5], 3
	s_add_u32 s4, s12, s4
	s_addc_u32 s5, s13, s5
	s_load_dwordx2 s[12:13], s[4:5], 0x0
	s_waitcnt lgkmcnt(0)
	v_cmp_eq_f64_e64 s[4:5], s[8:9], 0
	v_cmp_eq_f64_e64 s[6:7], s[12:13], 1.0
	s_and_b64 s[4:5], s[4:5], s[6:7]
	s_and_b64 vcc, exec, s[4:5]
	s_cbranch_vccnz .LBB161_19
; %bb.1:
	s_load_dwordx2 s[10:11], s[0:1], 0x28
	s_mov_b32 s17, 0
	s_lshl_b64 s[14:15], s[16:17], 3
	s_load_dword s18, s[0:1], 0x0
	s_load_dwordx4 s[4:7], s[0:1], 0x30
	v_lshl_or_b32 v0, s2, 6, v0
	s_waitcnt lgkmcnt(0)
	s_add_u32 s10, s10, s14
	s_addc_u32 s11, s11, s15
	s_load_dwordx2 s[10:11], s[10:11], 0x0
	s_lshl_b64 s[4:5], s[4:5], 3
	v_cmp_neq_f64_e64 s[20:21], s[8:9], 0
	s_mov_b64 s[14:15], 0
	s_waitcnt lgkmcnt(0)
	s_add_u32 s10, s10, s4
	s_addc_u32 s11, s11, s5
	s_and_b64 vcc, exec, s[20:21]
	v_cmp_gt_i32_e64 s[4:5], s18, v0
	s_cbranch_vccnz .LBB161_6
; %bb.2:
	s_mov_b64 s[20:21], 0
                                        ; implicit-def: $vgpr2_vgpr3
                                        ; implicit-def: $vgpr4_vgpr5
	s_and_saveexec_b64 s[22:23], s[4:5]
	s_cbranch_execz .LBB161_7
; %bb.3:
	v_ashrrev_i32_e32 v1, 31, v0
	v_cmp_eq_f64_e64 s[4:5], s[12:13], 0
	v_mul_lo_u32 v6, v0, s7
	v_mul_lo_u32 v1, v1, s6
	v_mad_u64_u32 v[4:5], s[14:15], v0, s6, 0
	v_mov_b64_e32 v[2:3], 0
	v_add3_u32 v5, v5, v6, v1
	s_and_b64 vcc, exec, s[4:5]
	s_cbranch_vccnz .LBB161_5
; %bb.4:
	v_lshl_add_u64 v[2:3], v[4:5], 3, s[10:11]
	global_load_dwordx2 v[2:3], v[2:3], off
	s_waitcnt vmcnt(0)
	v_mul_f64 v[2:3], s[12:13], v[2:3]
.LBB161_5:
	s_mov_b64 s[14:15], exec
	s_or_b64 exec, exec, s[22:23]
	s_and_b64 vcc, exec, s[20:21]
	s_cbranch_vccnz .LBB161_8
	s_branch .LBB161_17
.LBB161_6:
                                        ; implicit-def: $vgpr2_vgpr3
                                        ; implicit-def: $vgpr4_vgpr5
	s_cbranch_execnz .LBB161_8
	s_branch .LBB161_17
.LBB161_7:
	s_or_b64 exec, exec, s[22:23]
	s_and_b64 vcc, exec, s[20:21]
	s_cbranch_vccz .LBB161_17
.LBB161_8:
	v_cmp_gt_i32_e32 vcc, s18, v0
                                        ; implicit-def: $vgpr2_vgpr3
                                        ; implicit-def: $vgpr4_vgpr5
	s_and_saveexec_b64 s[4:5], vcc
	s_cbranch_execz .LBB161_16
; %bb.9:
	v_ashrrev_i32_e32 v1, 31, v0
	s_cmp_lt_i32 s2, 0
	v_mov_b64_e32 v[6:7], 0
	s_cbranch_scc1 .LBB161_12
; %bb.10:
	s_load_dwordx2 s[20:21], s[0:1], 0x48
	s_load_dword s3, s[0:1], 0x58
	s_ashr_i32 s19, s18, 31
	s_mul_hi_u32 s0, s18, s16
	s_mul_i32 s1, s19, s16
	s_add_i32 s0, s0, s1
	s_mul_i32 s16, s18, s16
	s_waitcnt lgkmcnt(0)
	s_mul_i32 s0, s0, s3
	s_mul_hi_u32 s1, s16, s3
	s_add_i32 s1, s1, s0
	s_mul_i32 s0, s16, s3
	s_lshl_b64 s[0:1], s[0:1], 3
	s_add_u32 s0, s20, s0
	s_addc_u32 s1, s21, s1
	v_lshl_add_u64 v[2:3], v[0:1], 3, s[0:1]
	s_add_i32 s2, s2, 1
	s_lshl_b64 s[0:1], s[18:19], 3
	v_mov_b64_e32 v[6:7], 0
.LBB161_11:                             ; =>This Inner Loop Header: Depth=1
	global_load_dwordx2 v[4:5], v[2:3], off
	s_add_i32 s2, s2, -1
	v_lshl_add_u64 v[2:3], v[2:3], 0, s[0:1]
	s_cmp_eq_u32 s2, 0
	s_waitcnt vmcnt(0)
	v_add_f64 v[6:7], v[6:7], v[4:5]
	s_cbranch_scc0 .LBB161_11
.LBB161_12:
	v_cmp_eq_f64_e64 s[2:3], s[12:13], 0
	s_mov_b64 s[0:1], 0
	s_and_b64 vcc, exec, s[2:3]
	v_mul_lo_u32 v1, v1, s6
	v_mul_lo_u32 v8, v0, s7
	s_cbranch_vccz .LBB161_20
; %bb.13:
	v_mad_u64_u32 v[4:5], s[2:3], v0, s6, 0
	v_mul_f64 v[2:3], s[8:9], v[6:7]
	v_add3_u32 v5, v5, v8, v1
	s_andn2_b64 vcc, exec, s[0:1]
	s_cbranch_vccnz .LBB161_15
.LBB161_14:
	v_mad_u64_u32 v[4:5], s[0:1], v0, s6, 0
	v_add3_u32 v5, v5, v8, v1
	v_lshl_add_u64 v[0:1], v[4:5], 3, s[10:11]
	global_load_dwordx2 v[0:1], v[0:1], off
	s_waitcnt vmcnt(0)
	v_mul_f64 v[2:3], s[12:13], v[0:1]
	v_fmac_f64_e32 v[2:3], s[8:9], v[6:7]
.LBB161_15:
	s_or_b64 s[14:15], s[14:15], exec
.LBB161_16:
	s_or_b64 exec, exec, s[4:5]
.LBB161_17:
	s_and_saveexec_b64 s[0:1], s[14:15]
	s_cbranch_execz .LBB161_19
; %bb.18:
	v_lshl_add_u64 v[0:1], v[4:5], 3, s[10:11]
	global_store_dwordx2 v[0:1], v[2:3], off
.LBB161_19:
	s_endpgm
.LBB161_20:
                                        ; implicit-def: $vgpr2_vgpr3
                                        ; implicit-def: $vgpr4_vgpr5
	s_branch .LBB161_14
	.section	.rodata,"a",@progbits
	.p2align	6, 0x0
	.amdhsa_kernel _ZL36rocblas_hemvn_kernel_upper_block_sumILi64ElPKdPKPddEviT1_lS5_lT2_lT0_lPT3_i
		.amdhsa_group_segment_fixed_size 0
		.amdhsa_private_segment_fixed_size 0
		.amdhsa_kernarg_size 344
		.amdhsa_user_sgpr_count 2
		.amdhsa_user_sgpr_dispatch_ptr 0
		.amdhsa_user_sgpr_queue_ptr 0
		.amdhsa_user_sgpr_kernarg_segment_ptr 1
		.amdhsa_user_sgpr_dispatch_id 0
		.amdhsa_user_sgpr_kernarg_preload_length 0
		.amdhsa_user_sgpr_kernarg_preload_offset 0
		.amdhsa_user_sgpr_private_segment_size 0
		.amdhsa_uses_dynamic_stack 0
		.amdhsa_enable_private_segment 0
		.amdhsa_system_sgpr_workgroup_id_x 1
		.amdhsa_system_sgpr_workgroup_id_y 0
		.amdhsa_system_sgpr_workgroup_id_z 1
		.amdhsa_system_sgpr_workgroup_info 0
		.amdhsa_system_vgpr_workitem_id 0
		.amdhsa_next_free_vgpr 9
		.amdhsa_next_free_sgpr 24
		.amdhsa_accum_offset 12
		.amdhsa_reserve_vcc 1
		.amdhsa_float_round_mode_32 0
		.amdhsa_float_round_mode_16_64 0
		.amdhsa_float_denorm_mode_32 3
		.amdhsa_float_denorm_mode_16_64 3
		.amdhsa_dx10_clamp 1
		.amdhsa_ieee_mode 1
		.amdhsa_fp16_overflow 0
		.amdhsa_tg_split 0
		.amdhsa_exception_fp_ieee_invalid_op 0
		.amdhsa_exception_fp_denorm_src 0
		.amdhsa_exception_fp_ieee_div_zero 0
		.amdhsa_exception_fp_ieee_overflow 0
		.amdhsa_exception_fp_ieee_underflow 0
		.amdhsa_exception_fp_ieee_inexact 0
		.amdhsa_exception_int_div_zero 0
	.end_amdhsa_kernel
	.section	.text._ZL36rocblas_hemvn_kernel_upper_block_sumILi64ElPKdPKPddEviT1_lS5_lT2_lT0_lPT3_i,"axG",@progbits,_ZL36rocblas_hemvn_kernel_upper_block_sumILi64ElPKdPKPddEviT1_lS5_lT2_lT0_lPT3_i,comdat
.Lfunc_end161:
	.size	_ZL36rocblas_hemvn_kernel_upper_block_sumILi64ElPKdPKPddEviT1_lS5_lT2_lT0_lPT3_i, .Lfunc_end161-_ZL36rocblas_hemvn_kernel_upper_block_sumILi64ElPKdPKPddEviT1_lS5_lT2_lT0_lPT3_i
                                        ; -- End function
	.section	.AMDGPU.csdata,"",@progbits
; Kernel info:
; codeLenInByte = 672
; NumSgprs: 30
; NumVgprs: 9
; NumAgprs: 0
; TotalNumVgprs: 9
; ScratchSize: 0
; MemoryBound: 0
; FloatMode: 240
; IeeeMode: 1
; LDSByteSize: 0 bytes/workgroup (compile time only)
; SGPRBlocks: 3
; VGPRBlocks: 1
; NumSGPRsForWavesPerEU: 30
; NumVGPRsForWavesPerEU: 9
; AccumOffset: 12
; Occupancy: 8
; WaveLimiterHint : 1
; COMPUTE_PGM_RSRC2:SCRATCH_EN: 0
; COMPUTE_PGM_RSRC2:USER_SGPR: 2
; COMPUTE_PGM_RSRC2:TRAP_HANDLER: 0
; COMPUTE_PGM_RSRC2:TGID_X_EN: 1
; COMPUTE_PGM_RSRC2:TGID_Y_EN: 0
; COMPUTE_PGM_RSRC2:TGID_Z_EN: 1
; COMPUTE_PGM_RSRC2:TIDIG_COMP_CNT: 0
; COMPUTE_PGM_RSRC3_GFX90A:ACCUM_OFFSET: 2
; COMPUTE_PGM_RSRC3_GFX90A:TG_SPLIT: 0
	.section	.text._ZL26rocblas_hemvn_kernel_upperILb0ELi64ELi4ELi33ELi32ELi16EiPKdPKS1_PdEviT6_lT7_lT5_lS6_lS7_lS5_lT8_i,"axG",@progbits,_ZL26rocblas_hemvn_kernel_upperILb0ELi64ELi4ELi33ELi32ELi16EiPKdPKS1_PdEviT6_lT7_lT5_lS6_lS7_lS5_lT8_i,comdat
	.globl	_ZL26rocblas_hemvn_kernel_upperILb0ELi64ELi4ELi33ELi32ELi16EiPKdPKS1_PdEviT6_lT7_lT5_lS6_lS7_lS5_lT8_i ; -- Begin function _ZL26rocblas_hemvn_kernel_upperILb0ELi64ELi4ELi33ELi32ELi16EiPKdPKS1_PdEviT6_lT7_lT5_lS6_lS7_lS5_lT8_i
	.p2align	8
	.type	_ZL26rocblas_hemvn_kernel_upperILb0ELi64ELi4ELi33ELi32ELi16EiPKdPKS1_PdEviT6_lT7_lT5_lS6_lS7_lS5_lT8_i,@function
_ZL26rocblas_hemvn_kernel_upperILb0ELi64ELi4ELi33ELi32ELi16EiPKdPKS1_PdEviT6_lT7_lT5_lS6_lS7_lS5_lT8_i: ; @_ZL26rocblas_hemvn_kernel_upperILb0ELi64ELi4ELi33ELi32ELi16EiPKdPKS1_PdEviT6_lT7_lT5_lS6_lS7_lS5_lT8_i
; %bb.0:
	s_load_dwordx2 s[4:5], s[0:1], 0x84
	s_add_u32 s12, s0, 0x78
	s_mov_b32 s22, s3
	s_addc_u32 s13, s1, 0
	s_waitcnt lgkmcnt(0)
	s_and_b32 s3, s5, 0xffff
	s_lshr_b32 s5, s4, 16
	s_and_b32 s4, s4, 0xffff
	s_mul_i32 s4, s5, s4
	s_mul_i32 s4, s4, s3
	s_cmpk_lg_i32 s4, 0x100
	s_cbranch_scc1 .LBB162_130
; %bb.1:
	s_load_dwordx8 s[4:11], s[0:1], 0x8
	s_load_dwordx4 s[16:19], s[0:1], 0x58
	s_waitcnt lgkmcnt(0)
	s_mul_i32 s3, s22, s7
	s_mul_hi_u32 s7, s22, s6
	s_mul_i32 s6, s22, s6
	s_add_i32 s7, s7, s3
	s_lshl_b64 s[6:7], s[6:7], 3
	s_mul_i32 s14, s22, s19
	s_add_u32 s4, s4, s6
	s_mul_hi_u32 s3, s22, s18
	s_addc_u32 s5, s5, s7
	s_add_i32 s7, s3, s14
	s_mul_i32 s6, s22, s18
	s_lshl_b64 s[6:7], s[6:7], 3
	s_add_u32 s6, s16, s6
	s_addc_u32 s7, s17, s7
	s_load_dwordx2 s[4:5], s[4:5], 0x0
	s_nop 0
	s_load_dwordx2 s[14:15], s[6:7], 0x0
	s_waitcnt lgkmcnt(0)
	v_cmp_eq_f64_e64 s[6:7], s[4:5], 0
	v_cmp_eq_f64_e64 s[14:15], s[14:15], 1.0
	s_and_b64 s[14:15], s[6:7], s[14:15]
	s_and_b64 vcc, exec, s[14:15]
	s_cbranch_vccnz .LBB162_130
; %bb.2:
	s_mov_b32 s23, 0
	s_mov_b64 s[14:15], 0
	v_cmp_neq_f64_e64 s[16:17], s[4:5], 0
	s_and_b64 vcc, exec, s[6:7]
	s_mov_b64 s[6:7], 0
	s_cbranch_vccnz .LBB162_4
; %bb.3:
	s_lshl_b64 s[4:5], s[22:23], 3
	s_add_u32 s4, s8, s4
	s_addc_u32 s5, s9, s5
	s_load_dwordx2 s[4:5], s[4:5], 0x0
	s_lshl_b64 s[6:7], s[10:11], 3
	s_waitcnt lgkmcnt(0)
	s_add_u32 s6, s4, s6
	s_addc_u32 s7, s5, s7
.LBB162_4:
	v_cndmask_b32_e64 v1, 0, 1, s[16:17]
	v_cmp_ne_u32_e64 s[4:5], 1, v1
	s_andn2_b64 vcc, exec, s[16:17]
	s_cbranch_vccnz .LBB162_6
; %bb.5:
	s_load_dwordx4 s[8:11], s[0:1], 0x38
	s_lshl_b64 s[14:15], s[22:23], 3
	s_waitcnt lgkmcnt(0)
	s_add_u32 s8, s8, s14
	s_addc_u32 s9, s9, s15
	s_load_dwordx2 s[8:9], s[8:9], 0x0
	s_lshl_b64 s[10:11], s[10:11], 3
	s_waitcnt lgkmcnt(0)
	s_add_u32 s14, s8, s10
	s_addc_u32 s15, s9, s11
.LBB162_6:
	s_and_b64 vcc, exec, s[4:5]
	s_cbranch_vccnz .LBB162_130
; %bb.7:
	s_load_dword s3, s[12:13], 0x0
	s_load_dword s23, s[0:1], 0x0
	s_load_dwordx2 s[26:27], s[0:1], 0x68
	s_load_dword s36, s[0:1], 0x48
	v_and_b32_e32 v26, 0x3ff, v0
	s_lshl_b32 s24, s2, 6
	s_waitcnt lgkmcnt(0)
	s_ashr_i32 s37, s23, 31
	s_lshr_b32 s5, s37, 26
	s_add_i32 s5, s23, s5
	s_andn2_b32 s5, s5, 63
	v_add_u32_e32 v24, s24, v26
	v_bfe_u32 v25, v0, 10, 10
	s_add_i32 s4, s3, -1
	s_sub_i32 s33, s23, s5
	v_mul_lo_u32 v0, v24, s36
	s_cmp_eq_u32 s2, s4
	v_ashrrev_i32_e32 v1, 31, v0
	s_cselect_b32 s16, s33, 0
	v_lshl_add_u64 v[14:15], v[0:1], 3, s[14:15]
	v_cmp_eq_u32_e64 s[12:13], 0, v25
	s_and_saveexec_b64 s[4:5], s[12:13]
	s_cbranch_execz .LBB162_11
; %bb.8:
	s_cmp_eq_u32 s16, 0
	s_cselect_b64 s[8:9], -1, 0
	v_cmp_gt_i32_e32 vcc, s16, v26
	s_or_b64 s[10:11], s[8:9], vcc
	v_mov_b64_e32 v[0:1], 0
	s_and_saveexec_b64 s[8:9], s[10:11]
	s_cbranch_execz .LBB162_10
; %bb.9:
	flat_load_dwordx2 v[0:1], v[14:15]
.LBB162_10:
	s_or_b64 exec, exec, s[8:9]
	v_lshlrev_b32_e32 v2, 3, v26
	s_waitcnt vmcnt(0) lgkmcnt(0)
	ds_write_b64 v2, v[0:1] offset:9088
.LBB162_11:
	s_or_b64 exec, exec, s[4:5]
	s_load_dword s20, s[0:1], 0x28
	s_ashr_i32 s25, s24, 31
	v_lshl_add_u32 v22, v25, 6, v26
	s_lshl_b64 s[0:1], s[24:25], 3
	v_and_b32_e32 v0, 31, v26
	v_lshrrev_b32_e32 v1, 5, v22
	s_add_u32 s4, s6, s0
	s_addc_u32 s5, s7, s1
	s_waitcnt lgkmcnt(0)
	v_mad_u64_u32 v[12:13], s[0:1], v1, s20, v[0:1]
	s_mul_i32 s0, s24, s20
	s_ashr_i32 s1, s0, 31
	s_lshl_b64 s[0:1], s[0:1], 3
	s_add_u32 s0, s0, s4
	s_addc_u32 s1, s1, s5
	s_cmp_eq_u32 s16, 0
	s_cselect_b64 s[18:19], -1, 0
	s_cmp_lg_u32 s16, 0
	v_ashrrev_i32_e32 v13, 31, v12
	s_cselect_b64 s[30:31], -1, 0
	v_lshl_add_u64 v[6:7], v[12:13], 3, s[0:1]
	s_and_b64 vcc, exec, s[30:31]
	v_cmp_gt_i32_e64 s[0:1], s16, v0
	v_lshlrev_b32_e32 v2, 3, v0
	s_cbranch_vccz .LBB162_21
; %bb.12:
	v_sub_co_u32_e32 v4, vcc, v6, v2
	s_ashr_i32 s17, s16, 31
	s_nop 0
	v_subbrev_co_u32_e32 v5, vcc, 0, v7, vcc
	v_lshl_add_u64 v[4:5], s[16:17], 3, v[4:5]
	v_lshl_add_u64 v[4:5], v[4:5], 0, -8
	v_mov_b64_e32 v[8:9], 0
	v_cndmask_b32_e64 v5, v5, v7, s[0:1]
	v_cndmask_b32_e64 v4, v4, v6, s[0:1]
	v_cmp_gt_i32_e32 vcc, s16, v1
	v_mov_b64_e32 v[10:11], v[8:9]
	s_and_saveexec_b64 s[4:5], vcc
	s_cbranch_execz .LBB162_14
; %bb.13:
	flat_load_dwordx2 v[10:11], v[4:5]
.LBB162_14:
	s_or_b64 exec, exec, s[4:5]
	v_mul_u32_u24_e32 v3, 33, v1
	v_add_lshl_u32 v3, v3, v0, 3
	s_waitcnt vmcnt(0) lgkmcnt(0)
	ds_write_b64 v3, v[10:11]
	v_add_u32_e32 v10, 8, v1
	v_cmp_gt_i32_e32 vcc, s16, v10
	s_and_saveexec_b64 s[4:5], vcc
	s_cbranch_execz .LBB162_16
; %bb.15:
	s_lshl_b32 s6, s20, 3
	s_ashr_i32 s7, s6, 31
	v_lshl_add_u64 v[8:9], s[6:7], 3, v[4:5]
	flat_load_dwordx2 v[8:9], v[8:9]
.LBB162_16:
	s_or_b64 exec, exec, s[4:5]
	s_waitcnt vmcnt(0) lgkmcnt(0)
	ds_write_b64 v3, v[8:9] offset:2112
	v_add_u32_e32 v8, 16, v1
	v_cmp_gt_i32_e32 vcc, s16, v8
	v_mov_b64_e32 v[8:9], 0
	v_mov_b64_e32 v[10:11], v[8:9]
	s_and_saveexec_b64 s[4:5], vcc
	s_cbranch_execz .LBB162_18
; %bb.17:
	s_lshl_b32 s6, s20, 4
	s_ashr_i32 s7, s6, 31
	v_lshl_add_u64 v[10:11], s[6:7], 3, v[4:5]
	flat_load_dwordx2 v[10:11], v[10:11]
.LBB162_18:
	s_or_b64 exec, exec, s[4:5]
	s_waitcnt vmcnt(0) lgkmcnt(0)
	ds_write_b64 v3, v[10:11] offset:4224
	v_add_u32_e32 v10, 24, v1
	v_cmp_gt_i32_e32 vcc, s16, v10
	s_and_saveexec_b64 s[4:5], vcc
	s_cbranch_execz .LBB162_20
; %bb.19:
	s_mul_i32 s6, s20, 24
	s_ashr_i32 s7, s6, 31
	v_lshl_add_u64 v[8:9], s[6:7], 3, v[4:5]
	flat_load_dwordx2 v[8:9], v[8:9]
.LBB162_20:
	s_or_b64 exec, exec, s[4:5]
	s_waitcnt vmcnt(0) lgkmcnt(0)
	ds_write_b64 v3, v[8:9] offset:6336
	v_mov_b32_e32 v3, 0
	v_lshl_add_u64 v[4:5], v[4:5], 0, v[2:3]
	s_lshl_b64 s[4:5], s[16:17], 3
	v_mov_b32_e32 v3, s5
	v_subrev_co_u32_e32 v4, vcc, s4, v4
	s_nop 1
	v_subb_co_u32_e32 v5, vcc, v5, v3, vcc
	v_lshl_add_u64 v[4:5], v[4:5], 0, 8
	v_cndmask_b32_e64 v5, v5, v7, s[0:1]
	v_cndmask_b32_e64 v4, v4, v6, s[0:1]
	v_mul_u32_u24_e32 v19, 33, v1
	s_branch .LBB162_23
.LBB162_21:
                                        ; implicit-def: $vgpr4_vgpr5
	v_mul_u32_u24_e32 v19, 33, v1
	s_cbranch_execz .LBB162_23
; %bb.22:
	flat_load_dwordx2 v[4:5], v[6:7]
	s_lshl_b32 s0, s20, 3
	v_add_lshl_u32 v3, v19, v0, 3
	s_ashr_i32 s1, s0, 31
	v_lshl_add_u64 v[8:9], s[0:1], 3, v[6:7]
	s_ashr_i32 s21, s20, 31
	s_lshl_b64 s[0:1], s[20:21], 6
	s_waitcnt vmcnt(0) lgkmcnt(0)
	ds_write_b64 v3, v[4:5]
	flat_load_dwordx2 v[4:5], v[8:9]
	v_lshl_add_u64 v[8:9], v[8:9], 0, s[0:1]
	s_waitcnt vmcnt(0) lgkmcnt(0)
	ds_write_b64 v3, v[4:5] offset:2112
	flat_load_dwordx2 v[4:5], v[8:9]
	v_lshl_add_u64 v[8:9], v[8:9], 0, s[0:1]
	s_waitcnt vmcnt(0) lgkmcnt(0)
	ds_write_b64 v3, v[4:5] offset:4224
	flat_load_dwordx2 v[4:5], v[8:9]
	s_waitcnt vmcnt(0) lgkmcnt(0)
	ds_write_b64 v3, v[4:5] offset:6336
	v_mov_b64_e32 v[4:5], v[6:7]
.LBB162_23:
	v_lshlrev_b32_e32 v3, 2, v1
	v_mul_u32_u24_e32 v18, 33, v0
	v_cmp_gt_u32_e64 s[4:5], v3, v0
	v_add_lshl_u32 v21, v3, v18, 3
	s_waitcnt lgkmcnt(0)
	s_barrier
	s_and_saveexec_b64 s[0:1], s[4:5]
	s_cbranch_execz .LBB162_25
; %bb.24:
	v_mul_u32_u24_e32 v6, 0x84, v1
	v_add_lshl_u32 v6, v6, v0, 3
	ds_read_b64 v[6:7], v6
	s_waitcnt lgkmcnt(0)
	ds_write_b64 v21, v[6:7]
.LBB162_25:
	s_or_b64 exec, exec, s[0:1]
	v_cmp_ge_u32_e64 s[6:7], v3, v0
	s_and_saveexec_b64 s[0:1], s[6:7]
	s_cbranch_execz .LBB162_27
; %bb.26:
	v_or_b32_e32 v6, 1, v3
	v_mul_u32_u24_e32 v6, 33, v6
	v_add_lshl_u32 v6, v6, v0, 3
	ds_read_b64 v[6:7], v6
	s_waitcnt lgkmcnt(0)
	ds_write_b64 v21, v[6:7] offset:8
.LBB162_27:
	s_or_b64 exec, exec, s[0:1]
	v_or_b32_e32 v6, 2, v3
	v_cmp_gt_u32_e64 s[8:9], v6, v0
	s_and_saveexec_b64 s[0:1], s[8:9]
	s_cbranch_execz .LBB162_29
; %bb.28:
	v_mul_u32_u24_e32 v6, 33, v6
	v_add_lshl_u32 v6, v6, v0, 3
	ds_read_b64 v[6:7], v6
	s_waitcnt lgkmcnt(0)
	ds_write_b64 v21, v[6:7] offset:16
.LBB162_29:
	s_or_b64 exec, exec, s[0:1]
	v_or_b32_e32 v6, 3, v3
	v_cmp_gt_u32_e64 s[10:11], v6, v0
	v_mad_u32_u24 v6, v6, 33, v0
	v_lshlrev_b32_e32 v30, 3, v6
	s_and_saveexec_b64 s[0:1], s[10:11]
	s_cbranch_execz .LBB162_31
; %bb.30:
	ds_read_b64 v[6:7], v30
	s_waitcnt lgkmcnt(0)
	ds_write_b64 v21, v[6:7] offset:24
.LBB162_31:
	s_or_b64 exec, exec, s[0:1]
	v_mul_u32_u24_e32 v6, 0x84, v1
	v_add_lshl_u32 v20, v6, v0, 3
	s_waitcnt lgkmcnt(0)
	s_barrier
	v_lshlrev_b32_e32 v32, 3, v3
	ds_read_b64 v[10:11], v20
	ds_read_b128 v[6:9], v32 offset:9088
	v_add_u32_e32 v31, 0xfffffdf0, v30
	ds_read2_b64 v[34:37], v31 offset1:33
	ds_read_b128 v[38:41], v32 offset:9104
	ds_read_b64 v[16:17], v30
	v_mov_b64_e32 v[28:29], 0
	v_add_lshl_u32 v27, v1, v18, 3
	s_waitcnt lgkmcnt(3)
	v_fma_f64 v[6:7], v[10:11], v[6:7], 0
	s_waitcnt lgkmcnt(2)
	v_fmac_f64_e32 v[6:7], v[34:35], v[8:9]
	s_waitcnt lgkmcnt(1)
	v_fmac_f64_e32 v[6:7], v[36:37], v[38:39]
	;; [unrolled: 2-line block ×3, first 2 shown]
	v_cmp_gt_u32_e64 s[0:1], 32, v22
	v_lshlrev_b32_e32 v23, 3, v18
	s_barrier
	ds_write_b64 v27, v[6:7]
	s_waitcnt lgkmcnt(0)
	s_barrier
	s_and_saveexec_b64 s[14:15], s[0:1]
	s_cbranch_execz .LBB162_33
; %bb.32:
	ds_read2_b64 v[6:9], v23 offset1:1
	ds_read2_b64 v[34:37], v23 offset0:2 offset1:3
	ds_read2_b64 v[38:41], v23 offset0:4 offset1:5
	s_waitcnt lgkmcnt(2)
	v_add_f64 v[10:11], v[6:7], v[8:9]
	ds_read2_b64 v[6:9], v23 offset0:6 offset1:7
	s_waitcnt lgkmcnt(2)
	v_add_f64 v[10:11], v[10:11], v[34:35]
	v_add_f64 v[10:11], v[10:11], v[36:37]
	s_waitcnt lgkmcnt(1)
	v_add_f64 v[10:11], v[10:11], v[38:39]
	v_add_f64 v[10:11], v[10:11], v[40:41]
	;; [unrolled: 3-line block ×3, first 2 shown]
.LBB162_33:
	s_or_b64 exec, exec, s[14:15]
	s_lshl_b32 s28, s20, 5
	s_ashr_i32 s29, s28, 31
	v_lshl_add_u64 v[8:9], s[28:29], 3, v[4:5]
	s_mov_b64 s[14:15], 0x100
	v_lshl_add_u64 v[6:7], v[8:9], 0, s[14:15]
	s_and_b64 vcc, exec, s[30:31]
	s_barrier
	s_cbranch_vccz .LBB162_43
; %bb.34:
	v_or_b32_e32 v3, 32, v0
	v_lshlrev_b32_e32 v4, 3, v3
	v_sub_co_u32_e32 v4, vcc, v6, v4
	s_ashr_i32 s17, s16, 31
	s_nop 0
	v_subbrev_co_u32_e32 v5, vcc, 0, v7, vcc
	v_lshl_add_u64 v[4:5], s[16:17], 3, v[4:5]
	v_lshl_add_u64 v[4:5], v[4:5], 0, -8
	v_cmp_gt_i32_e32 vcc, s16, v3
	s_sub_i32 s21, s16, 32
	v_mov_b64_e32 v[10:11], 0
	v_cndmask_b32_e32 v5, v5, v7, vcc
	v_cndmask_b32_e32 v4, v4, v6, vcc
	v_cmp_gt_i32_e64 s[14:15], s21, v1
	v_mov_b64_e32 v[16:17], v[10:11]
	s_and_saveexec_b64 s[34:35], s[14:15]
	s_cbranch_execz .LBB162_36
; %bb.35:
	flat_load_dwordx2 v[16:17], v[4:5]
.LBB162_36:
	s_or_b64 exec, exec, s[34:35]
	v_add_lshl_u32 v3, v19, v0, 3
	s_waitcnt vmcnt(0) lgkmcnt(0)
	ds_write_b64 v3, v[16:17]
	v_add_u32_e32 v16, 8, v1
	v_cmp_gt_i32_e64 s[14:15], s21, v16
	s_and_saveexec_b64 s[34:35], s[14:15]
	s_cbranch_execz .LBB162_38
; %bb.37:
	s_lshl_b32 s14, s20, 3
	s_ashr_i32 s15, s14, 31
	v_lshl_add_u64 v[10:11], s[14:15], 3, v[4:5]
	flat_load_dwordx2 v[10:11], v[10:11]
.LBB162_38:
	s_or_b64 exec, exec, s[34:35]
	s_waitcnt vmcnt(0) lgkmcnt(0)
	ds_write_b64 v3, v[10:11] offset:2112
	v_add_u32_e32 v10, 16, v1
	v_cmp_gt_i32_e64 s[14:15], s21, v10
	v_mov_b64_e32 v[10:11], 0
	v_mov_b64_e32 v[16:17], v[10:11]
	s_and_saveexec_b64 s[34:35], s[14:15]
	s_cbranch_execz .LBB162_40
; %bb.39:
	s_lshl_b32 s14, s20, 4
	s_ashr_i32 s15, s14, 31
	v_lshl_add_u64 v[16:17], s[14:15], 3, v[4:5]
	flat_load_dwordx2 v[16:17], v[16:17]
.LBB162_40:
	s_or_b64 exec, exec, s[34:35]
	s_waitcnt vmcnt(0) lgkmcnt(0)
	ds_write_b64 v3, v[16:17] offset:4224
	v_add_u32_e32 v16, 24, v1
	v_cmp_gt_i32_e64 s[14:15], s21, v16
	s_and_saveexec_b64 s[34:35], s[14:15]
	s_cbranch_execz .LBB162_42
; %bb.41:
	s_mul_i32 s14, s20, 24
	s_ashr_i32 s15, s14, 31
	v_lshl_add_u64 v[10:11], s[14:15], 3, v[4:5]
	flat_load_dwordx2 v[10:11], v[10:11]
.LBB162_42:
	s_or_b64 exec, exec, s[34:35]
	s_waitcnt vmcnt(0) lgkmcnt(0)
	ds_write_b64 v3, v[10:11] offset:6336
	v_mov_b32_e32 v3, 0
	v_lshl_add_u64 v[4:5], v[4:5], 0, v[2:3]
	s_lshl_b64 s[14:15], s[16:17], 3
	v_mov_b32_e32 v3, s15
	v_subrev_co_u32_e64 v4, s[14:15], s14, v4
	s_nop 1
	v_subb_co_u32_e64 v5, s[14:15], v5, v3, s[14:15]
	s_mov_b64 s[14:15], 0x108
	s_nop 0
	v_lshl_add_u64 v[4:5], v[4:5], 0, s[14:15]
	v_cndmask_b32_e32 v5, v5, v7, vcc
	v_cndmask_b32_e32 v4, v4, v6, vcc
	s_branch .LBB162_45
.LBB162_43:
                                        ; implicit-def: $vgpr4_vgpr5
	s_cbranch_execz .LBB162_45
; %bb.44:
	flat_load_dwordx2 v[4:5], v[8:9] offset:256
	s_lshl_b32 s14, s20, 3
	v_add_lshl_u32 v3, v19, v0, 3
	s_ashr_i32 s15, s14, 31
	v_lshl_add_u64 v[8:9], s[14:15], 3, v[8:9]
	s_ashr_i32 s21, s20, 31
	s_lshl_b64 s[14:15], s[20:21], 6
	s_waitcnt vmcnt(0) lgkmcnt(0)
	ds_write_b64 v3, v[4:5]
	flat_load_dwordx2 v[4:5], v[8:9] offset:256
	v_lshl_add_u64 v[8:9], v[8:9], 0, s[14:15]
	s_waitcnt vmcnt(0) lgkmcnt(0)
	ds_write_b64 v3, v[4:5] offset:2112
	flat_load_dwordx2 v[4:5], v[8:9] offset:256
	v_lshl_add_u64 v[8:9], v[8:9], 0, s[14:15]
	s_waitcnt vmcnt(0) lgkmcnt(0)
	ds_write_b64 v3, v[4:5] offset:4224
	flat_load_dwordx2 v[4:5], v[8:9] offset:256
	s_waitcnt vmcnt(0) lgkmcnt(0)
	ds_write_b64 v3, v[4:5] offset:6336
	v_mov_b64_e32 v[4:5], v[6:7]
.LBB162_45:
	s_waitcnt lgkmcnt(0)
	s_barrier
	s_and_saveexec_b64 s[14:15], s[4:5]
	s_cbranch_execnz .LBB162_62
; %bb.46:
	s_or_b64 exec, exec, s[14:15]
	s_and_saveexec_b64 s[4:5], s[6:7]
	s_cbranch_execnz .LBB162_63
.LBB162_47:
	s_or_b64 exec, exec, s[4:5]
	s_and_saveexec_b64 s[4:5], s[8:9]
	s_cbranch_execnz .LBB162_64
.LBB162_48:
	s_or_b64 exec, exec, s[4:5]
	v_add_u32_e32 v32, 0x2380, v32
	s_and_saveexec_b64 s[4:5], s[10:11]
	s_cbranch_execz .LBB162_50
.LBB162_49:
	ds_read_b64 v[6:7], v30
	s_waitcnt lgkmcnt(0)
	ds_write_b64 v21, v[6:7] offset:24
.LBB162_50:
	s_or_b64 exec, exec, s[4:5]
	s_waitcnt lgkmcnt(0)
	s_barrier
	ds_read_b64 v[10:11], v20
	ds_read_b128 v[6:9], v32 offset:256
	ds_read2_b64 v[34:37], v31 offset1:33
	ds_read_b128 v[38:41], v32 offset:272
	ds_read_b64 v[16:17], v30
	v_cmp_eq_u32_e64 s[4:5], 1, v1
	s_waitcnt lgkmcnt(3)
	v_fma_f64 v[6:7], v[10:11], v[6:7], 0
	s_waitcnt lgkmcnt(2)
	v_fmac_f64_e32 v[6:7], v[34:35], v[8:9]
	s_waitcnt lgkmcnt(1)
	v_fmac_f64_e32 v[6:7], v[36:37], v[38:39]
	;; [unrolled: 2-line block ×3, first 2 shown]
	s_barrier
	ds_write_b64 v27, v[6:7]
	s_waitcnt lgkmcnt(0)
	s_barrier
	s_and_saveexec_b64 s[6:7], s[4:5]
	s_cbranch_execz .LBB162_52
; %bb.51:
	ds_read2_b64 v[6:9], v23 offset1:1
	ds_read2_b64 v[34:37], v23 offset0:2 offset1:3
	ds_read2_b64 v[38:41], v23 offset0:4 offset1:5
	s_waitcnt lgkmcnt(2)
	v_add_f64 v[10:11], v[6:7], v[8:9]
	ds_read2_b64 v[6:9], v23 offset0:6 offset1:7
	s_waitcnt lgkmcnt(2)
	v_add_f64 v[10:11], v[10:11], v[34:35]
	v_add_f64 v[10:11], v[10:11], v[36:37]
	s_waitcnt lgkmcnt(1)
	v_add_f64 v[10:11], v[10:11], v[38:39]
	v_add_f64 v[10:11], v[10:11], v[40:41]
	;; [unrolled: 3-line block ×3, first 2 shown]
.LBB162_52:
	s_or_b64 exec, exec, s[6:7]
	s_movk_i32 s6, 0xff00
	s_mov_b32 s7, -1
	v_lshl_add_u64 v[4:5], v[4:5], 0, s[6:7]
	s_and_b64 vcc, exec, s[30:31]
	s_barrier
	s_cbranch_vccz .LBB162_65
; %bb.53:
	v_sub_co_u32_e32 v6, vcc, v4, v2
	s_ashr_i32 s17, s16, 31
	s_nop 0
	v_subbrev_co_u32_e32 v7, vcc, 0, v5, vcc
	v_lshl_add_u64 v[6:7], s[16:17], 3, v[6:7]
	v_lshl_add_u64 v[6:7], v[6:7], 0, -8
	v_cmp_gt_i32_e32 vcc, s16, v0
	s_sub_i32 s10, s16, 32
	v_mov_b64_e32 v[8:9], 0
	v_cndmask_b32_e32 v7, v7, v5, vcc
	v_cndmask_b32_e32 v6, v6, v4, vcc
	v_cmp_gt_i32_e64 s[6:7], s10, v1
	v_mov_b64_e32 v[10:11], v[8:9]
	s_and_saveexec_b64 s[8:9], s[6:7]
	s_cbranch_execz .LBB162_55
; %bb.54:
	flat_load_dwordx2 v[10:11], v[6:7]
.LBB162_55:
	s_or_b64 exec, exec, s[8:9]
	v_add_u32_e32 v21, 8, v1
	v_add_lshl_u32 v3, v19, v0, 3
	v_cmp_gt_i32_e64 s[6:7], s10, v21
	s_waitcnt vmcnt(0) lgkmcnt(0)
	ds_write_b64 v3, v[10:11]
	s_and_saveexec_b64 s[8:9], s[6:7]
	s_cbranch_execz .LBB162_57
; %bb.56:
	s_lshl_b32 s6, s20, 3
	s_ashr_i32 s7, s6, 31
	v_lshl_add_u64 v[8:9], s[6:7], 3, v[6:7]
	flat_load_dwordx2 v[8:9], v[8:9]
.LBB162_57:
	s_or_b64 exec, exec, s[8:9]
	s_waitcnt vmcnt(0) lgkmcnt(0)
	ds_write_b64 v3, v[8:9] offset:2112
	v_add_u32_e32 v33, 16, v1
	v_mov_b64_e32 v[8:9], 0
	v_cmp_gt_i32_e64 s[6:7], s10, v33
	v_mov_b64_e32 v[10:11], v[8:9]
	s_and_saveexec_b64 s[8:9], s[6:7]
	s_cbranch_execz .LBB162_59
; %bb.58:
	s_lshl_b32 s6, s20, 4
	s_ashr_i32 s7, s6, 31
	v_lshl_add_u64 v[10:11], s[6:7], 3, v[6:7]
	flat_load_dwordx2 v[10:11], v[10:11]
.LBB162_59:
	s_or_b64 exec, exec, s[8:9]
	s_waitcnt vmcnt(0) lgkmcnt(0)
	ds_write_b64 v3, v[10:11] offset:4224
	v_add_u32_e32 v10, 24, v1
	v_cmp_gt_i32_e64 s[6:7], s10, v10
	s_and_saveexec_b64 s[8:9], s[6:7]
	s_cbranch_execz .LBB162_61
; %bb.60:
	s_mul_i32 s6, s20, 24
	s_ashr_i32 s7, s6, 31
	v_lshl_add_u64 v[8:9], s[6:7], 3, v[6:7]
	flat_load_dwordx2 v[8:9], v[8:9]
.LBB162_61:
	s_or_b64 exec, exec, s[8:9]
	s_waitcnt vmcnt(0) lgkmcnt(0)
	ds_write_b64 v3, v[8:9] offset:6336
	v_mov_b32_e32 v3, 0
	v_lshl_add_u64 v[2:3], v[6:7], 0, v[2:3]
	s_lshl_b64 s[6:7], s[16:17], 3
	v_mov_b32_e32 v6, s7
	v_subrev_co_u32_e64 v2, s[6:7], s6, v2
	s_nop 1
	v_subb_co_u32_e64 v3, s[6:7], v3, v6, s[6:7]
	v_lshl_add_u64 v[2:3], v[2:3], 0, 8
	v_cndmask_b32_e32 v17, v3, v5, vcc
	v_cndmask_b32_e32 v16, v2, v4, vcc
	s_branch .LBB162_67
.LBB162_62:
	ds_read_b64 v[6:7], v20
	s_waitcnt lgkmcnt(0)
	ds_write_b64 v21, v[6:7]
	s_or_b64 exec, exec, s[14:15]
	s_and_saveexec_b64 s[4:5], s[6:7]
	s_cbranch_execz .LBB162_47
.LBB162_63:
	ds_read_b64 v[6:7], v31
	s_waitcnt lgkmcnt(0)
	ds_write_b64 v21, v[6:7] offset:8
	s_or_b64 exec, exec, s[4:5]
	s_and_saveexec_b64 s[4:5], s[8:9]
	s_cbranch_execz .LBB162_48
.LBB162_64:
	ds_read_b64 v[6:7], v31 offset:264
	s_waitcnt lgkmcnt(0)
	ds_write_b64 v21, v[6:7] offset:16
	s_or_b64 exec, exec, s[4:5]
	v_add_u32_e32 v32, 0x2380, v32
	s_and_saveexec_b64 s[4:5], s[10:11]
	s_cbranch_execnz .LBB162_49
	s_branch .LBB162_50
.LBB162_65:
                                        ; implicit-def: $vgpr16_vgpr17
                                        ; implicit-def: $vgpr21
                                        ; implicit-def: $vgpr33
                                        ; implicit-def: $vgpr10
	s_cbranch_execz .LBB162_67
; %bb.66:
	flat_load_dwordx2 v[2:3], v[4:5]
	s_lshl_b32 s6, s20, 3
	v_add_lshl_u32 v0, v19, v0, 3
	s_ashr_i32 s7, s6, 31
	v_lshl_add_u64 v[6:7], s[6:7], 3, v[4:5]
	s_ashr_i32 s21, s20, 31
	s_lshl_b64 s[6:7], s[20:21], 6
	v_add_u32_e32 v21, 8, v1
	v_add_u32_e32 v33, 16, v1
	;; [unrolled: 1-line block ×3, first 2 shown]
	v_mov_b64_e32 v[16:17], v[4:5]
	s_waitcnt vmcnt(0) lgkmcnt(0)
	ds_write_b64 v0, v[2:3]
	flat_load_dwordx2 v[2:3], v[6:7]
	v_lshl_add_u64 v[6:7], v[6:7], 0, s[6:7]
	s_waitcnt vmcnt(0) lgkmcnt(0)
	ds_write_b64 v0, v[2:3] offset:2112
	flat_load_dwordx2 v[2:3], v[6:7]
	v_lshl_add_u64 v[6:7], v[6:7], 0, s[6:7]
	s_waitcnt vmcnt(0) lgkmcnt(0)
	ds_write_b64 v0, v[2:3] offset:4224
	flat_load_dwordx2 v[2:3], v[6:7]
	s_waitcnt vmcnt(0) lgkmcnt(0)
	ds_write_b64 v0, v[2:3] offset:6336
.LBB162_67:
	v_lshlrev_b32_e32 v0, 3, v1
	s_waitcnt lgkmcnt(0)
	s_barrier
	v_add_lshl_u32 v1, v21, v18, 3
	v_lshlrev_b32_e32 v2, 3, v21
	v_add_lshl_u32 v3, v33, v18, 3
	ds_read_b64 v[34:35], v0 offset:9088
	ds_read_b64 v[36:37], v1
	ds_read_b64 v[38:39], v2 offset:9088
	ds_read_b64 v[40:41], v3
	v_lshlrev_b32_e32 v19, 3, v33
	v_add_lshl_u32 v18, v10, v18, 3
	v_lshlrev_b32_e32 v46, 3, v10
	ds_read_b64 v[20:21], v20
	ds_read_b128 v[8:11], v32 offset:256
	ds_read_b64 v[42:43], v27
	ds_read_b128 v[0:3], v32 offset:272
	ds_read2_b64 v[4:7], v31 offset1:33
	ds_read_b64 v[32:33], v19 offset:9088
	ds_read_b64 v[44:45], v18
	ds_read_b64 v[46:47], v46 offset:9088
	ds_read_b64 v[18:19], v30
	s_waitcnt lgkmcnt(6)
	v_fma_f64 v[30:31], v[42:43], v[34:35], 0
	v_fmac_f64_e32 v[30:31], v[36:37], v[38:39]
	s_waitcnt lgkmcnt(3)
	v_fmac_f64_e32 v[30:31], v[40:41], v[32:33]
	s_waitcnt lgkmcnt(1)
	v_fmac_f64_e32 v[30:31], v[44:45], v[46:47]
	s_waitcnt lgkmcnt(0)
	s_barrier
	ds_write_b64 v27, v[30:31]
	s_waitcnt lgkmcnt(0)
	s_barrier
	s_and_saveexec_b64 s[6:7], s[4:5]
	s_cbranch_execz .LBB162_69
; %bb.68:
	ds_read2_b64 v[30:33], v23 offset1:1
	ds_read2_b64 v[34:37], v23 offset0:2 offset1:3
	s_waitcnt lgkmcnt(1)
	v_add_f64 v[38:39], v[28:29], v[30:31]
	ds_read2_b64 v[28:31], v23 offset0:4 offset1:5
	v_add_f64 v[32:33], v[38:39], v[32:33]
	ds_read2_b64 v[38:41], v23 offset0:6 offset1:7
	s_waitcnt lgkmcnt(2)
	v_add_f64 v[32:33], v[32:33], v[34:35]
	v_add_f64 v[32:33], v[32:33], v[36:37]
	s_waitcnt lgkmcnt(1)
	v_add_f64 v[28:29], v[32:33], v[28:29]
	v_add_f64 v[28:29], v[28:29], v[30:31]
	;; [unrolled: 3-line block ×3, first 2 shown]
.LBB162_69:
	s_or_b64 exec, exec, s[6:7]
	v_fma_f64 v[8:9], v[20:21], v[8:9], 0
	v_fmac_f64_e32 v[8:9], v[4:5], v[10:11]
	v_fmac_f64_e32 v[8:9], v[6:7], v[0:1]
	;; [unrolled: 1-line block ×3, first 2 shown]
	s_barrier
	ds_write_b64 v27, v[8:9]
	s_waitcnt lgkmcnt(0)
	s_barrier
	s_and_saveexec_b64 s[4:5], s[0:1]
	s_cbranch_execz .LBB162_71
; %bb.70:
	ds_read2_b64 v[0:3], v23 offset1:1
	ds_read2_b64 v[4:7], v23 offset0:2 offset1:3
	ds_read2_b64 v[8:11], v23 offset0:4 offset1:5
	s_waitcnt lgkmcnt(2)
	v_add_f64 v[0:1], v[28:29], v[0:1]
	v_add_f64 v[18:19], v[0:1], v[2:3]
	ds_read2_b64 v[0:3], v23 offset0:6 offset1:7
	s_waitcnt lgkmcnt(2)
	v_add_f64 v[4:5], v[18:19], v[4:5]
	v_add_f64 v[4:5], v[4:5], v[6:7]
	s_waitcnt lgkmcnt(1)
	v_add_f64 v[4:5], v[4:5], v[8:9]
	v_add_f64 v[4:5], v[4:5], v[10:11]
	;; [unrolled: 3-line block ×3, first 2 shown]
.LBB162_71:
	s_or_b64 exec, exec, s[4:5]
	s_mul_hi_u32 s0, s23, s22
	s_mul_i32 s37, s37, s22
	s_add_i32 s0, s0, s37
	s_mul_i32 s4, s23, s22
	s_mul_i32 s0, s0, s3
	s_mul_hi_u32 s1, s4, s3
	s_add_i32 s1, s1, s0
	s_mul_i32 s0, s4, s3
	s_lshl_b64 s[0:1], s[0:1], 3
	s_add_u32 s4, s26, s0
	s_addc_u32 s5, s27, s1
	s_mul_hi_i32 s1, s23, s2
	s_mul_i32 s0, s23, s2
	s_lshl_b64 s[0:1], s[0:1], 3
	s_add_u32 s6, s4, s0
	s_addc_u32 s7, s5, s1
	s_add_i32 s8, s2, 1
	s_cmp_ge_u32 s8, s3
	v_lshlrev_b32_e32 v27, 3, v26
	s_barrier
	s_cbranch_scc1 .LBB162_128
; %bb.72:
	s_mul_i32 s0, s24, s36
	s_ashr_i32 s1, s0, 31
	s_lshl_b64 s[0:1], s[0:1], 3
	v_and_b32_e32 v4, 48, v26
	v_lshlrev_b32_e32 v144, 2, v25
	v_mov_b32_e32 v0, s1
	v_subrev_co_u32_e32 v30, vcc, s0, v14
	v_and_b32_e32 v2, 15, v26
	v_lshlrev_b32_e32 v5, 3, v4
	s_movk_i32 s9, 0x218
	v_subb_co_u32_e32 v31, vcc, v15, v0, vcc
	v_lshrrev_b32_e32 v3, 4, v22
	v_mad_u64_u32 v[0:1], s[0:1], v144, s20, v[26:27]
	v_mad_u32_u24 v147, v2, s9, v5
	v_or_b32_e32 v5, 0x78, v27
	v_ashrrev_i32_e32 v1, 31, v0
	v_mad_u32_u24 v148, v2, s9, v5
	v_lshlrev_b32_e32 v5, 5, v3
	v_mul_i32_i24_e32 v6, 0xffffffe8, v3
	v_add_u32_e32 v3, s24, v4
	s_lshl_b32 s25, s36, 6
	s_lshl_b32 s4, s20, 4
	v_mad_u32_u24 v149, v2, s9, v5
	s_ashr_i32 s21, s20, 31
	s_lshl_b32 s26, s20, 1
	s_mul_i32 s30, s20, 3
	v_mov_b32_e32 v5, 0x2180
	s_mul_i32 s36, s36, s8
	v_add3_u32 v34, v3, v2, 64
	v_lshlrev_b64 v[2:3], 3, v[0:1]
	s_lshl_b64 s[14:15], s[28:29], 3
	s_add_i32 s17, s3, -2
	s_ashr_i32 s5, s4, 31
	s_ashr_i32 s27, s26, 31
	;; [unrolled: 1-line block ×3, first 2 shown]
	v_lshl_add_u32 v153, v25, 5, v5
	s_lshl_b64 s[22:23], s[20:21], 3
	s_lshl_b32 s8, s36, 6
	v_lshlrev_b64 v[4:5], 3, v[12:13]
	s_lshl_b64 s[34:35], s[20:21], 4
	v_mad_i64_i32 v[40:41], s[38:39], v12, -8, v[2:3]
	v_lshl_add_u64 v[2:3], s[28:29], 0, v[0:1]
	v_sub_co_u32_e32 v36, vcc, 0, v4
	s_add_u32 s36, s34, s14
	v_lshlrev_b64 v[2:3], 3, v[2:3]
	v_subb_co_u32_e32 v37, vcc, 0, v5, vcc
	s_addc_u32 s37, s35, s15
	s_lshl_b64 s[10:11], s[4:5], 5
	v_mad_i64_i32 v[4:5], s[38:39], s20, 24, v[2:3]
	s_add_u32 s38, s22, s14
	s_addc_u32 s39, s23, s15
	s_lshl_b64 s[26:27], s[26:27], 3
	s_add_u32 s40, s14, s26
	s_addc_u32 s41, s15, s27
	s_lshl_b64 s[30:31], s[30:31], 3
	v_lshl_add_u64 v[46:47], v[16:17], 0, s[40:41]
	s_add_u32 s40, s14, s30
	s_addc_u32 s41, s15, s31
	v_lshl_add_u64 v[48:49], v[16:17], 0, s[40:41]
	s_lshl_b64 s[40:41], s[4:5], 3
	s_add_u32 s42, s36, s40
	s_addc_u32 s43, s37, s41
	s_add_u32 s28, s28, s4
	s_addc_u32 s29, s29, s5
	v_lshl_add_u64 v[0:1], s[28:29], 0, v[0:1]
	v_lshlrev_b64 v[0:1], 3, v[0:1]
	v_mad_i64_i32 v[0:1], s[28:29], s20, 24, v[0:1]
	s_add_u32 s28, s38, s40
	s_addc_u32 s29, s39, s41
	v_lshl_add_u64 v[54:55], v[16:17], 0, s[28:29]
	s_add_u32 s28, s14, s40
	s_addc_u32 s29, s15, s41
	v_lshl_add_u64 v[44:45], v[16:17], 0, s[38:39]
	s_add_u32 s38, s28, s26
	s_addc_u32 s39, s29, s27
	v_lshl_add_u64 v[56:57], v[16:17], 0, s[28:29]
	s_add_u32 s28, s28, s30
	s_addc_u32 s29, s29, s31
	v_lshl_add_u64 v[60:61], v[16:17], 0, s[28:29]
	s_lshl_b64 s[28:29], s[4:5], 4
	v_lshl_add_u64 v[38:39], v[16:17], 0, s[36:37]
	s_add_u32 s36, s36, s28
	s_movk_i32 s9, 0x860
	s_mul_i32 s24, s20, 24
	s_addc_u32 s37, s37, s29
	v_mad_u32_u24 v154, v25, s9, v27
	s_mul_hi_i32 s9, s20, 24
	v_lshl_add_u64 v[62:63], v[16:17], 0, s[36:37]
	s_add_u32 s36, s24, s28
	s_addc_u32 s37, s9, s29
	v_lshl_add_u64 v[32:33], v[16:17], 0, s[14:15]
	s_add_u32 s14, s28, s14
	s_addc_u32 s15, s29, s15
	s_add_u32 s28, s14, s22
	s_addc_u32 s29, s15, s23
	v_lshl_add_u64 v[66:67], v[16:17], 0, s[28:29]
	s_add_u32 s28, s14, s26
	s_addc_u32 s29, s15, s27
	v_lshl_add_u64 v[68:69], v[16:17], 0, s[14:15]
	s_add_u32 s14, s14, s30
	s_addc_u32 s15, s15, s31
	s_mul_i32 s9, s20, 0x180
	v_lshl_add_u64 v[70:71], v[16:17], 0, s[28:29]
	s_mul_hi_i32 s24, s4, 24
	s_add_u32 s28, s9, s34
	v_lshl_add_u64 v[52:53], v[16:17], 0, v[0:1]
	v_lshl_add_u64 v[0:1], s[36:37], 0, v[2:3]
	s_addc_u32 s29, s24, s35
	v_lshl_add_u64 v[64:65], v[16:17], 0, v[0:1]
	v_lshl_add_u64 v[0:1], s[28:29], 0, v[2:3]
	s_add_u32 s9, s20, s4
	v_lshl_add_u64 v[72:73], v[16:17], 0, v[0:1]
	s_addc_u32 s5, s21, s5
	v_mad_u64_u32 v[0:1], s[20:21], s9, 24, v[2:3]
	v_lshl_add_u64 v[42:43], v[16:17], 0, v[4:5]
	v_mov_b32_e32 v4, v1
	v_mad_u64_u32 v[4:5], s[20:21], s5, 24, v[4:5]
	v_mov_b32_e32 v1, v4
	v_lshl_add_u64 v[74:75], v[16:17], 0, v[0:1]
	v_mad_i64_i32 v[0:1], s[4:5], s4, 24, v[2:3]
	v_lshl_add_u64 v[2:3], v[0:1], 0, s[22:23]
	v_lshl_add_u64 v[76:77], v[16:17], 0, v[2:3]
	;; [unrolled: 1-line block ×5, first 2 shown]
	v_add_u32_e32 v145, 0x2180, v27
	v_add_u32_e32 v146, 0x2380, v27
	v_cmp_gt_u32_e64 s[0:1], 64, v22
	v_or_b32_e32 v150, 1, v144
	v_or_b32_e32 v151, 2, v144
	;; [unrolled: 1-line block ×3, first 2 shown]
	v_add_u32_e32 v155, 16, v144
	v_add_u32_e32 v156, 17, v144
	;; [unrolled: 1-line block ×4, first 2 shown]
	v_lshl_add_u64 v[50:51], v[16:17], 0, s[42:43]
	v_lshl_add_u64 v[58:59], v[16:17], 0, s[38:39]
	;; [unrolled: 1-line block ×5, first 2 shown]
	v_add_u32_e32 v159, v149, v6
	v_add_u32_e32 v160, 32, v144
	;; [unrolled: 1-line block ×9, first 2 shown]
	s_cmp_eq_u32 s17, s2
	s_cselect_b32 s22, s33, 0
	s_and_saveexec_b64 s[4:5], s[12:13]
	s_cbranch_execz .LBB162_76
.LBB162_73:
	s_cmp_eq_u32 s22, 0
	s_cselect_b64 s[14:15], -1, 0
	v_cmp_gt_i32_e32 vcc, s22, v26
	s_or_b64 s[20:21], s[14:15], vcc
	v_mov_b64_e32 v[0:1], 0
	s_and_saveexec_b64 s[14:15], s[20:21]
	s_cbranch_execz .LBB162_75
; %bb.74:
	s_ashr_i32 s9, s8, 31
	v_lshl_add_u64 v[0:1], s[8:9], 3, v[30:31]
	flat_load_dwordx2 v[0:1], v[0:1]
.LBB162_75:
	s_or_b64 exec, exec, s[14:15]
	s_waitcnt vmcnt(0) lgkmcnt(0)
	ds_write_b64 v145, v[0:1]
.LBB162_76:                             ; =>This Inner Loop Header: Depth=1
	s_or_b64 exec, exec, s[4:5]
	s_cmp_eq_u32 s22, 0
	s_cselect_b64 s[14:15], -1, 0
	s_cmp_lg_u32 s22, 0
	s_cselect_b64 s[20:21], -1, 0
	v_lshl_add_u64 v[0:1], v[32:33], 0, v[40:41]
	s_and_b64 vcc, exec, s[20:21]
	s_waitcnt lgkmcnt(0)
	s_barrier
	s_cbranch_vccz .LBB162_124
; %bb.77:                               ;   in Loop: Header=BB162_76 Depth=1
	v_mov_b64_e32 v[86:87], 0
	v_cmp_gt_i32_e32 vcc, s22, v144
	v_mov_b64_e32 v[88:89], v[86:87]
	s_and_saveexec_b64 s[4:5], vcc
	s_cbranch_execz .LBB162_79
; %bb.78:                               ;   in Loop: Header=BB162_76 Depth=1
	flat_load_dwordx2 v[88:89], v[0:1]
.LBB162_79:                             ;   in Loop: Header=BB162_76 Depth=1
	s_or_b64 exec, exec, s[4:5]
	v_cmp_gt_i32_e32 vcc, s22, v150
	s_and_saveexec_b64 s[4:5], vcc
	s_cbranch_execz .LBB162_81
; %bb.80:                               ;   in Loop: Header=BB162_76 Depth=1
	v_lshl_add_u64 v[2:3], v[44:45], 0, v[40:41]
	flat_load_dwordx2 v[86:87], v[2:3]
.LBB162_81:                             ;   in Loop: Header=BB162_76 Depth=1
	s_or_b64 exec, exec, s[4:5]
	v_mov_b64_e32 v[90:91], 0
	v_cmp_gt_i32_e32 vcc, s22, v151
	v_mov_b64_e32 v[92:93], v[90:91]
	s_and_saveexec_b64 s[4:5], vcc
	s_cbranch_execz .LBB162_83
; %bb.82:                               ;   in Loop: Header=BB162_76 Depth=1
	v_lshl_add_u64 v[2:3], v[46:47], 0, v[40:41]
	flat_load_dwordx2 v[92:93], v[2:3]
.LBB162_83:                             ;   in Loop: Header=BB162_76 Depth=1
	s_or_b64 exec, exec, s[4:5]
	v_cmp_gt_i32_e32 vcc, s22, v152
	s_and_saveexec_b64 s[4:5], vcc
	s_cbranch_execz .LBB162_85
; %bb.84:                               ;   in Loop: Header=BB162_76 Depth=1
	v_lshl_add_u64 v[2:3], v[48:49], 0, v[40:41]
	flat_load_dwordx2 v[90:91], v[2:3]
.LBB162_85:                             ;   in Loop: Header=BB162_76 Depth=1
	s_or_b64 exec, exec, s[4:5]
	s_branch .LBB162_87
.LBB162_86:                             ;   in Loop: Header=BB162_76 Depth=1
	s_waitcnt vmcnt(0) lgkmcnt(0)
	flat_load_dwordx2 v[88:89], v[0:1]
	v_lshl_add_u64 v[0:1], v[44:45], 0, v[40:41]
	flat_load_dwordx2 v[86:87], v[0:1]
	v_lshl_add_u64 v[0:1], v[38:39], 0, v[40:41]
	flat_load_dwordx2 v[92:93], v[0:1]
	v_lshl_add_u64 v[0:1], v[42:43], 0, v[36:37]
	flat_load_dwordx2 v[90:91], v[0:1]
.LBB162_87:                             ;   in Loop: Header=BB162_76 Depth=1
	ds_read_b64 v[0:1], v146
	ds_read_b64 v[94:95], v153
	v_cndmask_b32_e64 v8, 0, 1, s[20:21]
	v_cmp_ne_u32_e64 s[4:5], 1, v8
	s_andn2_b64 vcc, exec, s[20:21]
	s_waitcnt vmcnt(0) lgkmcnt(0)
	v_mul_f64 v[2:3], v[88:89], v[0:1]
	v_mul_f64 v[4:5], v[86:87], v[0:1]
	ds_write_b64 v154, v[2:3]
	v_mul_f64 v[6:7], v[92:93], v[0:1]
	ds_read_b64 v[96:97], v153 offset:8
	ds_write_b64 v154, v[4:5] offset:536
	ds_read_b64 v[98:99], v153 offset:16
	ds_write_b64 v154, v[6:7] offset:1072
	v_mul_f64 v[0:1], v[90:91], v[0:1]
	ds_read_b64 v[100:101], v153 offset:24
	ds_write_b64 v154, v[0:1] offset:1608
	s_waitcnt lgkmcnt(0)
	s_barrier
	ds_read2_b64 v[4:7], v149 offset1:1
	ds_read2_b64 v[0:3], v149 offset0:2 offset1:3
	v_lshl_add_u64 v[8:9], v[56:57], 0, v[40:41]
	s_waitcnt lgkmcnt(0)
	s_barrier
	s_cbranch_vccnz .LBB162_125
; %bb.88:                               ;   in Loop: Header=BB162_76 Depth=1
	v_mov_b64_e32 v[102:103], 0
	v_cmp_gt_i32_e32 vcc, s22, v155
	v_mov_b64_e32 v[104:105], v[102:103]
	s_and_saveexec_b64 s[20:21], vcc
	s_cbranch_execz .LBB162_90
; %bb.89:                               ;   in Loop: Header=BB162_76 Depth=1
	flat_load_dwordx2 v[104:105], v[8:9]
.LBB162_90:                             ;   in Loop: Header=BB162_76 Depth=1
	s_or_b64 exec, exec, s[20:21]
	v_cmp_gt_i32_e32 vcc, s22, v156
	s_and_saveexec_b64 s[20:21], vcc
	s_cbranch_execz .LBB162_92
; %bb.91:                               ;   in Loop: Header=BB162_76 Depth=1
	v_lshl_add_u64 v[10:11], v[54:55], 0, v[40:41]
	flat_load_dwordx2 v[102:103], v[10:11]
.LBB162_92:                             ;   in Loop: Header=BB162_76 Depth=1
	s_or_b64 exec, exec, s[20:21]
	v_mov_b64_e32 v[106:107], 0
	v_cmp_gt_i32_e32 vcc, s22, v157
	v_mov_b64_e32 v[108:109], v[106:107]
	s_and_saveexec_b64 s[20:21], vcc
	s_cbranch_execz .LBB162_94
; %bb.93:                               ;   in Loop: Header=BB162_76 Depth=1
	v_lshl_add_u64 v[10:11], v[58:59], 0, v[40:41]
	flat_load_dwordx2 v[108:109], v[10:11]
.LBB162_94:                             ;   in Loop: Header=BB162_76 Depth=1
	s_or_b64 exec, exec, s[20:21]
	v_cmp_gt_i32_e32 vcc, s22, v158
	s_and_saveexec_b64 s[20:21], vcc
	s_cbranch_execz .LBB162_96
; %bb.95:                               ;   in Loop: Header=BB162_76 Depth=1
	v_lshl_add_u64 v[10:11], v[60:61], 0, v[40:41]
	flat_load_dwordx2 v[106:107], v[10:11]
.LBB162_96:                             ;   in Loop: Header=BB162_76 Depth=1
	s_or_b64 exec, exec, s[20:21]
	s_branch .LBB162_98
.LBB162_97:                             ;   in Loop: Header=BB162_76 Depth=1
	s_waitcnt vmcnt(0) lgkmcnt(0)
	flat_load_dwordx2 v[104:105], v[8:9]
	v_lshl_add_u64 v[8:9], v[54:55], 0, v[40:41]
	flat_load_dwordx2 v[102:103], v[8:9]
	v_lshl_add_u64 v[8:9], v[50:51], 0, v[40:41]
	;; [unrolled: 2-line block ×3, first 2 shown]
	flat_load_dwordx2 v[106:107], v[8:9]
.LBB162_98:                             ;   in Loop: Header=BB162_76 Depth=1
	ds_read_b64 v[8:9], v146
	ds_read_b64 v[110:111], v153 offset:128
	s_and_b64 vcc, exec, s[4:5]
	v_lshl_add_u64 v[16:17], v[68:69], 0, v[40:41]
	s_waitcnt vmcnt(0) lgkmcnt(0)
	v_mul_f64 v[10:11], v[104:105], v[8:9]
	v_mul_f64 v[12:13], v[102:103], v[8:9]
	ds_write_b64 v154, v[10:11]
	v_mul_f64 v[14:15], v[108:109], v[8:9]
	ds_read_b64 v[112:113], v153 offset:136
	ds_write_b64 v154, v[12:13] offset:536
	ds_read_b64 v[114:115], v153 offset:144
	ds_write_b64 v154, v[14:15] offset:1072
	v_mul_f64 v[8:9], v[106:107], v[8:9]
	ds_read_b64 v[116:117], v153 offset:152
	ds_write_b64 v154, v[8:9] offset:1608
	s_waitcnt lgkmcnt(0)
	s_barrier
	ds_read2_b64 v[12:15], v149 offset1:1
	ds_read2_b64 v[8:11], v149 offset0:2 offset1:3
	s_waitcnt lgkmcnt(0)
	s_barrier
	s_cbranch_vccnz .LBB162_126
; %bb.99:                               ;   in Loop: Header=BB162_76 Depth=1
	v_mov_b64_e32 v[118:119], 0
	v_cmp_gt_i32_e32 vcc, s22, v160
	v_mov_b64_e32 v[120:121], v[118:119]
	s_and_saveexec_b64 s[20:21], vcc
	s_cbranch_execz .LBB162_101
; %bb.100:                              ;   in Loop: Header=BB162_76 Depth=1
	flat_load_dwordx2 v[120:121], v[16:17]
.LBB162_101:                            ;   in Loop: Header=BB162_76 Depth=1
	s_or_b64 exec, exec, s[20:21]
	v_cmp_gt_i32_e32 vcc, s22, v161
	s_and_saveexec_b64 s[20:21], vcc
	s_cbranch_execz .LBB162_103
; %bb.102:                              ;   in Loop: Header=BB162_76 Depth=1
	v_lshl_add_u64 v[18:19], v[66:67], 0, v[40:41]
	flat_load_dwordx2 v[118:119], v[18:19]
.LBB162_103:                            ;   in Loop: Header=BB162_76 Depth=1
	s_or_b64 exec, exec, s[20:21]
	v_mov_b64_e32 v[122:123], 0
	v_cmp_gt_i32_e32 vcc, s22, v162
	v_mov_b64_e32 v[124:125], v[122:123]
	s_and_saveexec_b64 s[20:21], vcc
	s_cbranch_execz .LBB162_105
; %bb.104:                              ;   in Loop: Header=BB162_76 Depth=1
	v_lshl_add_u64 v[18:19], v[70:71], 0, v[40:41]
	flat_load_dwordx2 v[124:125], v[18:19]
.LBB162_105:                            ;   in Loop: Header=BB162_76 Depth=1
	s_or_b64 exec, exec, s[20:21]
	v_cmp_gt_i32_e32 vcc, s22, v163
	s_and_saveexec_b64 s[20:21], vcc
	s_cbranch_execz .LBB162_107
; %bb.106:                              ;   in Loop: Header=BB162_76 Depth=1
	v_lshl_add_u64 v[18:19], v[84:85], 0, v[40:41]
	flat_load_dwordx2 v[122:123], v[18:19]
.LBB162_107:                            ;   in Loop: Header=BB162_76 Depth=1
	s_or_b64 exec, exec, s[20:21]
	s_branch .LBB162_109
.LBB162_108:                            ;   in Loop: Header=BB162_76 Depth=1
	s_waitcnt vmcnt(0) lgkmcnt(0)
	flat_load_dwordx2 v[120:121], v[16:17]
	v_lshl_add_u64 v[16:17], v[66:67], 0, v[40:41]
	flat_load_dwordx2 v[118:119], v[16:17]
	v_lshl_add_u64 v[16:17], v[62:63], 0, v[40:41]
	;; [unrolled: 2-line block ×3, first 2 shown]
	flat_load_dwordx2 v[122:123], v[16:17]
.LBB162_109:                            ;   in Loop: Header=BB162_76 Depth=1
	ds_read_b64 v[16:17], v146
	ds_read_b64 v[126:127], v153 offset:256
	s_and_b64 vcc, exec, s[4:5]
	v_lshl_add_u64 v[142:143], v[78:79], 0, v[36:37]
	s_waitcnt vmcnt(0) lgkmcnt(0)
	v_mul_f64 v[18:19], v[120:121], v[16:17]
	v_mul_f64 v[20:21], v[118:119], v[16:17]
	ds_write_b64 v154, v[18:19]
	v_mul_f64 v[22:23], v[124:125], v[16:17]
	ds_read_b64 v[128:129], v153 offset:264
	ds_write_b64 v154, v[20:21] offset:536
	ds_read_b64 v[130:131], v153 offset:272
	ds_write_b64 v154, v[22:23] offset:1072
	v_mul_f64 v[16:17], v[122:123], v[16:17]
	ds_read_b64 v[132:133], v153 offset:280
	ds_write_b64 v154, v[16:17] offset:1608
	s_waitcnt lgkmcnt(0)
	s_barrier
	ds_read2_b64 v[20:23], v149 offset1:1
	ds_read2_b64 v[16:19], v149 offset0:2 offset1:3
	s_waitcnt lgkmcnt(0)
	s_barrier
	s_cbranch_vccnz .LBB162_127
; %bb.110:                              ;   in Loop: Header=BB162_76 Depth=1
	v_mov_b64_e32 v[134:135], 0
	v_cmp_gt_i32_e32 vcc, s22, v164
	v_mov_b64_e32 v[136:137], v[134:135]
	s_and_saveexec_b64 s[4:5], vcc
	s_cbranch_execz .LBB162_112
; %bb.111:                              ;   in Loop: Header=BB162_76 Depth=1
	flat_load_dwordx2 v[136:137], v[142:143]
.LBB162_112:                            ;   in Loop: Header=BB162_76 Depth=1
	s_or_b64 exec, exec, s[4:5]
	v_cmp_gt_i32_e32 vcc, s22, v165
	s_and_saveexec_b64 s[4:5], vcc
	s_cbranch_execz .LBB162_114
; %bb.113:                              ;   in Loop: Header=BB162_76 Depth=1
	v_lshl_add_u64 v[134:135], v[76:77], 0, v[36:37]
	flat_load_dwordx2 v[134:135], v[134:135]
.LBB162_114:                            ;   in Loop: Header=BB162_76 Depth=1
	s_or_b64 exec, exec, s[4:5]
	v_mov_b64_e32 v[138:139], 0
	v_cmp_gt_i32_e32 vcc, s22, v166
	v_mov_b64_e32 v[140:141], v[138:139]
	s_and_saveexec_b64 s[4:5], vcc
	s_cbranch_execz .LBB162_116
; %bb.115:                              ;   in Loop: Header=BB162_76 Depth=1
	v_lshl_add_u64 v[140:141], v[80:81], 0, v[36:37]
	flat_load_dwordx2 v[140:141], v[140:141]
.LBB162_116:                            ;   in Loop: Header=BB162_76 Depth=1
	s_or_b64 exec, exec, s[4:5]
	v_cmp_gt_i32_e32 vcc, s22, v167
	s_and_saveexec_b64 s[4:5], vcc
	s_cbranch_execz .LBB162_118
; %bb.117:                              ;   in Loop: Header=BB162_76 Depth=1
	v_lshl_add_u64 v[138:139], v[82:83], 0, v[36:37]
	flat_load_dwordx2 v[138:139], v[138:139]
.LBB162_118:                            ;   in Loop: Header=BB162_76 Depth=1
	s_or_b64 exec, exec, s[4:5]
	s_branch .LBB162_120
.LBB162_119:                            ;   in Loop: Header=BB162_76 Depth=1
	s_waitcnt vmcnt(0) lgkmcnt(0)
	v_lshl_add_u64 v[138:139], v[72:73], 0, v[36:37]
	v_lshl_add_u64 v[134:135], v[76:77], 0, v[36:37]
	flat_load_dwordx2 v[140:141], v[138:139]
	v_lshl_add_u64 v[138:139], v[74:75], 0, v[36:37]
	flat_load_dwordx2 v[136:137], v[142:143]
	s_nop 0
	flat_load_dwordx2 v[134:135], v[134:135]
	s_nop 0
	flat_load_dwordx2 v[138:139], v[138:139]
.LBB162_120:                            ;   in Loop: Header=BB162_76 Depth=1
	v_add_f64 v[12:13], v[12:13], 0
	v_add_f64 v[12:13], v[12:13], v[14:15]
	ds_read_b64 v[14:15], v146
	v_add_f64 v[20:21], v[20:21], 0
	v_add_f64 v[20:21], v[20:21], v[22:23]
	;; [unrolled: 1-line block ×7, first 2 shown]
	ds_read_b64 v[4:5], v153 offset:384
	s_waitcnt vmcnt(0) lgkmcnt(0)
	v_mul_f64 v[8:9], v[136:137], v[14:15]
	ds_write_b64 v154, v[8:9]
	v_mul_f64 v[10:11], v[134:135], v[14:15]
	ds_read_b64 v[8:9], v153 offset:392
	ds_write_b64 v154, v[10:11] offset:536
	v_mul_f64 v[12:13], v[140:141], v[14:15]
	ds_read_b64 v[10:11], v153 offset:400
	ds_write_b64 v154, v[12:13] offset:1072
	;; [unrolled: 3-line block ×3, first 2 shown]
	s_waitcnt lgkmcnt(0)
	s_barrier
	ds_read2_b64 v[14:17], v149 offset1:1
	v_add_f64 v[6:7], v[18:19], v[6:7]
	ds_read2_b64 v[18:21], v149 offset0:2 offset1:3
	v_add_f64 v[0:1], v[6:7], v[0:1]
	v_add_f64 v[0:1], v[0:1], v[2:3]
	s_waitcnt lgkmcnt(1)
	v_add_f64 v[2:3], v[14:15], 0
	v_cmp_gt_i32_e32 vcc, s22, v26
	v_add_f64 v[2:3], v[2:3], v[16:17]
	s_or_b64 s[4:5], s[14:15], vcc
	s_waitcnt lgkmcnt(0)
	v_add_f64 v[2:3], v[2:3], v[18:19]
	s_and_b64 s[14:15], s[0:1], s[4:5]
	v_add_f64 v[2:3], v[2:3], v[20:21]
	s_barrier
	ds_write2_b64 v159, v[0:1], v[142:143] offset1:16
	ds_write2_b64 v159, v[22:23], v[2:3] offset0:32 offset1:48
	s_waitcnt lgkmcnt(0)
	s_barrier
	s_and_saveexec_b64 s[4:5], s[14:15]
	s_cbranch_execz .LBB162_122
; %bb.121:                              ;   in Loop: Header=BB162_76 Depth=1
	ds_read2_b64 v[0:3], v147 offset1:1
	ds_read2_b64 v[14:17], v147 offset0:2 offset1:3
	ds_read2_b64 v[18:21], v147 offset0:4 offset1:5
	;; [unrolled: 1-line block ×3, first 2 shown]
	v_ashrrev_i32_e32 v35, 31, v34
	s_waitcnt lgkmcnt(3)
	v_add_f64 v[0:1], v[0:1], v[2:3]
	s_waitcnt lgkmcnt(2)
	v_add_f64 v[0:1], v[0:1], v[14:15]
	v_add_f64 v[0:1], v[0:1], v[16:17]
	s_waitcnt lgkmcnt(1)
	v_add_f64 v[6:7], v[0:1], v[18:19]
	ds_read2_b64 v[0:3], v147 offset0:8 offset1:9
	ds_read2_b64 v[14:17], v147 offset0:10 offset1:11
	v_add_f64 v[6:7], v[6:7], v[20:21]
	s_waitcnt lgkmcnt(2)
	v_add_f64 v[6:7], v[6:7], v[168:169]
	v_add_f64 v[6:7], v[6:7], v[170:171]
	s_waitcnt lgkmcnt(1)
	v_add_f64 v[0:1], v[6:7], v[0:1]
	v_add_f64 v[6:7], v[0:1], v[2:3]
	ds_read2_b64 v[0:3], v147 offset0:12 offset1:13
	s_waitcnt lgkmcnt(1)
	v_add_f64 v[6:7], v[6:7], v[14:15]
	ds_read_b64 v[14:15], v147 offset:112
	ds_read_b64 v[18:19], v148
	v_add_f64 v[6:7], v[6:7], v[16:17]
	s_waitcnt lgkmcnt(2)
	v_add_f64 v[0:1], v[6:7], v[0:1]
	v_add_f64 v[0:1], v[0:1], v[2:3]
	s_waitcnt lgkmcnt(1)
	v_add_f64 v[0:1], v[0:1], v[14:15]
	s_waitcnt lgkmcnt(0)
	v_add_f64 v[0:1], v[0:1], v[18:19]
	v_lshl_add_u64 v[2:3], v[34:35], 3, s[6:7]
	global_store_dwordx2 v[2:3], v[0:1], off
.LBB162_122:                            ;   in Loop: Header=BB162_76 Depth=1
	s_or_b64 exec, exec, s[4:5]
	v_fmac_f64_e32 v[28:29], v[88:89], v[94:95]
	v_fmac_f64_e32 v[28:29], v[86:87], v[96:97]
	v_fmac_f64_e32 v[28:29], v[92:93], v[98:99]
	v_fmac_f64_e32 v[28:29], v[90:91], v[100:101]
	v_fmac_f64_e32 v[28:29], v[104:105], v[110:111]
	v_fmac_f64_e32 v[28:29], v[102:103], v[112:113]
	v_fmac_f64_e32 v[28:29], v[108:109], v[114:115]
	v_fmac_f64_e32 v[28:29], v[106:107], v[116:117]
	v_fmac_f64_e32 v[28:29], v[120:121], v[126:127]
	v_fmac_f64_e32 v[28:29], v[118:119], v[128:129]
	v_fmac_f64_e32 v[28:29], v[124:125], v[130:131]
	v_fmac_f64_e32 v[28:29], v[122:123], v[132:133]
	v_fmac_f64_e32 v[28:29], v[136:137], v[4:5]
	v_fmac_f64_e32 v[28:29], v[134:135], v[8:9]
	v_fmac_f64_e32 v[28:29], v[140:141], v[10:11]
	s_add_i32 s4, s2, 1
	s_add_i32 s8, s8, s25
	;; [unrolled: 1-line block ×3, first 2 shown]
	v_fmac_f64_e32 v[28:29], v[138:139], v[12:13]
	v_add_u32_e32 v34, 64, v34
	v_lshl_add_u64 v[38:39], v[38:39], 0, s[10:11]
	v_lshl_add_u64 v[42:43], v[42:43], 0, s[10:11]
	;; [unrolled: 1-line block ×23, first 2 shown]
	s_cmp_ge_u32 s2, s3
	v_lshl_add_u64 v[82:83], v[82:83], 0, s[10:11]
	s_barrier
	s_cbranch_scc1 .LBB162_128
; %bb.123:                              ;   in Loop: Header=BB162_76 Depth=1
	s_mov_b32 s2, s4
	s_cmp_eq_u32 s17, s2
	s_cselect_b32 s22, s33, 0
	s_and_saveexec_b64 s[4:5], s[12:13]
	s_cbranch_execnz .LBB162_73
	s_branch .LBB162_76
.LBB162_124:                            ;   in Loop: Header=BB162_76 Depth=1
                                        ; implicit-def: $vgpr90_vgpr91
                                        ; implicit-def: $vgpr92_vgpr93
                                        ; implicit-def: $vgpr86_vgpr87
                                        ; implicit-def: $vgpr88_vgpr89
	s_cbranch_execnz .LBB162_86
	s_branch .LBB162_87
.LBB162_125:                            ;   in Loop: Header=BB162_76 Depth=1
                                        ; implicit-def: $vgpr106_vgpr107
                                        ; implicit-def: $vgpr108_vgpr109
                                        ; implicit-def: $vgpr102_vgpr103
                                        ; implicit-def: $vgpr104_vgpr105
	s_cbranch_execnz .LBB162_97
	s_branch .LBB162_98
.LBB162_126:                            ;   in Loop: Header=BB162_76 Depth=1
                                        ; implicit-def: $vgpr122_vgpr123
                                        ; implicit-def: $vgpr124_vgpr125
                                        ; implicit-def: $vgpr118_vgpr119
                                        ; implicit-def: $vgpr120_vgpr121
	s_cbranch_execnz .LBB162_108
	s_branch .LBB162_109
.LBB162_127:                            ;   in Loop: Header=BB162_76 Depth=1
                                        ; implicit-def: $vgpr138_vgpr139
                                        ; implicit-def: $vgpr140_vgpr141
                                        ; implicit-def: $vgpr134_vgpr135
                                        ; implicit-def: $vgpr136_vgpr137
	s_cbranch_execnz .LBB162_119
	s_branch .LBB162_120
.LBB162_128:
	s_movk_i32 s0, 0x218
	v_cmp_gt_i32_e32 vcc, s16, v26
	v_mad_u32_u24 v0, v25, s0, v27
	s_or_b64 s[0:1], s[18:19], vcc
	s_and_b64 s[0:1], s[12:13], s[0:1]
	ds_write_b64 v0, v[28:29]
	s_waitcnt lgkmcnt(0)
	s_barrier
	s_and_saveexec_b64 s[2:3], s[0:1]
	s_cbranch_execz .LBB162_130
; %bb.129:
	ds_read2_b64 v[0:3], v27 offset1:67
	ds_read2_b64 v[4:7], v27 offset0:134 offset1:201
	v_ashrrev_i32_e32 v25, 31, v24
	s_waitcnt lgkmcnt(1)
	v_add_f64 v[0:1], v[0:1], v[2:3]
	s_waitcnt lgkmcnt(0)
	v_add_f64 v[0:1], v[0:1], v[4:5]
	v_add_f64 v[0:1], v[0:1], v[6:7]
	v_lshl_add_u64 v[2:3], v[24:25], 3, s[6:7]
	global_store_dwordx2 v[2:3], v[0:1], off
.LBB162_130:
	s_endpgm
	.section	.rodata,"a",@progbits
	.p2align	6, 0x0
	.amdhsa_kernel _ZL26rocblas_hemvn_kernel_upperILb0ELi64ELi4ELi33ELi32ELi16EiPKdPKS1_PdEviT6_lT7_lT5_lS6_lS7_lS5_lT8_i
		.amdhsa_group_segment_fixed_size 9600
		.amdhsa_private_segment_fixed_size 0
		.amdhsa_kernarg_size 376
		.amdhsa_user_sgpr_count 2
		.amdhsa_user_sgpr_dispatch_ptr 0
		.amdhsa_user_sgpr_queue_ptr 0
		.amdhsa_user_sgpr_kernarg_segment_ptr 1
		.amdhsa_user_sgpr_dispatch_id 0
		.amdhsa_user_sgpr_kernarg_preload_length 0
		.amdhsa_user_sgpr_kernarg_preload_offset 0
		.amdhsa_user_sgpr_private_segment_size 0
		.amdhsa_uses_dynamic_stack 0
		.amdhsa_enable_private_segment 0
		.amdhsa_system_sgpr_workgroup_id_x 1
		.amdhsa_system_sgpr_workgroup_id_y 0
		.amdhsa_system_sgpr_workgroup_id_z 1
		.amdhsa_system_sgpr_workgroup_info 0
		.amdhsa_system_vgpr_workitem_id 1
		.amdhsa_next_free_vgpr 172
		.amdhsa_next_free_sgpr 44
		.amdhsa_accum_offset 172
		.amdhsa_reserve_vcc 1
		.amdhsa_float_round_mode_32 0
		.amdhsa_float_round_mode_16_64 0
		.amdhsa_float_denorm_mode_32 3
		.amdhsa_float_denorm_mode_16_64 3
		.amdhsa_dx10_clamp 1
		.amdhsa_ieee_mode 1
		.amdhsa_fp16_overflow 0
		.amdhsa_tg_split 0
		.amdhsa_exception_fp_ieee_invalid_op 0
		.amdhsa_exception_fp_denorm_src 0
		.amdhsa_exception_fp_ieee_div_zero 0
		.amdhsa_exception_fp_ieee_overflow 0
		.amdhsa_exception_fp_ieee_underflow 0
		.amdhsa_exception_fp_ieee_inexact 0
		.amdhsa_exception_int_div_zero 0
	.end_amdhsa_kernel
	.section	.text._ZL26rocblas_hemvn_kernel_upperILb0ELi64ELi4ELi33ELi32ELi16EiPKdPKS1_PdEviT6_lT7_lT5_lS6_lS7_lS5_lT8_i,"axG",@progbits,_ZL26rocblas_hemvn_kernel_upperILb0ELi64ELi4ELi33ELi32ELi16EiPKdPKS1_PdEviT6_lT7_lT5_lS6_lS7_lS5_lT8_i,comdat
.Lfunc_end162:
	.size	_ZL26rocblas_hemvn_kernel_upperILb0ELi64ELi4ELi33ELi32ELi16EiPKdPKS1_PdEviT6_lT7_lT5_lS6_lS7_lS5_lT8_i, .Lfunc_end162-_ZL26rocblas_hemvn_kernel_upperILb0ELi64ELi4ELi33ELi32ELi16EiPKdPKS1_PdEviT6_lT7_lT5_lS6_lS7_lS5_lT8_i
                                        ; -- End function
	.section	.AMDGPU.csdata,"",@progbits
; Kernel info:
; codeLenInByte = 6988
; NumSgprs: 50
; NumVgprs: 172
; NumAgprs: 0
; TotalNumVgprs: 172
; ScratchSize: 0
; MemoryBound: 0
; FloatMode: 240
; IeeeMode: 1
; LDSByteSize: 9600 bytes/workgroup (compile time only)
; SGPRBlocks: 6
; VGPRBlocks: 21
; NumSGPRsForWavesPerEU: 50
; NumVGPRsForWavesPerEU: 172
; AccumOffset: 172
; Occupancy: 2
; WaveLimiterHint : 1
; COMPUTE_PGM_RSRC2:SCRATCH_EN: 0
; COMPUTE_PGM_RSRC2:USER_SGPR: 2
; COMPUTE_PGM_RSRC2:TRAP_HANDLER: 0
; COMPUTE_PGM_RSRC2:TGID_X_EN: 1
; COMPUTE_PGM_RSRC2:TGID_Y_EN: 0
; COMPUTE_PGM_RSRC2:TGID_Z_EN: 1
; COMPUTE_PGM_RSRC2:TIDIG_COMP_CNT: 1
; COMPUTE_PGM_RSRC3_GFX90A:ACCUM_OFFSET: 42
; COMPUTE_PGM_RSRC3_GFX90A:TG_SPLIT: 0
	.section	.text._ZL36rocblas_hemvn_kernel_upper_block_sumILi64EiPKdPKPddEviT1_lS5_lT2_lT0_lPT3_i,"axG",@progbits,_ZL36rocblas_hemvn_kernel_upper_block_sumILi64EiPKdPKPddEviT1_lS5_lT2_lT0_lPT3_i,comdat
	.globl	_ZL36rocblas_hemvn_kernel_upper_block_sumILi64EiPKdPKPddEviT1_lS5_lT2_lT0_lPT3_i ; -- Begin function _ZL36rocblas_hemvn_kernel_upper_block_sumILi64EiPKdPKPddEviT1_lS5_lT2_lT0_lPT3_i
	.p2align	8
	.type	_ZL36rocblas_hemvn_kernel_upper_block_sumILi64EiPKdPKPddEviT1_lS5_lT2_lT0_lPT3_i,@function
_ZL36rocblas_hemvn_kernel_upper_block_sumILi64EiPKdPKPddEviT1_lS5_lT2_lT0_lPT3_i: ; @_ZL36rocblas_hemvn_kernel_upper_block_sumILi64EiPKdPKPddEviT1_lS5_lT2_lT0_lPT3_i
; %bb.0:
	s_load_dwordx8 s[4:11], s[0:1], 0x8
	s_mov_b32 s14, s3
	s_waitcnt lgkmcnt(0)
	s_mul_i32 s3, s3, s7
	s_mul_hi_u32 s7, s14, s6
	s_add_i32 s7, s7, s3
	s_mul_i32 s6, s14, s6
	s_lshl_b64 s[6:7], s[6:7], 3
	s_add_u32 s4, s4, s6
	s_addc_u32 s5, s5, s7
	s_load_dwordx2 s[6:7], s[4:5], 0x0
	s_mul_i32 s3, s14, s11
	s_mul_hi_u32 s4, s14, s10
	s_add_i32 s5, s4, s3
	s_mul_i32 s4, s14, s10
	s_lshl_b64 s[4:5], s[4:5], 3
	s_add_u32 s4, s8, s4
	s_addc_u32 s5, s9, s5
	s_load_dwordx2 s[10:11], s[4:5], 0x0
	s_waitcnt lgkmcnt(0)
	v_cmp_eq_f64_e64 s[4:5], s[6:7], 0
	v_cmp_eq_f64_e64 s[8:9], s[10:11], 1.0
	s_and_b64 s[4:5], s[4:5], s[8:9]
	s_and_b64 vcc, exec, s[4:5]
	s_cbranch_vccnz .LBB163_19
; %bb.1:
	s_load_dwordx4 s[20:23], s[0:1], 0x28
	s_mov_b32 s15, 0
	s_lshl_b64 s[4:5], s[14:15], 3
	s_load_dword s3, s[0:1], 0x38
	s_load_dword s16, s[0:1], 0x0
	v_lshl_or_b32 v0, s2, 6, v0
	s_waitcnt lgkmcnt(0)
	s_add_u32 s4, s20, s4
	s_addc_u32 s5, s21, s5
	s_load_dwordx2 s[4:5], s[4:5], 0x0
	s_lshl_b64 s[8:9], s[22:23], 3
	v_cmp_neq_f64_e64 s[18:19], s[6:7], 0
	s_mov_b64 s[12:13], 0
	s_waitcnt lgkmcnt(0)
	s_add_u32 s8, s4, s8
	s_addc_u32 s9, s5, s9
	s_and_b64 vcc, exec, s[18:19]
	v_cmp_gt_i32_e64 s[4:5], s16, v0
	s_cbranch_vccnz .LBB163_6
; %bb.2:
	s_mov_b64 s[18:19], 0
                                        ; implicit-def: $vgpr4_vgpr5
                                        ; implicit-def: $vgpr2_vgpr3
	s_and_saveexec_b64 s[20:21], s[4:5]
	s_cbranch_execz .LBB163_7
; %bb.3:
	v_cmp_eq_f64_e64 s[4:5], s[10:11], 0
	v_mul_lo_u32 v2, v0, s3
	v_mov_b64_e32 v[4:5], 0
	v_ashrrev_i32_e32 v3, 31, v2
	s_and_b64 vcc, exec, s[4:5]
	s_cbranch_vccnz .LBB163_5
; %bb.4:
	v_lshl_add_u64 v[4:5], v[2:3], 3, s[8:9]
	global_load_dwordx2 v[4:5], v[4:5], off
	s_waitcnt vmcnt(0)
	v_mul_f64 v[4:5], s[10:11], v[4:5]
.LBB163_5:
	s_mov_b64 s[12:13], exec
	s_or_b64 exec, exec, s[20:21]
	s_and_b64 vcc, exec, s[18:19]
	s_cbranch_vccnz .LBB163_8
	s_branch .LBB163_17
.LBB163_6:
                                        ; implicit-def: $vgpr4_vgpr5
                                        ; implicit-def: $vgpr2_vgpr3
	s_cbranch_execnz .LBB163_8
	s_branch .LBB163_17
.LBB163_7:
	s_or_b64 exec, exec, s[20:21]
	s_and_b64 vcc, exec, s[18:19]
	s_cbranch_vccz .LBB163_17
.LBB163_8:
	v_cmp_gt_i32_e32 vcc, s16, v0
                                        ; implicit-def: $vgpr4_vgpr5
                                        ; implicit-def: $vgpr2_vgpr3
	s_and_saveexec_b64 s[4:5], vcc
	s_cbranch_execz .LBB163_16
; %bb.9:
	s_cmp_lt_i32 s2, 0
	v_mov_b64_e32 v[6:7], 0
	s_cbranch_scc1 .LBB163_12
; %bb.10:
	s_load_dwordx2 s[18:19], s[0:1], 0x48
	s_load_dword s15, s[0:1], 0x58
	s_ashr_i32 s17, s16, 31
	s_mul_hi_u32 s0, s16, s14
	s_mul_i32 s1, s17, s14
	s_add_i32 s0, s0, s1
	s_mul_i32 s14, s16, s14
	s_waitcnt lgkmcnt(0)
	s_mul_i32 s0, s0, s15
	s_mul_hi_u32 s1, s14, s15
	s_add_i32 s1, s1, s0
	s_mul_i32 s0, s14, s15
	s_lshl_b64 s[0:1], s[0:1], 3
	s_add_u32 s0, s18, s0
	s_addc_u32 s1, s19, s1
	v_mov_b32_e32 v1, 0
	v_lshl_add_u64 v[2:3], v[0:1], 3, s[0:1]
	s_add_i32 s2, s2, 1
	s_lshl_b64 s[0:1], s[16:17], 3
	v_mov_b64_e32 v[6:7], 0
.LBB163_11:                             ; =>This Inner Loop Header: Depth=1
	global_load_dwordx2 v[4:5], v[2:3], off
	s_add_i32 s2, s2, -1
	v_lshl_add_u64 v[2:3], v[2:3], 0, s[0:1]
	s_cmp_eq_u32 s2, 0
	s_waitcnt vmcnt(0)
	v_add_f64 v[6:7], v[6:7], v[4:5]
	s_cbranch_scc0 .LBB163_11
.LBB163_12:
	v_cmp_eq_f64_e64 s[14:15], s[10:11], 0
	v_mul_lo_u32 v2, v0, s3
	s_mov_b64 s[0:1], 0
	s_and_b64 vcc, exec, s[14:15]
	v_ashrrev_i32_e32 v3, 31, v2
	s_cbranch_vccz .LBB163_20
; %bb.13:
	v_mul_f64 v[4:5], s[6:7], v[6:7]
	s_andn2_b64 vcc, exec, s[0:1]
	s_cbranch_vccnz .LBB163_15
.LBB163_14:
	v_lshl_add_u64 v[0:1], v[2:3], 3, s[8:9]
	global_load_dwordx2 v[0:1], v[0:1], off
	s_waitcnt vmcnt(0)
	v_mul_f64 v[4:5], s[10:11], v[0:1]
	v_fmac_f64_e32 v[4:5], s[6:7], v[6:7]
.LBB163_15:
	s_or_b64 s[12:13], s[12:13], exec
.LBB163_16:
	s_or_b64 exec, exec, s[4:5]
.LBB163_17:
	s_and_saveexec_b64 s[0:1], s[12:13]
	s_cbranch_execz .LBB163_19
; %bb.18:
	v_lshl_add_u64 v[0:1], v[2:3], 3, s[8:9]
	global_store_dwordx2 v[0:1], v[4:5], off
.LBB163_19:
	s_endpgm
.LBB163_20:
                                        ; implicit-def: $vgpr4_vgpr5
	s_branch .LBB163_14
	.section	.rodata,"a",@progbits
	.p2align	6, 0x0
	.amdhsa_kernel _ZL36rocblas_hemvn_kernel_upper_block_sumILi64EiPKdPKPddEviT1_lS5_lT2_lT0_lPT3_i
		.amdhsa_group_segment_fixed_size 0
		.amdhsa_private_segment_fixed_size 0
		.amdhsa_kernarg_size 344
		.amdhsa_user_sgpr_count 2
		.amdhsa_user_sgpr_dispatch_ptr 0
		.amdhsa_user_sgpr_queue_ptr 0
		.amdhsa_user_sgpr_kernarg_segment_ptr 1
		.amdhsa_user_sgpr_dispatch_id 0
		.amdhsa_user_sgpr_kernarg_preload_length 0
		.amdhsa_user_sgpr_kernarg_preload_offset 0
		.amdhsa_user_sgpr_private_segment_size 0
		.amdhsa_uses_dynamic_stack 0
		.amdhsa_enable_private_segment 0
		.amdhsa_system_sgpr_workgroup_id_x 1
		.amdhsa_system_sgpr_workgroup_id_y 0
		.amdhsa_system_sgpr_workgroup_id_z 1
		.amdhsa_system_sgpr_workgroup_info 0
		.amdhsa_system_vgpr_workitem_id 0
		.amdhsa_next_free_vgpr 8
		.amdhsa_next_free_sgpr 24
		.amdhsa_accum_offset 8
		.amdhsa_reserve_vcc 1
		.amdhsa_float_round_mode_32 0
		.amdhsa_float_round_mode_16_64 0
		.amdhsa_float_denorm_mode_32 3
		.amdhsa_float_denorm_mode_16_64 3
		.amdhsa_dx10_clamp 1
		.amdhsa_ieee_mode 1
		.amdhsa_fp16_overflow 0
		.amdhsa_tg_split 0
		.amdhsa_exception_fp_ieee_invalid_op 0
		.amdhsa_exception_fp_denorm_src 0
		.amdhsa_exception_fp_ieee_div_zero 0
		.amdhsa_exception_fp_ieee_overflow 0
		.amdhsa_exception_fp_ieee_underflow 0
		.amdhsa_exception_fp_ieee_inexact 0
		.amdhsa_exception_int_div_zero 0
	.end_amdhsa_kernel
	.section	.text._ZL36rocblas_hemvn_kernel_upper_block_sumILi64EiPKdPKPddEviT1_lS5_lT2_lT0_lPT3_i,"axG",@progbits,_ZL36rocblas_hemvn_kernel_upper_block_sumILi64EiPKdPKPddEviT1_lS5_lT2_lT0_lPT3_i,comdat
.Lfunc_end163:
	.size	_ZL36rocblas_hemvn_kernel_upper_block_sumILi64EiPKdPKPddEviT1_lS5_lT2_lT0_lPT3_i, .Lfunc_end163-_ZL36rocblas_hemvn_kernel_upper_block_sumILi64EiPKdPKPddEviT1_lS5_lT2_lT0_lPT3_i
                                        ; -- End function
	.section	.AMDGPU.csdata,"",@progbits
; Kernel info:
; codeLenInByte = 612
; NumSgprs: 30
; NumVgprs: 8
; NumAgprs: 0
; TotalNumVgprs: 8
; ScratchSize: 0
; MemoryBound: 0
; FloatMode: 240
; IeeeMode: 1
; LDSByteSize: 0 bytes/workgroup (compile time only)
; SGPRBlocks: 3
; VGPRBlocks: 0
; NumSGPRsForWavesPerEU: 30
; NumVGPRsForWavesPerEU: 8
; AccumOffset: 8
; Occupancy: 8
; WaveLimiterHint : 1
; COMPUTE_PGM_RSRC2:SCRATCH_EN: 0
; COMPUTE_PGM_RSRC2:USER_SGPR: 2
; COMPUTE_PGM_RSRC2:TRAP_HANDLER: 0
; COMPUTE_PGM_RSRC2:TGID_X_EN: 1
; COMPUTE_PGM_RSRC2:TGID_Y_EN: 0
; COMPUTE_PGM_RSRC2:TGID_Z_EN: 1
; COMPUTE_PGM_RSRC2:TIDIG_COMP_CNT: 0
; COMPUTE_PGM_RSRC3_GFX90A:ACCUM_OFFSET: 1
; COMPUTE_PGM_RSRC3_GFX90A:TG_SPLIT: 0
	.section	.text._ZL26rocblas_hemvn_kernel_upperILb0ELi64ELi4ELi33ELi32ELi16EldPKPKdPdEviT6_lT7_lT5_lS6_lS7_lS5_lT8_i,"axG",@progbits,_ZL26rocblas_hemvn_kernel_upperILb0ELi64ELi4ELi33ELi32ELi16EldPKPKdPdEviT6_lT7_lT5_lS6_lS7_lS5_lT8_i,comdat
	.globl	_ZL26rocblas_hemvn_kernel_upperILb0ELi64ELi4ELi33ELi32ELi16EldPKPKdPdEviT6_lT7_lT5_lS6_lS7_lS5_lT8_i ; -- Begin function _ZL26rocblas_hemvn_kernel_upperILb0ELi64ELi4ELi33ELi32ELi16EldPKPKdPdEviT6_lT7_lT5_lS6_lS7_lS5_lT8_i
	.p2align	8
	.type	_ZL26rocblas_hemvn_kernel_upperILb0ELi64ELi4ELi33ELi32ELi16EldPKPKdPdEviT6_lT7_lT5_lS6_lS7_lS5_lT8_i,@function
_ZL26rocblas_hemvn_kernel_upperILb0ELi64ELi4ELi33ELi32ELi16EldPKPKdPdEviT6_lT7_lT5_lS6_lS7_lS5_lT8_i: ; @_ZL26rocblas_hemvn_kernel_upperILb0ELi64ELi4ELi33ELi32ELi16EldPKPKdPdEviT6_lT7_lT5_lS6_lS7_lS5_lT8_i
; %bb.0:
	s_load_dwordx2 s[4:5], s[0:1], 0x84
	s_add_u32 s14, s0, 0x78
	s_mov_b32 s26, s3
	s_addc_u32 s15, s1, 0
	s_waitcnt lgkmcnt(0)
	s_and_b32 s3, s5, 0xffff
	s_lshr_b32 s5, s4, 16
	s_and_b32 s4, s4, 0xffff
	s_mul_i32 s4, s5, s4
	s_mul_i32 s4, s4, s3
	s_cmpk_lg_i32 s4, 0x100
	s_cbranch_scc1 .LBB164_130
; %bb.1:
	s_load_dwordx2 s[8:9], s[0:1], 0x8
	s_load_dwordx2 s[4:5], s[0:1], 0x58
	s_waitcnt lgkmcnt(0)
	v_cmp_eq_f64_e64 s[10:11], s[8:9], 0
	v_cmp_eq_f64_e64 s[4:5], s[4:5], 1.0
	s_and_b64 s[4:5], s[10:11], s[4:5]
	s_and_b64 vcc, exec, s[4:5]
	s_cbranch_vccnz .LBB164_130
; %bb.2:
	s_load_dwordx4 s[4:7], s[0:1], 0x18
	s_load_dwordx2 s[24:25], s[0:1], 0x28
	s_mov_b64 s[16:17], 0
	v_cmp_neq_f64_e64 s[20:21], s[8:9], 0
	s_and_b64 vcc, exec, s[10:11]
	s_mov_b64 s[12:13], 0
	s_cbranch_vccnz .LBB164_4
; %bb.3:
	s_mov_b32 s27, 0
	s_lshl_b64 s[8:9], s[26:27], 3
	s_waitcnt lgkmcnt(0)
	s_add_u32 s4, s4, s8
	s_addc_u32 s5, s5, s9
	s_load_dwordx2 s[4:5], s[4:5], 0x0
	s_lshl_b64 s[6:7], s[6:7], 3
	s_waitcnt lgkmcnt(0)
	s_add_u32 s12, s4, s6
	s_addc_u32 s13, s5, s7
.LBB164_4:
	s_load_dwordx4 s[8:11], s[0:1], 0x38
	s_load_dwordx2 s[18:19], s[0:1], 0x48
	v_cndmask_b32_e64 v1, 0, 1, s[20:21]
	s_waitcnt lgkmcnt(0)
	v_cmp_ne_u32_e64 s[4:5], 1, v1
	s_andn2_b64 vcc, exec, s[20:21]
	s_cbranch_vccnz .LBB164_6
; %bb.5:
	s_mov_b32 s27, 0
	s_lshl_b64 s[6:7], s[26:27], 3
	s_add_u32 s6, s8, s6
	s_addc_u32 s7, s9, s7
	s_load_dwordx2 s[6:7], s[6:7], 0x0
	s_lshl_b64 s[8:9], s[10:11], 3
	s_waitcnt lgkmcnt(0)
	s_add_u32 s16, s6, s8
	s_addc_u32 s17, s7, s9
.LBB164_6:
	s_and_b64 vcc, exec, s[4:5]
	s_cbranch_vccnz .LBB164_130
; %bb.7:
	s_load_dword s3, s[14:15], 0x0
	s_load_dword s33, s[0:1], 0x0
	v_and_b32_e32 v122, 0x3ff, v0
	s_lshl_b32 s28, s2, 6
	v_add_u32_e32 v24, s28, v122
	s_waitcnt lgkmcnt(0)
	s_add_i32 s4, s3, -1
	s_ashr_i32 s36, s33, 31
	s_lshr_b32 s5, s36, 26
	s_add_i32 s5, s33, s5
	s_andn2_b32 s5, s5, 63
	s_sub_i32 s27, s33, s5
	v_ashrrev_i32_e32 v25, 31, v24
	v_bfe_u32 v123, v0, 10, 10
	s_cmp_eq_u32 s2, s4
	v_mul_lo_u32 v2, v25, s18
	v_mul_lo_u32 v3, v24, s19
	v_mad_u64_u32 v[0:1], s[4:5], v24, s18, 0
	v_add3_u32 v1, v1, v3, v2
	s_cselect_b32 s20, s27, 0
	v_lshl_add_u64 v[12:13], v[0:1], 3, s[16:17]
	v_cmp_eq_u32_e64 s[14:15], 0, v123
	s_and_saveexec_b64 s[4:5], s[14:15]
	s_cbranch_execz .LBB164_11
; %bb.8:
	s_cmp_eq_u32 s20, 0
	s_cselect_b64 s[6:7], -1, 0
	v_cmp_gt_i32_e32 vcc, s20, v122
	s_or_b64 s[8:9], s[6:7], vcc
	v_mov_b64_e32 v[0:1], 0
	s_and_saveexec_b64 s[6:7], s[8:9]
	s_cbranch_execz .LBB164_10
; %bb.9:
	flat_load_dwordx2 v[0:1], v[12:13]
.LBB164_10:
	s_or_b64 exec, exec, s[6:7]
	v_lshlrev_b32_e32 v2, 3, v122
	s_waitcnt vmcnt(0) lgkmcnt(0)
	ds_write_b64 v2, v[0:1] offset:9088
.LBB164_11:
	s_or_b64 exec, exec, s[4:5]
	s_ashr_i32 s29, s28, 31
	v_lshl_add_u32 v22, v123, 6, v122
	s_lshl_b64 s[4:5], s[28:29], 3
	v_and_b32_e32 v0, 31, v122
	v_lshrrev_b32_e32 v18, 5, v22
	s_add_u32 s6, s12, s4
	v_mov_b32_e32 v1, 0
	s_addc_u32 s7, s13, s5
	v_mad_u64_u32 v[14:15], s[4:5], v18, s24, v[0:1]
	v_mov_b32_e32 v2, v15
	v_mad_u64_u32 v[2:3], s[4:5], v18, s25, v[2:3]
	s_mul_i32 s4, s28, s25
	s_mul_hi_u32 s5, s28, s24
	s_add_i32 s4, s5, s4
	s_mul_i32 s5, s29, s24
	s_add_i32 s5, s4, s5
	s_mul_i32 s4, s28, s24
	s_lshl_b64 s[4:5], s[4:5], 3
	s_add_u32 s4, s4, s6
	s_addc_u32 s5, s5, s7
	s_cmp_eq_u32 s20, 0
	s_cselect_b64 s[22:23], -1, 0
	s_cmp_lg_u32 s20, 0
	v_mov_b32_e32 v15, v2
	s_cselect_b64 s[30:31], -1, 0
	v_lshl_add_u64 v[6:7], v[14:15], 3, s[4:5]
	s_and_b64 vcc, exec, s[30:31]
	v_cmp_gt_i32_e64 s[4:5], s20, v0
	v_lshlrev_b32_e32 v2, 3, v0
	s_mul_i32 s37, s25, 0xc0
	s_cbranch_vccz .LBB164_21
; %bb.12:
	v_sub_co_u32_e32 v4, vcc, v6, v2
	s_ashr_i32 s21, s20, 31
	s_nop 0
	v_subbrev_co_u32_e32 v5, vcc, 0, v7, vcc
	v_lshl_add_u64 v[4:5], s[20:21], 3, v[4:5]
	v_lshl_add_u64 v[4:5], v[4:5], 0, -8
	v_mov_b64_e32 v[8:9], 0
	v_cndmask_b32_e64 v5, v5, v7, s[4:5]
	v_cndmask_b32_e64 v4, v4, v6, s[4:5]
	v_cmp_gt_i32_e32 vcc, s20, v18
	v_mov_b64_e32 v[10:11], v[8:9]
	s_and_saveexec_b64 s[6:7], vcc
	s_cbranch_execz .LBB164_14
; %bb.13:
	flat_load_dwordx2 v[10:11], v[4:5]
.LBB164_14:
	s_or_b64 exec, exec, s[6:7]
	v_mul_u32_u24_e32 v1, 33, v18
	v_add_u32_e32 v3, 8, v18
	v_add_lshl_u32 v1, v1, v0, 3
	v_cmp_gt_i32_e32 vcc, s20, v3
	s_waitcnt vmcnt(0) lgkmcnt(0)
	ds_write_b64 v1, v[10:11]
	s_and_saveexec_b64 s[6:7], vcc
	s_cbranch_execz .LBB164_16
; %bb.15:
	s_lshl_b64 s[8:9], s[24:25], 6
	v_lshl_add_u64 v[8:9], v[4:5], 0, s[8:9]
	flat_load_dwordx2 v[8:9], v[8:9]
.LBB164_16:
	s_or_b64 exec, exec, s[6:7]
	s_waitcnt vmcnt(0) lgkmcnt(0)
	ds_write_b64 v1, v[8:9] offset:2112
	v_add_u32_e32 v3, 16, v18
	v_mov_b64_e32 v[8:9], 0
	v_cmp_gt_i32_e32 vcc, s20, v3
	v_mov_b64_e32 v[10:11], v[8:9]
	s_and_saveexec_b64 s[6:7], vcc
	s_cbranch_execz .LBB164_18
; %bb.17:
	s_lshl_b64 s[8:9], s[24:25], 7
	v_lshl_add_u64 v[10:11], v[4:5], 0, s[8:9]
	flat_load_dwordx2 v[10:11], v[10:11]
.LBB164_18:
	s_or_b64 exec, exec, s[6:7]
	v_add_u32_e32 v3, 24, v18
	v_cmp_gt_i32_e32 vcc, s20, v3
	s_waitcnt vmcnt(0) lgkmcnt(0)
	ds_write_b64 v1, v[10:11] offset:4224
	s_and_saveexec_b64 s[6:7], vcc
	s_cbranch_execz .LBB164_20
; %bb.19:
	v_mov_b32_e32 v3, 0xc0
	v_mad_u64_u32 v[8:9], s[8:9], s24, v3, v[4:5]
	v_add_u32_e32 v9, s37, v9
	flat_load_dwordx2 v[8:9], v[8:9]
.LBB164_20:
	s_or_b64 exec, exec, s[6:7]
	v_mov_b32_e32 v3, 0
	v_lshl_add_u64 v[4:5], v[4:5], 0, v[2:3]
	s_lshl_b64 s[6:7], s[20:21], 3
	s_waitcnt vmcnt(0) lgkmcnt(0)
	ds_write_b64 v1, v[8:9] offset:6336
	v_mov_b32_e32 v1, s7
	v_subrev_co_u32_e32 v4, vcc, s6, v4
	s_nop 1
	v_subb_co_u32_e32 v5, vcc, v5, v1, vcc
	v_lshl_add_u64 v[4:5], v[4:5], 0, 8
	v_cndmask_b32_e64 v5, v5, v7, s[4:5]
	v_cndmask_b32_e64 v4, v4, v6, s[4:5]
	v_mul_u32_u24_e32 v19, 33, v18
	s_branch .LBB164_23
.LBB164_21:
                                        ; implicit-def: $vgpr4_vgpr5
	v_mul_u32_u24_e32 v19, 33, v18
	s_cbranch_execz .LBB164_23
; %bb.22:
	flat_load_dwordx2 v[4:5], v[6:7]
	v_add_lshl_u32 v1, v19, v0, 3
	s_lshl_b64 s[4:5], s[24:25], 6
	v_lshl_add_u64 v[8:9], v[6:7], 0, s[4:5]
	v_mov_b32_e32 v3, 0xc0
	s_waitcnt vmcnt(0) lgkmcnt(0)
	ds_write_b64 v1, v[4:5]
	flat_load_dwordx2 v[4:5], v[8:9]
	v_lshl_add_u64 v[8:9], v[8:9], 0, s[4:5]
	s_waitcnt vmcnt(0) lgkmcnt(0)
	ds_write_b64 v1, v[4:5] offset:2112
	flat_load_dwordx2 v[4:5], v[8:9]
	v_mad_u64_u32 v[8:9], s[4:5], s24, v3, v[6:7]
	v_add_u32_e32 v9, s37, v9
	s_waitcnt vmcnt(0) lgkmcnt(0)
	ds_write_b64 v1, v[4:5] offset:4224
	flat_load_dwordx2 v[4:5], v[8:9]
	s_waitcnt vmcnt(0) lgkmcnt(0)
	ds_write_b64 v1, v[4:5] offset:6336
	v_mov_b64_e32 v[4:5], v[6:7]
.LBB164_23:
	v_lshlrev_b32_e32 v3, 2, v18
	v_mul_u32_u24_e32 v1, 33, v0
	v_cmp_gt_u32_e64 s[6:7], v3, v0
	v_add_lshl_u32 v21, v3, v1, 3
	s_waitcnt lgkmcnt(0)
	s_barrier
	s_and_saveexec_b64 s[4:5], s[6:7]
	s_cbranch_execz .LBB164_25
; %bb.24:
	v_mul_u32_u24_e32 v6, 0x84, v18
	v_add_lshl_u32 v6, v6, v0, 3
	ds_read_b64 v[6:7], v6
	s_waitcnt lgkmcnt(0)
	ds_write_b64 v21, v[6:7]
.LBB164_25:
	s_or_b64 exec, exec, s[4:5]
	v_cmp_ge_u32_e64 s[8:9], v3, v0
	s_and_saveexec_b64 s[4:5], s[8:9]
	s_cbranch_execz .LBB164_27
; %bb.26:
	v_or_b32_e32 v6, 1, v3
	v_mul_u32_u24_e32 v6, 33, v6
	v_add_lshl_u32 v6, v6, v0, 3
	ds_read_b64 v[6:7], v6
	s_waitcnt lgkmcnt(0)
	ds_write_b64 v21, v[6:7] offset:8
.LBB164_27:
	s_or_b64 exec, exec, s[4:5]
	v_or_b32_e32 v6, 2, v3
	v_cmp_gt_u32_e64 s[10:11], v6, v0
	s_and_saveexec_b64 s[4:5], s[10:11]
	s_cbranch_execz .LBB164_29
; %bb.28:
	v_mul_u32_u24_e32 v6, 33, v6
	v_add_lshl_u32 v6, v6, v0, 3
	ds_read_b64 v[6:7], v6
	s_waitcnt lgkmcnt(0)
	ds_write_b64 v21, v[6:7] offset:16
.LBB164_29:
	s_or_b64 exec, exec, s[4:5]
	v_or_b32_e32 v6, 3, v3
	v_cmp_gt_u32_e64 s[12:13], v6, v0
	v_mad_u32_u24 v6, v6, 33, v0
	v_lshlrev_b32_e32 v29, 3, v6
	s_and_saveexec_b64 s[4:5], s[12:13]
	s_cbranch_execz .LBB164_31
; %bb.30:
	ds_read_b64 v[6:7], v29
	s_waitcnt lgkmcnt(0)
	ds_write_b64 v21, v[6:7] offset:24
.LBB164_31:
	s_or_b64 exec, exec, s[4:5]
	v_mul_u32_u24_e32 v6, 0x84, v18
	v_add_lshl_u32 v20, v6, v0, 3
	s_waitcnt lgkmcnt(0)
	s_barrier
	v_lshlrev_b32_e32 v31, 3, v3
	ds_read_b64 v[10:11], v20
	ds_read_b128 v[6:9], v31 offset:9088
	v_add_u32_e32 v30, 0xfffffdf0, v29
	ds_read2_b64 v[32:35], v30 offset1:33
	ds_read_b128 v[36:39], v31 offset:9104
	ds_read_b64 v[16:17], v29
	v_mov_b64_e32 v[26:27], 0
	v_add_lshl_u32 v28, v18, v1, 3
	s_waitcnt lgkmcnt(3)
	v_fma_f64 v[6:7], v[10:11], v[6:7], 0
	s_waitcnt lgkmcnt(2)
	v_fmac_f64_e32 v[6:7], v[32:33], v[8:9]
	s_waitcnt lgkmcnt(1)
	v_fmac_f64_e32 v[6:7], v[34:35], v[36:37]
	;; [unrolled: 2-line block ×3, first 2 shown]
	v_cmp_gt_u32_e64 s[4:5], 32, v22
	v_lshlrev_b32_e32 v23, 3, v1
	s_barrier
	ds_write_b64 v28, v[6:7]
	s_waitcnt lgkmcnt(0)
	s_barrier
	s_and_saveexec_b64 s[16:17], s[4:5]
	s_cbranch_execz .LBB164_33
; %bb.32:
	ds_read2_b64 v[6:9], v23 offset1:1
	ds_read2_b64 v[32:35], v23 offset0:2 offset1:3
	ds_read2_b64 v[36:39], v23 offset0:4 offset1:5
	s_waitcnt lgkmcnt(2)
	v_add_f64 v[10:11], v[6:7], v[8:9]
	ds_read2_b64 v[6:9], v23 offset0:6 offset1:7
	s_waitcnt lgkmcnt(2)
	v_add_f64 v[10:11], v[10:11], v[32:33]
	v_add_f64 v[10:11], v[10:11], v[34:35]
	s_waitcnt lgkmcnt(1)
	v_add_f64 v[10:11], v[10:11], v[36:37]
	v_add_f64 v[10:11], v[10:11], v[38:39]
	;; [unrolled: 3-line block ×3, first 2 shown]
.LBB164_33:
	s_or_b64 exec, exec, s[16:17]
	s_lshl_b64 s[16:17], s[24:25], 8
	v_lshl_add_u64 v[8:9], v[4:5], 0, s[16:17]
	s_mov_b64 s[16:17], 0x100
	v_lshl_add_u64 v[6:7], v[8:9], 0, s[16:17]
	s_and_b64 vcc, exec, s[30:31]
	s_barrier
	s_cbranch_vccz .LBB164_43
; %bb.34:
	v_or_b32_e32 v3, 32, v0
	v_lshlrev_b32_e32 v4, 3, v3
	v_sub_co_u32_e32 v4, vcc, v6, v4
	s_ashr_i32 s21, s20, 31
	s_nop 0
	v_subbrev_co_u32_e32 v5, vcc, 0, v7, vcc
	v_lshl_add_u64 v[4:5], s[20:21], 3, v[4:5]
	v_lshl_add_u64 v[4:5], v[4:5], 0, -8
	v_cmp_gt_i32_e32 vcc, s20, v3
	s_sub_i32 s38, s20, 32
	v_mov_b64_e32 v[10:11], 0
	v_cndmask_b32_e32 v5, v5, v7, vcc
	v_cndmask_b32_e32 v4, v4, v6, vcc
	v_cmp_gt_i32_e64 s[16:17], s38, v18
	v_mov_b64_e32 v[16:17], v[10:11]
	s_and_saveexec_b64 s[34:35], s[16:17]
	s_cbranch_execz .LBB164_36
; %bb.35:
	flat_load_dwordx2 v[16:17], v[4:5]
.LBB164_36:
	s_or_b64 exec, exec, s[34:35]
	v_add_lshl_u32 v3, v19, v0, 3
	s_waitcnt vmcnt(0) lgkmcnt(0)
	ds_write_b64 v3, v[16:17]
	v_add_u32_e32 v16, 8, v18
	v_cmp_gt_i32_e64 s[16:17], s38, v16
	s_and_saveexec_b64 s[34:35], s[16:17]
	s_cbranch_execz .LBB164_38
; %bb.37:
	s_lshl_b64 s[16:17], s[24:25], 6
	v_lshl_add_u64 v[10:11], v[4:5], 0, s[16:17]
	flat_load_dwordx2 v[10:11], v[10:11]
.LBB164_38:
	s_or_b64 exec, exec, s[34:35]
	s_waitcnt vmcnt(0) lgkmcnt(0)
	ds_write_b64 v3, v[10:11] offset:2112
	v_add_u32_e32 v10, 16, v18
	v_cmp_gt_i32_e64 s[16:17], s38, v10
	v_mov_b64_e32 v[10:11], 0
	v_mov_b64_e32 v[16:17], v[10:11]
	s_and_saveexec_b64 s[34:35], s[16:17]
	s_cbranch_execz .LBB164_40
; %bb.39:
	s_lshl_b64 s[16:17], s[24:25], 7
	v_lshl_add_u64 v[16:17], v[4:5], 0, s[16:17]
	flat_load_dwordx2 v[16:17], v[16:17]
.LBB164_40:
	s_or_b64 exec, exec, s[34:35]
	s_waitcnt vmcnt(0) lgkmcnt(0)
	ds_write_b64 v3, v[16:17] offset:4224
	v_add_u32_e32 v16, 24, v18
	v_cmp_gt_i32_e64 s[16:17], s38, v16
	s_and_saveexec_b64 s[34:35], s[16:17]
	s_cbranch_execz .LBB164_42
; %bb.41:
	v_mov_b32_e32 v10, 0xc0
	v_mad_u64_u32 v[10:11], s[16:17], s24, v10, v[4:5]
	v_add_u32_e32 v11, s37, v11
	flat_load_dwordx2 v[10:11], v[10:11]
.LBB164_42:
	s_or_b64 exec, exec, s[34:35]
	s_waitcnt vmcnt(0) lgkmcnt(0)
	ds_write_b64 v3, v[10:11] offset:6336
	v_mov_b32_e32 v3, 0
	v_lshl_add_u64 v[4:5], v[4:5], 0, v[2:3]
	s_lshl_b64 s[16:17], s[20:21], 3
	v_mov_b32_e32 v3, s17
	v_subrev_co_u32_e64 v4, s[16:17], s16, v4
	s_nop 1
	v_subb_co_u32_e64 v5, s[16:17], v5, v3, s[16:17]
	s_mov_b64 s[16:17], 0x108
	s_nop 0
	v_lshl_add_u64 v[4:5], v[4:5], 0, s[16:17]
	v_cndmask_b32_e32 v5, v5, v7, vcc
	v_cndmask_b32_e32 v4, v4, v6, vcc
	s_branch .LBB164_45
.LBB164_43:
                                        ; implicit-def: $vgpr4_vgpr5
	s_cbranch_execz .LBB164_45
; %bb.44:
	flat_load_dwordx2 v[4:5], v[8:9] offset:256
	v_add_lshl_u32 v3, v19, v0, 3
	s_lshl_b64 s[16:17], s[24:25], 6
	v_lshl_add_u64 v[10:11], v[8:9], 0, s[16:17]
	s_waitcnt vmcnt(0) lgkmcnt(0)
	ds_write_b64 v3, v[4:5]
	flat_load_dwordx2 v[4:5], v[10:11] offset:256
	v_lshl_add_u64 v[10:11], v[10:11], 0, s[16:17]
	s_waitcnt vmcnt(0) lgkmcnt(0)
	ds_write_b64 v3, v[4:5] offset:2112
	flat_load_dwordx2 v[4:5], v[10:11] offset:256
	v_mov_b32_e32 v10, 0xc0
	v_mad_u64_u32 v[8:9], s[16:17], s24, v10, v[8:9]
	v_add_u32_e32 v9, s37, v9
	s_waitcnt vmcnt(0) lgkmcnt(0)
	ds_write_b64 v3, v[4:5] offset:4224
	flat_load_dwordx2 v[4:5], v[8:9] offset:256
	s_waitcnt vmcnt(0) lgkmcnt(0)
	ds_write_b64 v3, v[4:5] offset:6336
	v_mov_b64_e32 v[4:5], v[6:7]
.LBB164_45:
	s_waitcnt lgkmcnt(0)
	s_barrier
	s_and_saveexec_b64 s[16:17], s[6:7]
	s_cbranch_execnz .LBB164_62
; %bb.46:
	s_or_b64 exec, exec, s[16:17]
	s_and_saveexec_b64 s[6:7], s[8:9]
	s_cbranch_execnz .LBB164_63
.LBB164_47:
	s_or_b64 exec, exec, s[6:7]
	s_and_saveexec_b64 s[6:7], s[10:11]
	s_cbranch_execnz .LBB164_64
.LBB164_48:
	s_or_b64 exec, exec, s[6:7]
	v_add_u32_e32 v31, 0x2380, v31
	s_and_saveexec_b64 s[6:7], s[12:13]
	s_cbranch_execz .LBB164_50
.LBB164_49:
	ds_read_b64 v[6:7], v29
	s_waitcnt lgkmcnt(0)
	ds_write_b64 v21, v[6:7] offset:24
.LBB164_50:
	s_or_b64 exec, exec, s[6:7]
	s_waitcnt lgkmcnt(0)
	s_barrier
	ds_read_b64 v[10:11], v20
	ds_read_b128 v[6:9], v31 offset:256
	ds_read2_b64 v[32:35], v30 offset1:33
	ds_read_b128 v[36:39], v31 offset:272
	ds_read_b64 v[16:17], v29
	v_cmp_eq_u32_e64 s[6:7], 1, v18
	s_waitcnt lgkmcnt(3)
	v_fma_f64 v[6:7], v[10:11], v[6:7], 0
	s_waitcnt lgkmcnt(2)
	v_fmac_f64_e32 v[6:7], v[32:33], v[8:9]
	s_waitcnt lgkmcnt(1)
	v_fmac_f64_e32 v[6:7], v[34:35], v[36:37]
	;; [unrolled: 2-line block ×3, first 2 shown]
	s_barrier
	ds_write_b64 v28, v[6:7]
	s_waitcnt lgkmcnt(0)
	s_barrier
	s_and_saveexec_b64 s[8:9], s[6:7]
	s_cbranch_execz .LBB164_52
; %bb.51:
	ds_read2_b64 v[6:9], v23 offset1:1
	ds_read2_b64 v[32:35], v23 offset0:2 offset1:3
	ds_read2_b64 v[36:39], v23 offset0:4 offset1:5
	s_waitcnt lgkmcnt(2)
	v_add_f64 v[10:11], v[6:7], v[8:9]
	ds_read2_b64 v[6:9], v23 offset0:6 offset1:7
	s_waitcnt lgkmcnt(2)
	v_add_f64 v[10:11], v[10:11], v[32:33]
	v_add_f64 v[10:11], v[10:11], v[34:35]
	s_waitcnt lgkmcnt(1)
	v_add_f64 v[10:11], v[10:11], v[36:37]
	v_add_f64 v[10:11], v[10:11], v[38:39]
	;; [unrolled: 3-line block ×3, first 2 shown]
.LBB164_52:
	s_or_b64 exec, exec, s[8:9]
	s_movk_i32 s8, 0xff00
	s_mov_b32 s9, -1
	v_lshl_add_u64 v[4:5], v[4:5], 0, s[8:9]
	s_and_b64 vcc, exec, s[30:31]
	s_barrier
	s_cbranch_vccz .LBB164_65
; %bb.53:
	v_sub_co_u32_e32 v6, vcc, v4, v2
	s_ashr_i32 s21, s20, 31
	s_nop 0
	v_subbrev_co_u32_e32 v7, vcc, 0, v5, vcc
	v_lshl_add_u64 v[6:7], s[20:21], 3, v[6:7]
	v_lshl_add_u64 v[6:7], v[6:7], 0, -8
	v_cmp_gt_i32_e32 vcc, s20, v0
	s_sub_i32 s12, s20, 32
	v_mov_b64_e32 v[8:9], 0
	v_cndmask_b32_e32 v7, v7, v5, vcc
	v_cndmask_b32_e32 v6, v6, v4, vcc
	v_cmp_gt_i32_e64 s[8:9], s12, v18
	v_mov_b64_e32 v[10:11], v[8:9]
	s_and_saveexec_b64 s[10:11], s[8:9]
	s_cbranch_execz .LBB164_55
; %bb.54:
	flat_load_dwordx2 v[10:11], v[6:7]
.LBB164_55:
	s_or_b64 exec, exec, s[10:11]
	v_add_u32_e32 v21, 8, v18
	v_add_lshl_u32 v3, v19, v0, 3
	v_cmp_gt_i32_e64 s[8:9], s12, v21
	s_waitcnt vmcnt(0) lgkmcnt(0)
	ds_write_b64 v3, v[10:11]
	s_and_saveexec_b64 s[10:11], s[8:9]
	s_cbranch_execz .LBB164_57
; %bb.56:
	s_lshl_b64 s[8:9], s[24:25], 6
	v_lshl_add_u64 v[8:9], v[6:7], 0, s[8:9]
	flat_load_dwordx2 v[8:9], v[8:9]
.LBB164_57:
	s_or_b64 exec, exec, s[10:11]
	s_waitcnt vmcnt(0) lgkmcnt(0)
	ds_write_b64 v3, v[8:9] offset:2112
	v_add_u32_e32 v32, 16, v18
	v_mov_b64_e32 v[8:9], 0
	v_cmp_gt_i32_e64 s[8:9], s12, v32
	v_mov_b64_e32 v[10:11], v[8:9]
	s_and_saveexec_b64 s[10:11], s[8:9]
	s_cbranch_execz .LBB164_59
; %bb.58:
	s_lshl_b64 s[8:9], s[24:25], 7
	v_lshl_add_u64 v[10:11], v[6:7], 0, s[8:9]
	flat_load_dwordx2 v[10:11], v[10:11]
.LBB164_59:
	s_or_b64 exec, exec, s[10:11]
	s_waitcnt vmcnt(0) lgkmcnt(0)
	ds_write_b64 v3, v[10:11] offset:4224
	v_add_u32_e32 v10, 24, v18
	v_cmp_gt_i32_e64 s[8:9], s12, v10
	s_and_saveexec_b64 s[10:11], s[8:9]
	s_cbranch_execz .LBB164_61
; %bb.60:
	v_mov_b32_e32 v8, 0xc0
	v_mad_u64_u32 v[8:9], s[8:9], s24, v8, v[6:7]
	v_add_u32_e32 v9, s37, v9
	flat_load_dwordx2 v[8:9], v[8:9]
.LBB164_61:
	s_or_b64 exec, exec, s[10:11]
	s_waitcnt vmcnt(0) lgkmcnt(0)
	ds_write_b64 v3, v[8:9] offset:6336
	v_mov_b32_e32 v3, 0
	v_lshl_add_u64 v[2:3], v[6:7], 0, v[2:3]
	s_lshl_b64 s[8:9], s[20:21], 3
	v_mov_b32_e32 v6, s9
	v_subrev_co_u32_e64 v2, s[8:9], s8, v2
	s_nop 1
	v_subb_co_u32_e64 v3, s[8:9], v3, v6, s[8:9]
	v_lshl_add_u64 v[2:3], v[2:3], 0, 8
	v_cndmask_b32_e32 v17, v3, v5, vcc
	v_cndmask_b32_e32 v16, v2, v4, vcc
	s_branch .LBB164_67
.LBB164_62:
	ds_read_b64 v[6:7], v20
	s_waitcnt lgkmcnt(0)
	ds_write_b64 v21, v[6:7]
	s_or_b64 exec, exec, s[16:17]
	s_and_saveexec_b64 s[6:7], s[8:9]
	s_cbranch_execz .LBB164_47
.LBB164_63:
	ds_read_b64 v[6:7], v30
	s_waitcnt lgkmcnt(0)
	ds_write_b64 v21, v[6:7] offset:8
	s_or_b64 exec, exec, s[6:7]
	s_and_saveexec_b64 s[6:7], s[10:11]
	s_cbranch_execz .LBB164_48
.LBB164_64:
	ds_read_b64 v[6:7], v30 offset:264
	s_waitcnt lgkmcnt(0)
	ds_write_b64 v21, v[6:7] offset:16
	s_or_b64 exec, exec, s[6:7]
	v_add_u32_e32 v31, 0x2380, v31
	s_and_saveexec_b64 s[6:7], s[12:13]
	s_cbranch_execnz .LBB164_49
	s_branch .LBB164_50
.LBB164_65:
                                        ; implicit-def: $vgpr16_vgpr17
                                        ; implicit-def: $vgpr21
                                        ; implicit-def: $vgpr32
                                        ; implicit-def: $vgpr10
	s_cbranch_execz .LBB164_67
; %bb.66:
	flat_load_dwordx2 v[2:3], v[4:5]
	v_add_lshl_u32 v0, v19, v0, 3
	s_lshl_b64 s[8:9], s[24:25], 6
	v_lshl_add_u64 v[6:7], v[4:5], 0, s[8:9]
	v_add_u32_e32 v21, 8, v18
	v_add_u32_e32 v32, 16, v18
	;; [unrolled: 1-line block ×3, first 2 shown]
	v_mov_b64_e32 v[16:17], v[4:5]
	s_waitcnt vmcnt(0) lgkmcnt(0)
	ds_write_b64 v0, v[2:3]
	flat_load_dwordx2 v[2:3], v[6:7]
	v_lshl_add_u64 v[6:7], v[6:7], 0, s[8:9]
	s_waitcnt vmcnt(0) lgkmcnt(0)
	ds_write_b64 v0, v[2:3] offset:2112
	flat_load_dwordx2 v[2:3], v[6:7]
	v_mov_b32_e32 v6, 0xc0
	v_mad_u64_u32 v[6:7], s[8:9], s24, v6, v[4:5]
	v_add_u32_e32 v7, s37, v7
	s_waitcnt vmcnt(0) lgkmcnt(0)
	ds_write_b64 v0, v[2:3] offset:4224
	flat_load_dwordx2 v[2:3], v[6:7]
	s_waitcnt vmcnt(0) lgkmcnt(0)
	ds_write_b64 v0, v[2:3] offset:6336
.LBB164_67:
	v_lshlrev_b32_e32 v0, 3, v18
	s_waitcnt lgkmcnt(0)
	s_barrier
	v_add_lshl_u32 v2, v21, v1, 3
	v_lshlrev_b32_e32 v3, 3, v21
	v_add_lshl_u32 v4, v32, v1, 3
	ds_read_b64 v[34:35], v0 offset:9088
	ds_read_b64 v[36:37], v2
	ds_read_b64 v[38:39], v3 offset:9088
	ds_read_b64 v[40:41], v4
	v_lshlrev_b32_e32 v18, 3, v32
	v_add_lshl_u32 v19, v10, v1, 3
	v_lshlrev_b32_e32 v44, 3, v10
	ds_read_b64 v[20:21], v20
	ds_read_b128 v[8:11], v31 offset:256
	ds_read_b64 v[32:33], v28
	ds_read_b128 v[0:3], v31 offset:272
	ds_read2_b64 v[4:7], v30 offset1:33
	ds_read_b64 v[30:31], v18 offset:9088
	ds_read_b64 v[42:43], v19
	ds_read_b64 v[44:45], v44 offset:9088
	ds_read_b64 v[18:19], v29
	s_waitcnt lgkmcnt(6)
	v_fma_f64 v[32:33], v[32:33], v[34:35], 0
	v_fmac_f64_e32 v[32:33], v[36:37], v[38:39]
	s_waitcnt lgkmcnt(3)
	v_fmac_f64_e32 v[32:33], v[40:41], v[30:31]
	s_waitcnt lgkmcnt(1)
	;; [unrolled: 2-line block ×3, first 2 shown]
	s_barrier
	ds_write_b64 v28, v[32:33]
	s_waitcnt lgkmcnt(0)
	s_barrier
	s_and_saveexec_b64 s[8:9], s[6:7]
	s_cbranch_execz .LBB164_69
; %bb.68:
	ds_read2_b64 v[30:33], v23 offset1:1
	ds_read2_b64 v[34:37], v23 offset0:2 offset1:3
	ds_read2_b64 v[38:41], v23 offset0:4 offset1:5
	s_waitcnt lgkmcnt(2)
	v_add_f64 v[26:27], v[26:27], v[30:31]
	v_add_f64 v[26:27], v[26:27], v[32:33]
	ds_read2_b64 v[30:33], v23 offset0:6 offset1:7
	s_waitcnt lgkmcnt(2)
	v_add_f64 v[26:27], v[26:27], v[34:35]
	v_add_f64 v[26:27], v[26:27], v[36:37]
	s_waitcnt lgkmcnt(1)
	v_add_f64 v[26:27], v[26:27], v[38:39]
	v_add_f64 v[26:27], v[26:27], v[40:41]
	;; [unrolled: 3-line block ×3, first 2 shown]
.LBB164_69:
	s_or_b64 exec, exec, s[8:9]
	v_fma_f64 v[8:9], v[20:21], v[8:9], 0
	v_fmac_f64_e32 v[8:9], v[4:5], v[10:11]
	v_fmac_f64_e32 v[8:9], v[6:7], v[0:1]
	;; [unrolled: 1-line block ×3, first 2 shown]
	s_barrier
	ds_write_b64 v28, v[8:9]
	s_waitcnt lgkmcnt(0)
	s_barrier
	s_and_saveexec_b64 s[6:7], s[4:5]
	s_cbranch_execz .LBB164_71
; %bb.70:
	ds_read2_b64 v[0:3], v23 offset1:1
	ds_read2_b64 v[4:7], v23 offset0:2 offset1:3
	ds_read2_b64 v[8:11], v23 offset0:4 offset1:5
	s_waitcnt lgkmcnt(2)
	v_add_f64 v[0:1], v[26:27], v[0:1]
	v_add_f64 v[18:19], v[0:1], v[2:3]
	ds_read2_b64 v[0:3], v23 offset0:6 offset1:7
	s_waitcnt lgkmcnt(2)
	v_add_f64 v[4:5], v[18:19], v[4:5]
	v_add_f64 v[4:5], v[4:5], v[6:7]
	s_waitcnt lgkmcnt(1)
	v_add_f64 v[4:5], v[4:5], v[8:9]
	v_add_f64 v[4:5], v[4:5], v[10:11]
	;; [unrolled: 3-line block ×3, first 2 shown]
.LBB164_71:
	s_or_b64 exec, exec, s[6:7]
	s_load_dwordx2 s[0:1], s[0:1], 0x68
	s_mul_hi_u32 s4, s33, s26
	s_mul_i32 s36, s36, s26
	s_add_i32 s4, s4, s36
	s_mul_i32 s6, s33, s26
	s_mul_i32 s4, s4, s3
	s_mul_hi_u32 s5, s6, s3
	s_add_i32 s5, s5, s4
	s_mul_i32 s4, s6, s3
	s_lshl_b64 s[4:5], s[4:5], 3
	s_waitcnt lgkmcnt(0)
	s_add_u32 s4, s0, s4
	s_addc_u32 s5, s1, s5
	s_mul_hi_i32 s1, s33, s2
	s_mul_i32 s0, s33, s2
	s_lshl_b64 s[0:1], s[0:1], 3
	s_add_u32 s6, s4, s0
	s_addc_u32 s7, s5, s1
	s_add_i32 s0, s2, 1
	s_cmp_ge_u32 s0, s3
	v_lshlrev_b32_e32 v28, 3, v122
	s_barrier
	s_cbranch_scc1 .LBB164_128
; %bb.72:
	s_mul_i32 s0, s28, s19
	s_mul_hi_u32 s1, s28, s18
	s_add_i32 s0, s1, s0
	s_mul_i32 s1, s29, s18
	s_add_i32 s1, s0, s1
	s_mul_i32 s0, s28, s18
	s_lshl_b64 s[0:1], s[0:1], 3
	v_mov_b32_e32 v0, s1
	v_subrev_co_u32_e32 v30, vcc, s0, v12
	v_and_b32_e32 v2, 48, v122
	s_nop 0
	v_subb_co_u32_e32 v31, vcc, v13, v0, vcc
	v_and_b32_e32 v0, 15, v122
	v_lshlrev_b32_e32 v3, 3, v2
	s_movk_i32 s4, 0x218
	v_lshrrev_b32_e32 v1, 4, v22
	v_mad_u32_u24 v127, v0, s4, v3
	v_or_b32_e32 v3, 0x78, v28
	v_mad_u32_u24 v128, v0, s4, v3
	v_lshlrev_b32_e32 v3, 5, v1
	v_lshlrev_b32_e32 v6, 5, v123
	v_mad_u32_u24 v129, v0, s4, v3
	s_movk_i32 s4, 0x860
	v_add_u32_e32 v3, 0x118, v6
	v_mad_u32_u24 v134, v123, s4, v28
	v_mul_i32_i24_e32 v7, 0xffffffe8, v1
	v_or_b32_e32 v147, v2, v0
	v_mad_u64_u32 v[0:1], s[4:5], s24, v3, 0
	v_mov_b32_e32 v2, v1
	v_mad_u64_u32 v[2:3], s[4:5], s25, v3, v[2:3]
	v_mov_b32_e32 v1, v2
	v_lshlrev_b64 v[2:3], 3, v[14:15]
	v_sub_co_u32_e32 v0, vcc, v0, v2
	v_add_u32_e32 v5, 0x110, v6
	s_nop 0
	v_subb_co_u32_e32 v1, vcc, v1, v3, vcc
	v_lshl_add_u64 v[32:33], v[16:17], 0, v[0:1]
	v_mad_u64_u32 v[0:1], s[4:5], s24, v5, 0
	v_mov_b32_e32 v4, v1
	v_mad_u64_u32 v[4:5], s[4:5], s25, v5, v[4:5]
	v_mov_b32_e32 v1, v4
	v_sub_co_u32_e32 v0, vcc, v0, v2
	v_add_u32_e32 v5, 0x108, v6
	s_nop 0
	v_subb_co_u32_e32 v1, vcc, v1, v3, vcc
	v_lshl_add_u64 v[34:35], v[16:17], 0, v[0:1]
	v_mad_u64_u32 v[0:1], s[4:5], s24, v5, 0
	v_mov_b32_e32 v4, v1
	v_mad_u64_u32 v[4:5], s[4:5], s25, v5, v[4:5]
	v_mov_b32_e32 v1, v4
	;; [unrolled: 9-line block ×15, first 2 shown]
	v_sub_co_u32_e32 v0, vcc, v0, v2
	v_lshlrev_b32_e32 v124, 2, v123
	s_nop 0
	v_subb_co_u32_e32 v1, vcc, v1, v3, vcc
	s_add_i32 s16, s3, -2
	v_add_u32_e32 v125, 0x2180, v28
	v_add_u32_e32 v126, 0x2380, v28
	v_cmp_gt_u32_e64 s[0:1], 64, v22
	v_or_b32_e32 v130, 1, v124
	v_or_b32_e32 v131, 2, v124
	;; [unrolled: 1-line block ×3, first 2 shown]
	v_add_u32_e32 v133, 0x2180, v6
	v_add_u32_e32 v135, 16, v124
	;; [unrolled: 1-line block ×13, first 2 shown]
	s_add_i32 s17, s28, 64
	v_mov_b32_e32 v29, 0
	s_lshl_b64 s[8:9], s[24:25], 9
	v_lshl_add_u64 v[62:63], v[16:17], 0, v[0:1]
	v_add_u32_e32 v148, v129, v7
	s_cmp_eq_u32 s16, s2
	s_cselect_b32 s21, s27, 0
	s_and_saveexec_b64 s[4:5], s[14:15]
	s_cbranch_execz .LBB164_76
.LBB164_73:
	s_cmp_eq_u32 s21, 0
	s_cselect_b64 s[10:11], -1, 0
	v_cmp_gt_i32_e32 vcc, s21, v122
	s_or_b64 s[12:13], s[10:11], vcc
	v_mov_b64_e32 v[0:1], 0
	s_and_saveexec_b64 s[10:11], s[12:13]
	s_cbranch_execz .LBB164_75
; %bb.74:
	s_ashr_i32 s12, s17, 31
	s_mul_i32 s13, s17, s19
	s_mul_hi_u32 s24, s17, s18
	s_add_i32 s13, s24, s13
	s_mul_i32 s12, s12, s18
	s_add_i32 s13, s13, s12
	s_mul_i32 s12, s17, s18
	v_lshl_add_u64 v[0:1], s[12:13], 3, v[30:31]
	flat_load_dwordx2 v[0:1], v[0:1]
.LBB164_75:
	s_or_b64 exec, exec, s[10:11]
	s_waitcnt vmcnt(0) lgkmcnt(0)
	ds_write_b64 v125, v[0:1]
.LBB164_76:                             ; =>This Inner Loop Header: Depth=1
	s_or_b64 exec, exec, s[4:5]
	s_cmp_eq_u32 s21, 0
	s_cselect_b64 s[10:11], -1, 0
	s_cmp_lg_u32 s21, 0
	s_cselect_b64 s[12:13], -1, 0
	v_lshl_add_u64 v[0:1], v[38:39], 0, v[28:29]
	s_and_b64 vcc, exec, s[12:13]
	s_waitcnt lgkmcnt(0)
	s_barrier
	s_cbranch_vccz .LBB164_124
; %bb.77:                               ;   in Loop: Header=BB164_76 Depth=1
	v_mov_b64_e32 v[64:65], 0
	v_cmp_gt_i32_e32 vcc, s21, v124
	v_mov_b64_e32 v[66:67], v[64:65]
	s_and_saveexec_b64 s[4:5], vcc
	s_cbranch_execz .LBB164_79
; %bb.78:                               ;   in Loop: Header=BB164_76 Depth=1
	flat_load_dwordx2 v[66:67], v[0:1]
.LBB164_79:                             ;   in Loop: Header=BB164_76 Depth=1
	s_or_b64 exec, exec, s[4:5]
	v_cmp_gt_i32_e32 vcc, s21, v130
	s_and_saveexec_b64 s[4:5], vcc
	s_cbranch_execz .LBB164_81
; %bb.80:                               ;   in Loop: Header=BB164_76 Depth=1
	v_lshl_add_u64 v[2:3], v[36:37], 0, v[28:29]
	flat_load_dwordx2 v[64:65], v[2:3]
.LBB164_81:                             ;   in Loop: Header=BB164_76 Depth=1
	s_or_b64 exec, exec, s[4:5]
	v_mov_b64_e32 v[68:69], 0
	v_cmp_gt_i32_e32 vcc, s21, v131
	v_mov_b64_e32 v[70:71], v[68:69]
	s_and_saveexec_b64 s[4:5], vcc
	s_cbranch_execz .LBB164_83
; %bb.82:                               ;   in Loop: Header=BB164_76 Depth=1
	v_lshl_add_u64 v[2:3], v[34:35], 0, v[28:29]
	flat_load_dwordx2 v[70:71], v[2:3]
.LBB164_83:                             ;   in Loop: Header=BB164_76 Depth=1
	s_or_b64 exec, exec, s[4:5]
	v_cmp_gt_i32_e32 vcc, s21, v132
	s_and_saveexec_b64 s[4:5], vcc
	s_cbranch_execz .LBB164_85
; %bb.84:                               ;   in Loop: Header=BB164_76 Depth=1
	v_lshl_add_u64 v[2:3], v[32:33], 0, v[28:29]
	flat_load_dwordx2 v[68:69], v[2:3]
.LBB164_85:                             ;   in Loop: Header=BB164_76 Depth=1
	s_or_b64 exec, exec, s[4:5]
	s_branch .LBB164_87
.LBB164_86:                             ;   in Loop: Header=BB164_76 Depth=1
	s_waitcnt vmcnt(0) lgkmcnt(0)
	flat_load_dwordx2 v[66:67], v[0:1]
	v_lshl_add_u64 v[0:1], v[36:37], 0, v[28:29]
	flat_load_dwordx2 v[64:65], v[0:1]
	v_lshl_add_u64 v[0:1], v[34:35], 0, v[28:29]
	;; [unrolled: 2-line block ×3, first 2 shown]
	flat_load_dwordx2 v[68:69], v[0:1]
.LBB164_87:                             ;   in Loop: Header=BB164_76 Depth=1
	ds_read_b64 v[0:1], v126
	ds_read_b64 v[72:73], v133
	v_cndmask_b32_e64 v8, 0, 1, s[12:13]
	v_cmp_ne_u32_e64 s[4:5], 1, v8
	s_andn2_b64 vcc, exec, s[12:13]
	s_waitcnt vmcnt(0) lgkmcnt(0)
	v_mul_f64 v[2:3], v[66:67], v[0:1]
	v_mul_f64 v[4:5], v[64:65], v[0:1]
	ds_write_b64 v134, v[2:3]
	v_mul_f64 v[6:7], v[70:71], v[0:1]
	ds_read_b64 v[74:75], v133 offset:8
	ds_write_b64 v134, v[4:5] offset:536
	ds_read_b64 v[76:77], v133 offset:16
	ds_write_b64 v134, v[6:7] offset:1072
	v_mul_f64 v[0:1], v[68:69], v[0:1]
	ds_read_b64 v[78:79], v133 offset:24
	ds_write_b64 v134, v[0:1] offset:1608
	s_waitcnt lgkmcnt(0)
	s_barrier
	ds_read2_b64 v[4:7], v129 offset1:1
	ds_read2_b64 v[0:3], v129 offset0:2 offset1:3
	v_lshl_add_u64 v[8:9], v[46:47], 0, v[28:29]
	s_waitcnt lgkmcnt(0)
	s_barrier
	s_cbranch_vccnz .LBB164_125
; %bb.88:                               ;   in Loop: Header=BB164_76 Depth=1
	v_mov_b64_e32 v[80:81], 0
	v_cmp_gt_i32_e32 vcc, s21, v135
	v_mov_b64_e32 v[82:83], v[80:81]
	s_and_saveexec_b64 s[12:13], vcc
	s_cbranch_execz .LBB164_90
; %bb.89:                               ;   in Loop: Header=BB164_76 Depth=1
	flat_load_dwordx2 v[82:83], v[8:9]
.LBB164_90:                             ;   in Loop: Header=BB164_76 Depth=1
	s_or_b64 exec, exec, s[12:13]
	v_cmp_gt_i32_e32 vcc, s21, v136
	s_and_saveexec_b64 s[12:13], vcc
	s_cbranch_execz .LBB164_92
; %bb.91:                               ;   in Loop: Header=BB164_76 Depth=1
	v_lshl_add_u64 v[10:11], v[44:45], 0, v[28:29]
	flat_load_dwordx2 v[80:81], v[10:11]
.LBB164_92:                             ;   in Loop: Header=BB164_76 Depth=1
	s_or_b64 exec, exec, s[12:13]
	v_mov_b64_e32 v[84:85], 0
	v_cmp_gt_i32_e32 vcc, s21, v137
	v_mov_b64_e32 v[86:87], v[84:85]
	s_and_saveexec_b64 s[12:13], vcc
	s_cbranch_execz .LBB164_94
; %bb.93:                               ;   in Loop: Header=BB164_76 Depth=1
	v_lshl_add_u64 v[10:11], v[42:43], 0, v[28:29]
	flat_load_dwordx2 v[86:87], v[10:11]
.LBB164_94:                             ;   in Loop: Header=BB164_76 Depth=1
	s_or_b64 exec, exec, s[12:13]
	v_cmp_gt_i32_e32 vcc, s21, v138
	s_and_saveexec_b64 s[12:13], vcc
	s_cbranch_execz .LBB164_96
; %bb.95:                               ;   in Loop: Header=BB164_76 Depth=1
	v_lshl_add_u64 v[10:11], v[40:41], 0, v[28:29]
	flat_load_dwordx2 v[84:85], v[10:11]
.LBB164_96:                             ;   in Loop: Header=BB164_76 Depth=1
	s_or_b64 exec, exec, s[12:13]
	s_branch .LBB164_98
.LBB164_97:                             ;   in Loop: Header=BB164_76 Depth=1
	s_waitcnt vmcnt(0) lgkmcnt(0)
	flat_load_dwordx2 v[82:83], v[8:9]
	v_lshl_add_u64 v[8:9], v[44:45], 0, v[28:29]
	flat_load_dwordx2 v[80:81], v[8:9]
	v_lshl_add_u64 v[8:9], v[42:43], 0, v[28:29]
	;; [unrolled: 2-line block ×3, first 2 shown]
	flat_load_dwordx2 v[84:85], v[8:9]
.LBB164_98:                             ;   in Loop: Header=BB164_76 Depth=1
	ds_read_b64 v[8:9], v126
	ds_read_b64 v[88:89], v133 offset:128
	s_and_b64 vcc, exec, s[4:5]
	v_lshl_add_u64 v[16:17], v[54:55], 0, v[28:29]
	s_waitcnt vmcnt(0) lgkmcnt(0)
	v_mul_f64 v[10:11], v[82:83], v[8:9]
	v_mul_f64 v[12:13], v[80:81], v[8:9]
	ds_write_b64 v134, v[10:11]
	v_mul_f64 v[14:15], v[86:87], v[8:9]
	ds_read_b64 v[90:91], v133 offset:136
	ds_write_b64 v134, v[12:13] offset:536
	ds_read_b64 v[92:93], v133 offset:144
	ds_write_b64 v134, v[14:15] offset:1072
	v_mul_f64 v[8:9], v[84:85], v[8:9]
	ds_read_b64 v[94:95], v133 offset:152
	ds_write_b64 v134, v[8:9] offset:1608
	s_waitcnt lgkmcnt(0)
	s_barrier
	ds_read2_b64 v[12:15], v129 offset1:1
	ds_read2_b64 v[8:11], v129 offset0:2 offset1:3
	s_waitcnt lgkmcnt(0)
	s_barrier
	s_cbranch_vccnz .LBB164_126
; %bb.99:                               ;   in Loop: Header=BB164_76 Depth=1
	v_mov_b64_e32 v[96:97], 0
	v_cmp_gt_i32_e32 vcc, s21, v139
	v_mov_b64_e32 v[98:99], v[96:97]
	s_and_saveexec_b64 s[12:13], vcc
	s_cbranch_execz .LBB164_101
; %bb.100:                              ;   in Loop: Header=BB164_76 Depth=1
	flat_load_dwordx2 v[98:99], v[16:17]
.LBB164_101:                            ;   in Loop: Header=BB164_76 Depth=1
	s_or_b64 exec, exec, s[12:13]
	v_cmp_gt_i32_e32 vcc, s21, v140
	s_and_saveexec_b64 s[12:13], vcc
	s_cbranch_execz .LBB164_103
; %bb.102:                              ;   in Loop: Header=BB164_76 Depth=1
	v_lshl_add_u64 v[18:19], v[52:53], 0, v[28:29]
	flat_load_dwordx2 v[96:97], v[18:19]
.LBB164_103:                            ;   in Loop: Header=BB164_76 Depth=1
	s_or_b64 exec, exec, s[12:13]
	v_mov_b64_e32 v[100:101], 0
	v_cmp_gt_i32_e32 vcc, s21, v141
	v_mov_b64_e32 v[102:103], v[100:101]
	s_and_saveexec_b64 s[12:13], vcc
	s_cbranch_execz .LBB164_105
; %bb.104:                              ;   in Loop: Header=BB164_76 Depth=1
	v_lshl_add_u64 v[18:19], v[50:51], 0, v[28:29]
	flat_load_dwordx2 v[102:103], v[18:19]
.LBB164_105:                            ;   in Loop: Header=BB164_76 Depth=1
	s_or_b64 exec, exec, s[12:13]
	v_cmp_gt_i32_e32 vcc, s21, v142
	s_and_saveexec_b64 s[12:13], vcc
	s_cbranch_execz .LBB164_107
; %bb.106:                              ;   in Loop: Header=BB164_76 Depth=1
	v_lshl_add_u64 v[18:19], v[48:49], 0, v[28:29]
	flat_load_dwordx2 v[100:101], v[18:19]
.LBB164_107:                            ;   in Loop: Header=BB164_76 Depth=1
	s_or_b64 exec, exec, s[12:13]
	s_branch .LBB164_109
.LBB164_108:                            ;   in Loop: Header=BB164_76 Depth=1
	s_waitcnt vmcnt(0) lgkmcnt(0)
	flat_load_dwordx2 v[98:99], v[16:17]
	v_lshl_add_u64 v[16:17], v[52:53], 0, v[28:29]
	flat_load_dwordx2 v[96:97], v[16:17]
	v_lshl_add_u64 v[16:17], v[50:51], 0, v[28:29]
	;; [unrolled: 2-line block ×3, first 2 shown]
	flat_load_dwordx2 v[100:101], v[16:17]
.LBB164_109:                            ;   in Loop: Header=BB164_76 Depth=1
	ds_read_b64 v[16:17], v126
	ds_read_b64 v[104:105], v133 offset:256
	s_and_b64 vcc, exec, s[4:5]
	v_lshl_add_u64 v[120:121], v[62:63], 0, v[28:29]
	s_waitcnt vmcnt(0) lgkmcnt(0)
	v_mul_f64 v[18:19], v[98:99], v[16:17]
	v_mul_f64 v[20:21], v[96:97], v[16:17]
	ds_write_b64 v134, v[18:19]
	v_mul_f64 v[22:23], v[102:103], v[16:17]
	ds_read_b64 v[106:107], v133 offset:264
	ds_write_b64 v134, v[20:21] offset:536
	ds_read_b64 v[108:109], v133 offset:272
	ds_write_b64 v134, v[22:23] offset:1072
	v_mul_f64 v[16:17], v[100:101], v[16:17]
	ds_read_b64 v[110:111], v133 offset:280
	ds_write_b64 v134, v[16:17] offset:1608
	s_waitcnt lgkmcnt(0)
	s_barrier
	ds_read2_b64 v[20:23], v129 offset1:1
	ds_read2_b64 v[16:19], v129 offset0:2 offset1:3
	s_waitcnt lgkmcnt(0)
	s_barrier
	s_cbranch_vccnz .LBB164_127
; %bb.110:                              ;   in Loop: Header=BB164_76 Depth=1
	v_mov_b64_e32 v[112:113], 0
	v_cmp_gt_i32_e32 vcc, s21, v143
	v_mov_b64_e32 v[114:115], v[112:113]
	s_and_saveexec_b64 s[4:5], vcc
	s_cbranch_execz .LBB164_112
; %bb.111:                              ;   in Loop: Header=BB164_76 Depth=1
	flat_load_dwordx2 v[114:115], v[120:121]
.LBB164_112:                            ;   in Loop: Header=BB164_76 Depth=1
	s_or_b64 exec, exec, s[4:5]
	v_cmp_gt_i32_e32 vcc, s21, v144
	s_and_saveexec_b64 s[4:5], vcc
	s_cbranch_execz .LBB164_114
; %bb.113:                              ;   in Loop: Header=BB164_76 Depth=1
	v_lshl_add_u64 v[112:113], v[60:61], 0, v[28:29]
	flat_load_dwordx2 v[112:113], v[112:113]
.LBB164_114:                            ;   in Loop: Header=BB164_76 Depth=1
	s_or_b64 exec, exec, s[4:5]
	v_mov_b64_e32 v[116:117], 0
	v_cmp_gt_i32_e32 vcc, s21, v145
	v_mov_b64_e32 v[118:119], v[116:117]
	s_and_saveexec_b64 s[4:5], vcc
	s_cbranch_execz .LBB164_116
; %bb.115:                              ;   in Loop: Header=BB164_76 Depth=1
	v_lshl_add_u64 v[118:119], v[58:59], 0, v[28:29]
	flat_load_dwordx2 v[118:119], v[118:119]
.LBB164_116:                            ;   in Loop: Header=BB164_76 Depth=1
	s_or_b64 exec, exec, s[4:5]
	v_cmp_gt_i32_e32 vcc, s21, v146
	s_and_saveexec_b64 s[4:5], vcc
	s_cbranch_execz .LBB164_118
; %bb.117:                              ;   in Loop: Header=BB164_76 Depth=1
	v_lshl_add_u64 v[116:117], v[56:57], 0, v[28:29]
	flat_load_dwordx2 v[116:117], v[116:117]
.LBB164_118:                            ;   in Loop: Header=BB164_76 Depth=1
	s_or_b64 exec, exec, s[4:5]
	s_branch .LBB164_120
.LBB164_119:                            ;   in Loop: Header=BB164_76 Depth=1
	s_waitcnt vmcnt(0) lgkmcnt(0)
	v_lshl_add_u64 v[116:117], v[58:59], 0, v[28:29]
	v_lshl_add_u64 v[112:113], v[60:61], 0, v[28:29]
	flat_load_dwordx2 v[118:119], v[116:117]
	v_lshl_add_u64 v[116:117], v[56:57], 0, v[28:29]
	flat_load_dwordx2 v[114:115], v[120:121]
	s_nop 0
	flat_load_dwordx2 v[112:113], v[112:113]
	s_nop 0
	flat_load_dwordx2 v[116:117], v[116:117]
.LBB164_120:                            ;   in Loop: Header=BB164_76 Depth=1
	v_add_f64 v[12:13], v[12:13], 0
	v_add_f64 v[12:13], v[12:13], v[14:15]
	ds_read_b64 v[14:15], v126
	v_add_f64 v[20:21], v[20:21], 0
	v_add_f64 v[20:21], v[20:21], v[22:23]
	;; [unrolled: 1-line block ×7, first 2 shown]
	ds_read_b64 v[4:5], v133 offset:384
	s_waitcnt vmcnt(0) lgkmcnt(0)
	v_mul_f64 v[8:9], v[114:115], v[14:15]
	ds_write_b64 v134, v[8:9]
	v_mul_f64 v[10:11], v[112:113], v[14:15]
	ds_read_b64 v[8:9], v133 offset:392
	ds_write_b64 v134, v[10:11] offset:536
	v_mul_f64 v[12:13], v[118:119], v[14:15]
	ds_read_b64 v[10:11], v133 offset:400
	ds_write_b64 v134, v[12:13] offset:1072
	;; [unrolled: 3-line block ×3, first 2 shown]
	s_waitcnt lgkmcnt(0)
	s_barrier
	ds_read2_b64 v[14:17], v129 offset1:1
	v_add_f64 v[6:7], v[18:19], v[6:7]
	ds_read2_b64 v[18:21], v129 offset0:2 offset1:3
	v_add_f64 v[0:1], v[6:7], v[0:1]
	v_add_f64 v[0:1], v[0:1], v[2:3]
	s_waitcnt lgkmcnt(1)
	v_add_f64 v[2:3], v[14:15], 0
	v_cmp_gt_i32_e32 vcc, s21, v122
	v_add_f64 v[2:3], v[2:3], v[16:17]
	s_or_b64 s[4:5], s[10:11], vcc
	s_waitcnt lgkmcnt(0)
	v_add_f64 v[2:3], v[2:3], v[18:19]
	s_and_b64 s[10:11], s[0:1], s[4:5]
	v_add_f64 v[2:3], v[2:3], v[20:21]
	s_barrier
	ds_write2_b64 v148, v[0:1], v[120:121] offset1:16
	ds_write2_b64 v148, v[22:23], v[2:3] offset0:32 offset1:48
	s_waitcnt lgkmcnt(0)
	s_barrier
	s_and_saveexec_b64 s[4:5], s[10:11]
	s_cbranch_execz .LBB164_122
; %bb.121:                              ;   in Loop: Header=BB164_76 Depth=1
	ds_read2_b64 v[0:3], v127 offset1:1
	ds_read2_b64 v[14:17], v127 offset0:2 offset1:3
	ds_read2_b64 v[18:21], v127 offset0:4 offset1:5
	;; [unrolled: 1-line block ×3, first 2 shown]
	s_waitcnt lgkmcnt(3)
	v_add_f64 v[0:1], v[0:1], v[2:3]
	s_waitcnt lgkmcnt(2)
	v_add_f64 v[0:1], v[0:1], v[14:15]
	v_add_f64 v[0:1], v[0:1], v[16:17]
	s_waitcnt lgkmcnt(1)
	v_add_f64 v[6:7], v[0:1], v[18:19]
	ds_read2_b64 v[0:3], v127 offset0:8 offset1:9
	ds_read2_b64 v[14:17], v127 offset0:10 offset1:11
	v_add_f64 v[6:7], v[6:7], v[20:21]
	s_waitcnt lgkmcnt(2)
	v_add_f64 v[6:7], v[6:7], v[150:151]
	v_add_f64 v[6:7], v[6:7], v[152:153]
	s_waitcnt lgkmcnt(1)
	v_add_f64 v[0:1], v[6:7], v[0:1]
	v_add_f64 v[6:7], v[0:1], v[2:3]
	ds_read2_b64 v[0:3], v127 offset0:12 offset1:13
	s_waitcnt lgkmcnt(1)
	v_add_f64 v[6:7], v[6:7], v[14:15]
	ds_read_b64 v[14:15], v127 offset:112
	ds_read_b64 v[18:19], v128
	v_add_f64 v[6:7], v[6:7], v[16:17]
	s_waitcnt lgkmcnt(2)
	v_add_f64 v[0:1], v[6:7], v[0:1]
	v_add_f64 v[0:1], v[0:1], v[2:3]
	v_add_u32_e32 v2, s17, v147
	s_waitcnt lgkmcnt(1)
	v_add_f64 v[0:1], v[0:1], v[14:15]
	v_ashrrev_i32_e32 v3, 31, v2
	s_waitcnt lgkmcnt(0)
	v_add_f64 v[0:1], v[0:1], v[18:19]
	v_lshl_add_u64 v[2:3], v[2:3], 3, s[6:7]
	global_store_dwordx2 v[2:3], v[0:1], off
.LBB164_122:                            ;   in Loop: Header=BB164_76 Depth=1
	s_or_b64 exec, exec, s[4:5]
	v_fmac_f64_e32 v[26:27], v[66:67], v[72:73]
	v_fmac_f64_e32 v[26:27], v[64:65], v[74:75]
	;; [unrolled: 1-line block ×15, first 2 shown]
	s_add_i32 s4, s2, 1
	s_add_i32 s17, s17, 64
	;; [unrolled: 1-line block ×3, first 2 shown]
	v_fmac_f64_e32 v[26:27], v[116:117], v[12:13]
	v_lshl_add_u64 v[32:33], v[32:33], 0, s[8:9]
	v_lshl_add_u64 v[34:35], v[34:35], 0, s[8:9]
	;; [unrolled: 1-line block ×15, first 2 shown]
	s_cmp_ge_u32 s2, s3
	v_lshl_add_u64 v[62:63], v[62:63], 0, s[8:9]
	s_barrier
	s_cbranch_scc1 .LBB164_128
; %bb.123:                              ;   in Loop: Header=BB164_76 Depth=1
	s_mov_b32 s2, s4
	s_cmp_eq_u32 s16, s2
	s_cselect_b32 s21, s27, 0
	s_and_saveexec_b64 s[4:5], s[14:15]
	s_cbranch_execnz .LBB164_73
	s_branch .LBB164_76
.LBB164_124:                            ;   in Loop: Header=BB164_76 Depth=1
                                        ; implicit-def: $vgpr68_vgpr69
                                        ; implicit-def: $vgpr70_vgpr71
                                        ; implicit-def: $vgpr64_vgpr65
                                        ; implicit-def: $vgpr66_vgpr67
	s_cbranch_execnz .LBB164_86
	s_branch .LBB164_87
.LBB164_125:                            ;   in Loop: Header=BB164_76 Depth=1
                                        ; implicit-def: $vgpr84_vgpr85
                                        ; implicit-def: $vgpr86_vgpr87
                                        ; implicit-def: $vgpr80_vgpr81
                                        ; implicit-def: $vgpr82_vgpr83
	s_cbranch_execnz .LBB164_97
	s_branch .LBB164_98
.LBB164_126:                            ;   in Loop: Header=BB164_76 Depth=1
                                        ; implicit-def: $vgpr100_vgpr101
                                        ; implicit-def: $vgpr102_vgpr103
                                        ; implicit-def: $vgpr96_vgpr97
                                        ; implicit-def: $vgpr98_vgpr99
	s_cbranch_execnz .LBB164_108
	s_branch .LBB164_109
.LBB164_127:                            ;   in Loop: Header=BB164_76 Depth=1
                                        ; implicit-def: $vgpr116_vgpr117
                                        ; implicit-def: $vgpr118_vgpr119
                                        ; implicit-def: $vgpr112_vgpr113
                                        ; implicit-def: $vgpr114_vgpr115
	s_cbranch_execnz .LBB164_119
	s_branch .LBB164_120
.LBB164_128:
	s_movk_i32 s0, 0x218
	v_cmp_gt_i32_e32 vcc, s20, v122
	v_mad_u32_u24 v0, v123, s0, v28
	s_or_b64 s[0:1], s[22:23], vcc
	s_and_b64 s[0:1], s[14:15], s[0:1]
	ds_write_b64 v0, v[26:27]
	s_waitcnt lgkmcnt(0)
	s_barrier
	s_and_saveexec_b64 s[2:3], s[0:1]
	s_cbranch_execz .LBB164_130
; %bb.129:
	ds_read2_b64 v[0:3], v28 offset1:67
	ds_read2_b64 v[4:7], v28 offset0:134 offset1:201
	s_waitcnt lgkmcnt(1)
	v_add_f64 v[0:1], v[0:1], v[2:3]
	s_waitcnt lgkmcnt(0)
	v_add_f64 v[0:1], v[0:1], v[4:5]
	v_add_f64 v[0:1], v[0:1], v[6:7]
	v_lshl_add_u64 v[2:3], v[24:25], 3, s[6:7]
	global_store_dwordx2 v[2:3], v[0:1], off
.LBB164_130:
	s_endpgm
	.section	.rodata,"a",@progbits
	.p2align	6, 0x0
	.amdhsa_kernel _ZL26rocblas_hemvn_kernel_upperILb0ELi64ELi4ELi33ELi32ELi16EldPKPKdPdEviT6_lT7_lT5_lS6_lS7_lS5_lT8_i
		.amdhsa_group_segment_fixed_size 9600
		.amdhsa_private_segment_fixed_size 0
		.amdhsa_kernarg_size 376
		.amdhsa_user_sgpr_count 2
		.amdhsa_user_sgpr_dispatch_ptr 0
		.amdhsa_user_sgpr_queue_ptr 0
		.amdhsa_user_sgpr_kernarg_segment_ptr 1
		.amdhsa_user_sgpr_dispatch_id 0
		.amdhsa_user_sgpr_kernarg_preload_length 0
		.amdhsa_user_sgpr_kernarg_preload_offset 0
		.amdhsa_user_sgpr_private_segment_size 0
		.amdhsa_uses_dynamic_stack 0
		.amdhsa_enable_private_segment 0
		.amdhsa_system_sgpr_workgroup_id_x 1
		.amdhsa_system_sgpr_workgroup_id_y 0
		.amdhsa_system_sgpr_workgroup_id_z 1
		.amdhsa_system_sgpr_workgroup_info 0
		.amdhsa_system_vgpr_workitem_id 1
		.amdhsa_next_free_vgpr 154
		.amdhsa_next_free_sgpr 39
		.amdhsa_accum_offset 156
		.amdhsa_reserve_vcc 1
		.amdhsa_float_round_mode_32 0
		.amdhsa_float_round_mode_16_64 0
		.amdhsa_float_denorm_mode_32 3
		.amdhsa_float_denorm_mode_16_64 3
		.amdhsa_dx10_clamp 1
		.amdhsa_ieee_mode 1
		.amdhsa_fp16_overflow 0
		.amdhsa_tg_split 0
		.amdhsa_exception_fp_ieee_invalid_op 0
		.amdhsa_exception_fp_denorm_src 0
		.amdhsa_exception_fp_ieee_div_zero 0
		.amdhsa_exception_fp_ieee_overflow 0
		.amdhsa_exception_fp_ieee_underflow 0
		.amdhsa_exception_fp_ieee_inexact 0
		.amdhsa_exception_int_div_zero 0
	.end_amdhsa_kernel
	.section	.text._ZL26rocblas_hemvn_kernel_upperILb0ELi64ELi4ELi33ELi32ELi16EldPKPKdPdEviT6_lT7_lT5_lS6_lS7_lS5_lT8_i,"axG",@progbits,_ZL26rocblas_hemvn_kernel_upperILb0ELi64ELi4ELi33ELi32ELi16EldPKPKdPdEviT6_lT7_lT5_lS6_lS7_lS5_lT8_i,comdat
.Lfunc_end164:
	.size	_ZL26rocblas_hemvn_kernel_upperILb0ELi64ELi4ELi33ELi32ELi16EldPKPKdPdEviT6_lT7_lT5_lS6_lS7_lS5_lT8_i, .Lfunc_end164-_ZL26rocblas_hemvn_kernel_upperILb0ELi64ELi4ELi33ELi32ELi16EldPKPKdPdEviT6_lT7_lT5_lS6_lS7_lS5_lT8_i
                                        ; -- End function
	.section	.AMDGPU.csdata,"",@progbits
; Kernel info:
; codeLenInByte = 7196
; NumSgprs: 45
; NumVgprs: 154
; NumAgprs: 0
; TotalNumVgprs: 154
; ScratchSize: 0
; MemoryBound: 0
; FloatMode: 240
; IeeeMode: 1
; LDSByteSize: 9600 bytes/workgroup (compile time only)
; SGPRBlocks: 5
; VGPRBlocks: 19
; NumSGPRsForWavesPerEU: 45
; NumVGPRsForWavesPerEU: 154
; AccumOffset: 156
; Occupancy: 3
; WaveLimiterHint : 1
; COMPUTE_PGM_RSRC2:SCRATCH_EN: 0
; COMPUTE_PGM_RSRC2:USER_SGPR: 2
; COMPUTE_PGM_RSRC2:TRAP_HANDLER: 0
; COMPUTE_PGM_RSRC2:TGID_X_EN: 1
; COMPUTE_PGM_RSRC2:TGID_Y_EN: 0
; COMPUTE_PGM_RSRC2:TGID_Z_EN: 1
; COMPUTE_PGM_RSRC2:TIDIG_COMP_CNT: 1
; COMPUTE_PGM_RSRC3_GFX90A:ACCUM_OFFSET: 38
; COMPUTE_PGM_RSRC3_GFX90A:TG_SPLIT: 0
	.section	.text._ZL36rocblas_hemvn_kernel_upper_block_sumILi64EldPKPddEviT1_lS3_lT2_lT0_lPT3_i,"axG",@progbits,_ZL36rocblas_hemvn_kernel_upper_block_sumILi64EldPKPddEviT1_lS3_lT2_lT0_lPT3_i,comdat
	.globl	_ZL36rocblas_hemvn_kernel_upper_block_sumILi64EldPKPddEviT1_lS3_lT2_lT0_lPT3_i ; -- Begin function _ZL36rocblas_hemvn_kernel_upper_block_sumILi64EldPKPddEviT1_lS3_lT2_lT0_lPT3_i
	.p2align	8
	.type	_ZL36rocblas_hemvn_kernel_upper_block_sumILi64EldPKPddEviT1_lS3_lT2_lT0_lPT3_i,@function
_ZL36rocblas_hemvn_kernel_upper_block_sumILi64EldPKPddEviT1_lS3_lT2_lT0_lPT3_i: ; @_ZL36rocblas_hemvn_kernel_upper_block_sumILi64EldPKPddEviT1_lS3_lT2_lT0_lPT3_i
; %bb.0:
	s_load_dwordx2 s[10:11], s[0:1], 0x8
	s_load_dwordx2 s[12:13], s[0:1], 0x18
	s_waitcnt lgkmcnt(0)
	v_cmp_eq_f64_e64 s[4:5], s[10:11], 0
	v_cmp_eq_f64_e64 s[6:7], s[12:13], 1.0
	s_and_b64 s[4:5], s[4:5], s[6:7]
	s_and_b64 vcc, exec, s[4:5]
	s_cbranch_vccnz .LBB165_19
; %bb.1:
	s_load_dwordx2 s[8:9], s[0:1], 0x28
	s_load_dword s18, s[0:1], 0x0
	s_load_dwordx4 s[4:7], s[0:1], 0x30
	s_mov_b32 s16, s3
	s_mov_b32 s17, 0
	s_lshl_b64 s[14:15], s[16:17], 3
	s_waitcnt lgkmcnt(0)
	s_add_u32 s8, s8, s14
	s_addc_u32 s9, s9, s15
	s_load_dwordx2 s[8:9], s[8:9], 0x0
	s_lshl_b64 s[4:5], s[4:5], 3
	v_lshl_or_b32 v0, s2, 6, v0
	v_cmp_neq_f64_e64 s[20:21], s[10:11], 0
	s_mov_b64 s[14:15], 0
	s_waitcnt lgkmcnt(0)
	s_add_u32 s8, s8, s4
	s_addc_u32 s9, s9, s5
	s_and_b64 vcc, exec, s[20:21]
	v_cmp_gt_i32_e64 s[4:5], s18, v0
	s_cbranch_vccnz .LBB165_6
; %bb.2:
	s_mov_b64 s[20:21], 0
                                        ; implicit-def: $vgpr2_vgpr3
                                        ; implicit-def: $vgpr4_vgpr5
	s_and_saveexec_b64 s[22:23], s[4:5]
	s_cbranch_execz .LBB165_7
; %bb.3:
	v_ashrrev_i32_e32 v1, 31, v0
	v_cmp_eq_f64_e64 s[4:5], s[12:13], 0
	v_mul_lo_u32 v6, v0, s7
	v_mul_lo_u32 v1, v1, s6
	v_mad_u64_u32 v[4:5], s[14:15], v0, s6, 0
	v_mov_b64_e32 v[2:3], 0
	v_add3_u32 v5, v5, v6, v1
	s_and_b64 vcc, exec, s[4:5]
	s_cbranch_vccnz .LBB165_5
; %bb.4:
	v_lshl_add_u64 v[2:3], v[4:5], 3, s[8:9]
	global_load_dwordx2 v[2:3], v[2:3], off
	s_waitcnt vmcnt(0)
	v_mul_f64 v[2:3], v[2:3], s[12:13]
.LBB165_5:
	s_mov_b64 s[14:15], exec
	s_or_b64 exec, exec, s[22:23]
	s_and_b64 vcc, exec, s[20:21]
	s_cbranch_vccnz .LBB165_8
	s_branch .LBB165_17
.LBB165_6:
                                        ; implicit-def: $vgpr2_vgpr3
                                        ; implicit-def: $vgpr4_vgpr5
	s_cbranch_execnz .LBB165_8
	s_branch .LBB165_17
.LBB165_7:
	s_or_b64 exec, exec, s[22:23]
	s_and_b64 vcc, exec, s[20:21]
	s_cbranch_vccz .LBB165_17
.LBB165_8:
	v_cmp_gt_i32_e32 vcc, s18, v0
                                        ; implicit-def: $vgpr2_vgpr3
                                        ; implicit-def: $vgpr4_vgpr5
	s_and_saveexec_b64 s[4:5], vcc
	s_cbranch_execz .LBB165_16
; %bb.9:
	v_ashrrev_i32_e32 v1, 31, v0
	s_cmp_lt_i32 s2, 0
	v_mov_b64_e32 v[6:7], 0
	s_cbranch_scc1 .LBB165_12
; %bb.10:
	s_load_dwordx2 s[20:21], s[0:1], 0x48
	s_load_dword s3, s[0:1], 0x58
	s_ashr_i32 s19, s18, 31
	s_mul_hi_u32 s0, s18, s16
	s_mul_i32 s1, s19, s16
	s_add_i32 s0, s0, s1
	s_mul_i32 s16, s18, s16
	s_waitcnt lgkmcnt(0)
	s_mul_i32 s0, s0, s3
	s_mul_hi_u32 s1, s16, s3
	s_add_i32 s1, s1, s0
	s_mul_i32 s0, s16, s3
	s_lshl_b64 s[0:1], s[0:1], 3
	s_add_u32 s0, s20, s0
	s_addc_u32 s1, s21, s1
	v_lshl_add_u64 v[2:3], v[0:1], 3, s[0:1]
	s_add_i32 s2, s2, 1
	s_lshl_b64 s[0:1], s[18:19], 3
	v_mov_b64_e32 v[6:7], 0
.LBB165_11:                             ; =>This Inner Loop Header: Depth=1
	global_load_dwordx2 v[4:5], v[2:3], off
	s_add_i32 s2, s2, -1
	v_lshl_add_u64 v[2:3], v[2:3], 0, s[0:1]
	s_cmp_eq_u32 s2, 0
	s_waitcnt vmcnt(0)
	v_add_f64 v[6:7], v[6:7], v[4:5]
	s_cbranch_scc0 .LBB165_11
.LBB165_12:
	v_cmp_eq_f64_e64 s[2:3], s[12:13], 0
	s_mov_b64 s[0:1], 0
	s_and_b64 vcc, exec, s[2:3]
	v_mul_lo_u32 v1, v1, s6
	v_mul_lo_u32 v8, v0, s7
	s_cbranch_vccz .LBB165_20
; %bb.13:
	v_mad_u64_u32 v[4:5], s[2:3], v0, s6, 0
	v_mul_f64 v[2:3], v[6:7], s[10:11]
	v_add3_u32 v5, v5, v8, v1
	s_andn2_b64 vcc, exec, s[0:1]
	s_cbranch_vccnz .LBB165_15
.LBB165_14:
	v_mad_u64_u32 v[4:5], s[0:1], v0, s6, 0
	v_add3_u32 v5, v5, v8, v1
	v_lshl_add_u64 v[0:1], v[4:5], 3, s[8:9]
	global_load_dwordx2 v[0:1], v[0:1], off
	s_waitcnt vmcnt(0)
	v_mul_f64 v[2:3], v[0:1], s[12:13]
	v_fmac_f64_e32 v[2:3], s[10:11], v[6:7]
.LBB165_15:
	s_or_b64 s[14:15], s[14:15], exec
.LBB165_16:
	s_or_b64 exec, exec, s[4:5]
.LBB165_17:
	s_and_saveexec_b64 s[0:1], s[14:15]
	s_cbranch_execz .LBB165_19
; %bb.18:
	v_lshl_add_u64 v[0:1], v[4:5], 3, s[8:9]
	global_store_dwordx2 v[0:1], v[2:3], off
.LBB165_19:
	s_endpgm
.LBB165_20:
                                        ; implicit-def: $vgpr2_vgpr3
                                        ; implicit-def: $vgpr4_vgpr5
	s_branch .LBB165_14
	.section	.rodata,"a",@progbits
	.p2align	6, 0x0
	.amdhsa_kernel _ZL36rocblas_hemvn_kernel_upper_block_sumILi64EldPKPddEviT1_lS3_lT2_lT0_lPT3_i
		.amdhsa_group_segment_fixed_size 0
		.amdhsa_private_segment_fixed_size 0
		.amdhsa_kernarg_size 344
		.amdhsa_user_sgpr_count 2
		.amdhsa_user_sgpr_dispatch_ptr 0
		.amdhsa_user_sgpr_queue_ptr 0
		.amdhsa_user_sgpr_kernarg_segment_ptr 1
		.amdhsa_user_sgpr_dispatch_id 0
		.amdhsa_user_sgpr_kernarg_preload_length 0
		.amdhsa_user_sgpr_kernarg_preload_offset 0
		.amdhsa_user_sgpr_private_segment_size 0
		.amdhsa_uses_dynamic_stack 0
		.amdhsa_enable_private_segment 0
		.amdhsa_system_sgpr_workgroup_id_x 1
		.amdhsa_system_sgpr_workgroup_id_y 0
		.amdhsa_system_sgpr_workgroup_id_z 1
		.amdhsa_system_sgpr_workgroup_info 0
		.amdhsa_system_vgpr_workitem_id 0
		.amdhsa_next_free_vgpr 9
		.amdhsa_next_free_sgpr 24
		.amdhsa_accum_offset 12
		.amdhsa_reserve_vcc 1
		.amdhsa_float_round_mode_32 0
		.amdhsa_float_round_mode_16_64 0
		.amdhsa_float_denorm_mode_32 3
		.amdhsa_float_denorm_mode_16_64 3
		.amdhsa_dx10_clamp 1
		.amdhsa_ieee_mode 1
		.amdhsa_fp16_overflow 0
		.amdhsa_tg_split 0
		.amdhsa_exception_fp_ieee_invalid_op 0
		.amdhsa_exception_fp_denorm_src 0
		.amdhsa_exception_fp_ieee_div_zero 0
		.amdhsa_exception_fp_ieee_overflow 0
		.amdhsa_exception_fp_ieee_underflow 0
		.amdhsa_exception_fp_ieee_inexact 0
		.amdhsa_exception_int_div_zero 0
	.end_amdhsa_kernel
	.section	.text._ZL36rocblas_hemvn_kernel_upper_block_sumILi64EldPKPddEviT1_lS3_lT2_lT0_lPT3_i,"axG",@progbits,_ZL36rocblas_hemvn_kernel_upper_block_sumILi64EldPKPddEviT1_lS3_lT2_lT0_lPT3_i,comdat
.Lfunc_end165:
	.size	_ZL36rocblas_hemvn_kernel_upper_block_sumILi64EldPKPddEviT1_lS3_lT2_lT0_lPT3_i, .Lfunc_end165-_ZL36rocblas_hemvn_kernel_upper_block_sumILi64EldPKPddEviT1_lS3_lT2_lT0_lPT3_i
                                        ; -- End function
	.section	.AMDGPU.csdata,"",@progbits
; Kernel info:
; codeLenInByte = 604
; NumSgprs: 30
; NumVgprs: 9
; NumAgprs: 0
; TotalNumVgprs: 9
; ScratchSize: 0
; MemoryBound: 0
; FloatMode: 240
; IeeeMode: 1
; LDSByteSize: 0 bytes/workgroup (compile time only)
; SGPRBlocks: 3
; VGPRBlocks: 1
; NumSGPRsForWavesPerEU: 30
; NumVGPRsForWavesPerEU: 9
; AccumOffset: 12
; Occupancy: 8
; WaveLimiterHint : 1
; COMPUTE_PGM_RSRC2:SCRATCH_EN: 0
; COMPUTE_PGM_RSRC2:USER_SGPR: 2
; COMPUTE_PGM_RSRC2:TRAP_HANDLER: 0
; COMPUTE_PGM_RSRC2:TGID_X_EN: 1
; COMPUTE_PGM_RSRC2:TGID_Y_EN: 0
; COMPUTE_PGM_RSRC2:TGID_Z_EN: 1
; COMPUTE_PGM_RSRC2:TIDIG_COMP_CNT: 0
; COMPUTE_PGM_RSRC3_GFX90A:ACCUM_OFFSET: 2
; COMPUTE_PGM_RSRC3_GFX90A:TG_SPLIT: 0
	.section	.text._ZL26rocblas_hemvn_kernel_upperILb0ELi64ELi4ELi33ELi32ELi16EidPKPKdPdEviT6_lT7_lT5_lS6_lS7_lS5_lT8_i,"axG",@progbits,_ZL26rocblas_hemvn_kernel_upperILb0ELi64ELi4ELi33ELi32ELi16EidPKPKdPdEviT6_lT7_lT5_lS6_lS7_lS5_lT8_i,comdat
	.globl	_ZL26rocblas_hemvn_kernel_upperILb0ELi64ELi4ELi33ELi32ELi16EidPKPKdPdEviT6_lT7_lT5_lS6_lS7_lS5_lT8_i ; -- Begin function _ZL26rocblas_hemvn_kernel_upperILb0ELi64ELi4ELi33ELi32ELi16EidPKPKdPdEviT6_lT7_lT5_lS6_lS7_lS5_lT8_i
	.p2align	8
	.type	_ZL26rocblas_hemvn_kernel_upperILb0ELi64ELi4ELi33ELi32ELi16EidPKPKdPdEviT6_lT7_lT5_lS6_lS7_lS5_lT8_i,@function
_ZL26rocblas_hemvn_kernel_upperILb0ELi64ELi4ELi33ELi32ELi16EidPKPKdPdEviT6_lT7_lT5_lS6_lS7_lS5_lT8_i: ; @_ZL26rocblas_hemvn_kernel_upperILb0ELi64ELi4ELi33ELi32ELi16EidPKPKdPdEviT6_lT7_lT5_lS6_lS7_lS5_lT8_i
; %bb.0:
	s_load_dwordx2 s[4:5], s[0:1], 0x84
	s_add_u32 s8, s0, 0x78
	s_mov_b32 s24, s3
	s_addc_u32 s9, s1, 0
	s_waitcnt lgkmcnt(0)
	s_and_b32 s3, s5, 0xffff
	s_lshr_b32 s5, s4, 16
	s_and_b32 s4, s4, 0xffff
	s_mul_i32 s4, s5, s4
	s_mul_i32 s4, s4, s3
	s_cmpk_lg_i32 s4, 0x100
	s_cbranch_scc1 .LBB166_130
; %bb.1:
	s_load_dwordx2 s[4:5], s[0:1], 0x8
	s_load_dwordx2 s[10:11], s[0:1], 0x58
	s_waitcnt lgkmcnt(0)
	v_cmp_eq_f64_e64 s[6:7], s[4:5], 0
	v_cmp_eq_f64_e64 s[10:11], s[10:11], 1.0
	s_and_b64 s[10:11], s[6:7], s[10:11]
	s_and_b64 vcc, exec, s[10:11]
	s_cbranch_vccnz .LBB166_130
; %bb.2:
	s_mov_b64 s[10:11], 0
	v_cmp_neq_f64_e64 s[12:13], s[4:5], 0
	s_and_b64 vcc, exec, s[6:7]
	s_mov_b64 s[6:7], 0
	s_cbranch_vccnz .LBB166_4
; %bb.3:
	s_load_dwordx4 s[4:7], s[0:1], 0x18
	s_mov_b32 s25, 0
	s_lshl_b64 s[14:15], s[24:25], 3
	s_waitcnt lgkmcnt(0)
	s_add_u32 s4, s4, s14
	s_addc_u32 s5, s5, s15
	s_load_dwordx2 s[4:5], s[4:5], 0x0
	s_lshl_b64 s[6:7], s[6:7], 3
	s_waitcnt lgkmcnt(0)
	s_add_u32 s6, s4, s6
	s_addc_u32 s7, s5, s7
.LBB166_4:
	v_cndmask_b32_e64 v1, 0, 1, s[12:13]
	v_cmp_ne_u32_e64 s[4:5], 1, v1
	s_andn2_b64 vcc, exec, s[12:13]
	s_cbranch_vccnz .LBB166_6
; %bb.5:
	s_load_dwordx4 s[12:15], s[0:1], 0x38
	s_mov_b32 s25, 0
	s_lshl_b64 s[10:11], s[24:25], 3
	s_waitcnt lgkmcnt(0)
	s_add_u32 s10, s12, s10
	s_addc_u32 s11, s13, s11
	s_load_dwordx2 s[10:11], s[10:11], 0x0
	s_lshl_b64 s[12:13], s[14:15], 3
	s_waitcnt lgkmcnt(0)
	s_add_u32 s10, s10, s12
	s_addc_u32 s11, s11, s13
.LBB166_6:
	s_and_b64 vcc, exec, s[4:5]
	s_cbranch_vccnz .LBB166_130
; %bb.7:
	s_load_dword s3, s[8:9], 0x0
	s_load_dword s36, s[0:1], 0x0
	;; [unrolled: 1-line block ×3, first 2 shown]
	v_and_b32_e32 v26, 0x3ff, v0
	s_lshl_b32 s26, s2, 6
	v_add_u32_e32 v24, s26, v26
	s_waitcnt lgkmcnt(0)
	s_ashr_i32 s37, s36, 31
	s_lshr_b32 s5, s37, 26
	s_add_i32 s5, s36, s5
	s_andn2_b32 s5, s5, 63
	v_bfe_u32 v25, v0, 10, 10
	s_add_i32 s4, s3, -1
	s_sub_i32 s25, s36, s5
	v_mul_lo_u32 v0, v24, s33
	s_cmp_eq_u32 s2, s4
	v_ashrrev_i32_e32 v1, 31, v0
	s_cselect_b32 s18, s25, 0
	v_lshl_add_u64 v[14:15], v[0:1], 3, s[10:11]
	v_cmp_eq_u32_e64 s[14:15], 0, v25
	s_and_saveexec_b64 s[4:5], s[14:15]
	s_cbranch_execz .LBB166_11
; %bb.8:
	s_cmp_eq_u32 s18, 0
	s_cselect_b64 s[8:9], -1, 0
	v_cmp_gt_i32_e32 vcc, s18, v26
	s_or_b64 s[10:11], s[8:9], vcc
	v_mov_b64_e32 v[0:1], 0
	s_and_saveexec_b64 s[8:9], s[10:11]
	s_cbranch_execz .LBB166_10
; %bb.9:
	flat_load_dwordx2 v[0:1], v[14:15]
.LBB166_10:
	s_or_b64 exec, exec, s[8:9]
	v_lshlrev_b32_e32 v2, 3, v26
	s_waitcnt vmcnt(0) lgkmcnt(0)
	ds_write_b64 v2, v[0:1] offset:9088
.LBB166_11:
	s_or_b64 exec, exec, s[4:5]
	s_load_dword s22, s[0:1], 0x28
	s_ashr_i32 s27, s26, 31
	v_lshl_add_u32 v22, v25, 6, v26
	s_lshl_b64 s[4:5], s[26:27], 3
	v_and_b32_e32 v0, 31, v26
	v_lshrrev_b32_e32 v1, 5, v22
	s_add_u32 s6, s6, s4
	s_addc_u32 s7, s7, s5
	s_waitcnt lgkmcnt(0)
	v_mad_u64_u32 v[12:13], s[4:5], v1, s22, v[0:1]
	s_mul_i32 s4, s26, s22
	s_ashr_i32 s5, s4, 31
	s_lshl_b64 s[4:5], s[4:5], 3
	s_add_u32 s4, s4, s6
	s_addc_u32 s5, s5, s7
	s_cmp_eq_u32 s18, 0
	s_cselect_b64 s[20:21], -1, 0
	s_cmp_lg_u32 s18, 0
	v_ashrrev_i32_e32 v13, 31, v12
	s_cselect_b64 s[30:31], -1, 0
	v_lshl_add_u64 v[6:7], v[12:13], 3, s[4:5]
	s_and_b64 vcc, exec, s[30:31]
	v_cmp_gt_i32_e64 s[4:5], s18, v0
	v_lshlrev_b32_e32 v2, 3, v0
	s_cbranch_vccz .LBB166_21
; %bb.12:
	v_sub_co_u32_e32 v4, vcc, v6, v2
	s_ashr_i32 s19, s18, 31
	s_nop 0
	v_subbrev_co_u32_e32 v5, vcc, 0, v7, vcc
	v_lshl_add_u64 v[4:5], s[18:19], 3, v[4:5]
	v_lshl_add_u64 v[4:5], v[4:5], 0, -8
	v_mov_b64_e32 v[8:9], 0
	v_cndmask_b32_e64 v5, v5, v7, s[4:5]
	v_cndmask_b32_e64 v4, v4, v6, s[4:5]
	v_cmp_gt_i32_e32 vcc, s18, v1
	v_mov_b64_e32 v[10:11], v[8:9]
	s_and_saveexec_b64 s[6:7], vcc
	s_cbranch_execz .LBB166_14
; %bb.13:
	flat_load_dwordx2 v[10:11], v[4:5]
.LBB166_14:
	s_or_b64 exec, exec, s[6:7]
	v_mul_u32_u24_e32 v3, 33, v1
	v_add_lshl_u32 v3, v3, v0, 3
	s_waitcnt vmcnt(0) lgkmcnt(0)
	ds_write_b64 v3, v[10:11]
	v_add_u32_e32 v10, 8, v1
	v_cmp_gt_i32_e32 vcc, s18, v10
	s_and_saveexec_b64 s[6:7], vcc
	s_cbranch_execz .LBB166_16
; %bb.15:
	s_lshl_b32 s8, s22, 3
	s_ashr_i32 s9, s8, 31
	v_lshl_add_u64 v[8:9], s[8:9], 3, v[4:5]
	flat_load_dwordx2 v[8:9], v[8:9]
.LBB166_16:
	s_or_b64 exec, exec, s[6:7]
	s_waitcnt vmcnt(0) lgkmcnt(0)
	ds_write_b64 v3, v[8:9] offset:2112
	v_add_u32_e32 v8, 16, v1
	v_cmp_gt_i32_e32 vcc, s18, v8
	v_mov_b64_e32 v[8:9], 0
	v_mov_b64_e32 v[10:11], v[8:9]
	s_and_saveexec_b64 s[6:7], vcc
	s_cbranch_execz .LBB166_18
; %bb.17:
	s_lshl_b32 s8, s22, 4
	s_ashr_i32 s9, s8, 31
	v_lshl_add_u64 v[10:11], s[8:9], 3, v[4:5]
	flat_load_dwordx2 v[10:11], v[10:11]
.LBB166_18:
	s_or_b64 exec, exec, s[6:7]
	s_waitcnt vmcnt(0) lgkmcnt(0)
	ds_write_b64 v3, v[10:11] offset:4224
	v_add_u32_e32 v10, 24, v1
	v_cmp_gt_i32_e32 vcc, s18, v10
	s_and_saveexec_b64 s[6:7], vcc
	s_cbranch_execz .LBB166_20
; %bb.19:
	s_mul_i32 s8, s22, 24
	s_ashr_i32 s9, s8, 31
	v_lshl_add_u64 v[8:9], s[8:9], 3, v[4:5]
	flat_load_dwordx2 v[8:9], v[8:9]
.LBB166_20:
	s_or_b64 exec, exec, s[6:7]
	s_waitcnt vmcnt(0) lgkmcnt(0)
	ds_write_b64 v3, v[8:9] offset:6336
	v_mov_b32_e32 v3, 0
	v_lshl_add_u64 v[4:5], v[4:5], 0, v[2:3]
	s_lshl_b64 s[6:7], s[18:19], 3
	v_mov_b32_e32 v3, s7
	v_subrev_co_u32_e32 v4, vcc, s6, v4
	s_nop 1
	v_subb_co_u32_e32 v5, vcc, v5, v3, vcc
	v_lshl_add_u64 v[4:5], v[4:5], 0, 8
	v_cndmask_b32_e64 v5, v5, v7, s[4:5]
	v_cndmask_b32_e64 v4, v4, v6, s[4:5]
	v_mul_u32_u24_e32 v19, 33, v1
	s_branch .LBB166_23
.LBB166_21:
                                        ; implicit-def: $vgpr4_vgpr5
	v_mul_u32_u24_e32 v19, 33, v1
	s_cbranch_execz .LBB166_23
; %bb.22:
	flat_load_dwordx2 v[4:5], v[6:7]
	s_lshl_b32 s4, s22, 3
	v_add_lshl_u32 v3, v19, v0, 3
	s_ashr_i32 s5, s4, 31
	v_lshl_add_u64 v[8:9], s[4:5], 3, v[6:7]
	s_ashr_i32 s23, s22, 31
	s_lshl_b64 s[4:5], s[22:23], 6
	s_waitcnt vmcnt(0) lgkmcnt(0)
	ds_write_b64 v3, v[4:5]
	flat_load_dwordx2 v[4:5], v[8:9]
	v_lshl_add_u64 v[8:9], v[8:9], 0, s[4:5]
	s_waitcnt vmcnt(0) lgkmcnt(0)
	ds_write_b64 v3, v[4:5] offset:2112
	flat_load_dwordx2 v[4:5], v[8:9]
	v_lshl_add_u64 v[8:9], v[8:9], 0, s[4:5]
	s_waitcnt vmcnt(0) lgkmcnt(0)
	ds_write_b64 v3, v[4:5] offset:4224
	flat_load_dwordx2 v[4:5], v[8:9]
	s_waitcnt vmcnt(0) lgkmcnt(0)
	ds_write_b64 v3, v[4:5] offset:6336
	v_mov_b64_e32 v[4:5], v[6:7]
.LBB166_23:
	v_lshlrev_b32_e32 v3, 2, v1
	v_mul_u32_u24_e32 v18, 33, v0
	v_cmp_gt_u32_e64 s[6:7], v3, v0
	v_add_lshl_u32 v21, v3, v18, 3
	s_waitcnt lgkmcnt(0)
	s_barrier
	s_and_saveexec_b64 s[4:5], s[6:7]
	s_cbranch_execz .LBB166_25
; %bb.24:
	v_mul_u32_u24_e32 v6, 0x84, v1
	v_add_lshl_u32 v6, v6, v0, 3
	ds_read_b64 v[6:7], v6
	s_waitcnt lgkmcnt(0)
	ds_write_b64 v21, v[6:7]
.LBB166_25:
	s_or_b64 exec, exec, s[4:5]
	v_cmp_ge_u32_e64 s[8:9], v3, v0
	s_and_saveexec_b64 s[4:5], s[8:9]
	s_cbranch_execz .LBB166_27
; %bb.26:
	v_or_b32_e32 v6, 1, v3
	v_mul_u32_u24_e32 v6, 33, v6
	v_add_lshl_u32 v6, v6, v0, 3
	ds_read_b64 v[6:7], v6
	s_waitcnt lgkmcnt(0)
	ds_write_b64 v21, v[6:7] offset:8
.LBB166_27:
	s_or_b64 exec, exec, s[4:5]
	v_or_b32_e32 v6, 2, v3
	v_cmp_gt_u32_e64 s[10:11], v6, v0
	s_and_saveexec_b64 s[4:5], s[10:11]
	s_cbranch_execz .LBB166_29
; %bb.28:
	v_mul_u32_u24_e32 v6, 33, v6
	v_add_lshl_u32 v6, v6, v0, 3
	ds_read_b64 v[6:7], v6
	s_waitcnt lgkmcnt(0)
	ds_write_b64 v21, v[6:7] offset:16
.LBB166_29:
	s_or_b64 exec, exec, s[4:5]
	v_or_b32_e32 v6, 3, v3
	v_cmp_gt_u32_e64 s[12:13], v6, v0
	v_mad_u32_u24 v6, v6, 33, v0
	v_lshlrev_b32_e32 v30, 3, v6
	s_and_saveexec_b64 s[4:5], s[12:13]
	s_cbranch_execz .LBB166_31
; %bb.30:
	ds_read_b64 v[6:7], v30
	s_waitcnt lgkmcnt(0)
	ds_write_b64 v21, v[6:7] offset:24
.LBB166_31:
	s_or_b64 exec, exec, s[4:5]
	v_mul_u32_u24_e32 v6, 0x84, v1
	v_add_lshl_u32 v20, v6, v0, 3
	s_waitcnt lgkmcnt(0)
	s_barrier
	v_lshlrev_b32_e32 v32, 3, v3
	ds_read_b64 v[10:11], v20
	ds_read_b128 v[6:9], v32 offset:9088
	v_add_u32_e32 v31, 0xfffffdf0, v30
	ds_read2_b64 v[34:37], v31 offset1:33
	ds_read_b128 v[38:41], v32 offset:9104
	ds_read_b64 v[16:17], v30
	v_mov_b64_e32 v[28:29], 0
	v_add_lshl_u32 v27, v1, v18, 3
	s_waitcnt lgkmcnt(3)
	v_fma_f64 v[6:7], v[10:11], v[6:7], 0
	s_waitcnt lgkmcnt(2)
	v_fmac_f64_e32 v[6:7], v[34:35], v[8:9]
	s_waitcnt lgkmcnt(1)
	v_fmac_f64_e32 v[6:7], v[36:37], v[38:39]
	s_waitcnt lgkmcnt(0)
	v_fmac_f64_e32 v[6:7], v[16:17], v[40:41]
	v_cmp_gt_u32_e64 s[4:5], 32, v22
	v_lshlrev_b32_e32 v23, 3, v18
	s_barrier
	ds_write_b64 v27, v[6:7]
	s_waitcnt lgkmcnt(0)
	s_barrier
	s_and_saveexec_b64 s[16:17], s[4:5]
	s_cbranch_execz .LBB166_33
; %bb.32:
	ds_read2_b64 v[6:9], v23 offset1:1
	ds_read2_b64 v[34:37], v23 offset0:2 offset1:3
	ds_read2_b64 v[38:41], v23 offset0:4 offset1:5
	s_waitcnt lgkmcnt(2)
	v_add_f64 v[10:11], v[6:7], v[8:9]
	ds_read2_b64 v[6:9], v23 offset0:6 offset1:7
	s_waitcnt lgkmcnt(2)
	v_add_f64 v[10:11], v[10:11], v[34:35]
	v_add_f64 v[10:11], v[10:11], v[36:37]
	s_waitcnt lgkmcnt(1)
	v_add_f64 v[10:11], v[10:11], v[38:39]
	v_add_f64 v[10:11], v[10:11], v[40:41]
	;; [unrolled: 3-line block ×3, first 2 shown]
.LBB166_33:
	s_or_b64 exec, exec, s[16:17]
	s_lshl_b32 s28, s22, 5
	s_ashr_i32 s29, s28, 31
	v_lshl_add_u64 v[8:9], s[28:29], 3, v[4:5]
	s_mov_b64 s[16:17], 0x100
	v_lshl_add_u64 v[6:7], v[8:9], 0, s[16:17]
	s_and_b64 vcc, exec, s[30:31]
	s_barrier
	s_cbranch_vccz .LBB166_43
; %bb.34:
	v_or_b32_e32 v3, 32, v0
	v_lshlrev_b32_e32 v4, 3, v3
	v_sub_co_u32_e32 v4, vcc, v6, v4
	s_ashr_i32 s19, s18, 31
	s_nop 0
	v_subbrev_co_u32_e32 v5, vcc, 0, v7, vcc
	v_lshl_add_u64 v[4:5], s[18:19], 3, v[4:5]
	v_lshl_add_u64 v[4:5], v[4:5], 0, -8
	v_cmp_gt_i32_e32 vcc, s18, v3
	s_sub_i32 s23, s18, 32
	v_mov_b64_e32 v[10:11], 0
	v_cndmask_b32_e32 v5, v5, v7, vcc
	v_cndmask_b32_e32 v4, v4, v6, vcc
	v_cmp_gt_i32_e64 s[16:17], s23, v1
	v_mov_b64_e32 v[16:17], v[10:11]
	s_and_saveexec_b64 s[34:35], s[16:17]
	s_cbranch_execz .LBB166_36
; %bb.35:
	flat_load_dwordx2 v[16:17], v[4:5]
.LBB166_36:
	s_or_b64 exec, exec, s[34:35]
	v_add_lshl_u32 v3, v19, v0, 3
	s_waitcnt vmcnt(0) lgkmcnt(0)
	ds_write_b64 v3, v[16:17]
	v_add_u32_e32 v16, 8, v1
	v_cmp_gt_i32_e64 s[16:17], s23, v16
	s_and_saveexec_b64 s[34:35], s[16:17]
	s_cbranch_execz .LBB166_38
; %bb.37:
	s_lshl_b32 s16, s22, 3
	s_ashr_i32 s17, s16, 31
	v_lshl_add_u64 v[10:11], s[16:17], 3, v[4:5]
	flat_load_dwordx2 v[10:11], v[10:11]
.LBB166_38:
	s_or_b64 exec, exec, s[34:35]
	s_waitcnt vmcnt(0) lgkmcnt(0)
	ds_write_b64 v3, v[10:11] offset:2112
	v_add_u32_e32 v10, 16, v1
	v_cmp_gt_i32_e64 s[16:17], s23, v10
	v_mov_b64_e32 v[10:11], 0
	v_mov_b64_e32 v[16:17], v[10:11]
	s_and_saveexec_b64 s[34:35], s[16:17]
	s_cbranch_execz .LBB166_40
; %bb.39:
	s_lshl_b32 s16, s22, 4
	s_ashr_i32 s17, s16, 31
	v_lshl_add_u64 v[16:17], s[16:17], 3, v[4:5]
	flat_load_dwordx2 v[16:17], v[16:17]
.LBB166_40:
	s_or_b64 exec, exec, s[34:35]
	s_waitcnt vmcnt(0) lgkmcnt(0)
	ds_write_b64 v3, v[16:17] offset:4224
	v_add_u32_e32 v16, 24, v1
	v_cmp_gt_i32_e64 s[16:17], s23, v16
	s_and_saveexec_b64 s[34:35], s[16:17]
	s_cbranch_execz .LBB166_42
; %bb.41:
	s_mul_i32 s16, s22, 24
	s_ashr_i32 s17, s16, 31
	v_lshl_add_u64 v[10:11], s[16:17], 3, v[4:5]
	flat_load_dwordx2 v[10:11], v[10:11]
.LBB166_42:
	s_or_b64 exec, exec, s[34:35]
	s_waitcnt vmcnt(0) lgkmcnt(0)
	ds_write_b64 v3, v[10:11] offset:6336
	v_mov_b32_e32 v3, 0
	v_lshl_add_u64 v[4:5], v[4:5], 0, v[2:3]
	s_lshl_b64 s[16:17], s[18:19], 3
	v_mov_b32_e32 v3, s17
	v_subrev_co_u32_e64 v4, s[16:17], s16, v4
	s_nop 1
	v_subb_co_u32_e64 v5, s[16:17], v5, v3, s[16:17]
	s_mov_b64 s[16:17], 0x108
	s_nop 0
	v_lshl_add_u64 v[4:5], v[4:5], 0, s[16:17]
	v_cndmask_b32_e32 v5, v5, v7, vcc
	v_cndmask_b32_e32 v4, v4, v6, vcc
	s_branch .LBB166_45
.LBB166_43:
                                        ; implicit-def: $vgpr4_vgpr5
	s_cbranch_execz .LBB166_45
; %bb.44:
	flat_load_dwordx2 v[4:5], v[8:9] offset:256
	s_lshl_b32 s16, s22, 3
	v_add_lshl_u32 v3, v19, v0, 3
	s_ashr_i32 s17, s16, 31
	v_lshl_add_u64 v[8:9], s[16:17], 3, v[8:9]
	s_ashr_i32 s23, s22, 31
	s_lshl_b64 s[16:17], s[22:23], 6
	s_waitcnt vmcnt(0) lgkmcnt(0)
	ds_write_b64 v3, v[4:5]
	flat_load_dwordx2 v[4:5], v[8:9] offset:256
	v_lshl_add_u64 v[8:9], v[8:9], 0, s[16:17]
	s_waitcnt vmcnt(0) lgkmcnt(0)
	ds_write_b64 v3, v[4:5] offset:2112
	flat_load_dwordx2 v[4:5], v[8:9] offset:256
	v_lshl_add_u64 v[8:9], v[8:9], 0, s[16:17]
	s_waitcnt vmcnt(0) lgkmcnt(0)
	ds_write_b64 v3, v[4:5] offset:4224
	flat_load_dwordx2 v[4:5], v[8:9] offset:256
	s_waitcnt vmcnt(0) lgkmcnt(0)
	ds_write_b64 v3, v[4:5] offset:6336
	v_mov_b64_e32 v[4:5], v[6:7]
.LBB166_45:
	s_waitcnt lgkmcnt(0)
	s_barrier
	s_and_saveexec_b64 s[16:17], s[6:7]
	s_cbranch_execnz .LBB166_62
; %bb.46:
	s_or_b64 exec, exec, s[16:17]
	s_and_saveexec_b64 s[6:7], s[8:9]
	s_cbranch_execnz .LBB166_63
.LBB166_47:
	s_or_b64 exec, exec, s[6:7]
	s_and_saveexec_b64 s[6:7], s[10:11]
	s_cbranch_execnz .LBB166_64
.LBB166_48:
	s_or_b64 exec, exec, s[6:7]
	v_add_u32_e32 v32, 0x2380, v32
	s_and_saveexec_b64 s[6:7], s[12:13]
	s_cbranch_execz .LBB166_50
.LBB166_49:
	ds_read_b64 v[6:7], v30
	s_waitcnt lgkmcnt(0)
	ds_write_b64 v21, v[6:7] offset:24
.LBB166_50:
	s_or_b64 exec, exec, s[6:7]
	s_waitcnt lgkmcnt(0)
	s_barrier
	ds_read_b64 v[10:11], v20
	ds_read_b128 v[6:9], v32 offset:256
	ds_read2_b64 v[34:37], v31 offset1:33
	ds_read_b128 v[38:41], v32 offset:272
	ds_read_b64 v[16:17], v30
	v_cmp_eq_u32_e64 s[6:7], 1, v1
	s_waitcnt lgkmcnt(3)
	v_fma_f64 v[6:7], v[10:11], v[6:7], 0
	s_waitcnt lgkmcnt(2)
	v_fmac_f64_e32 v[6:7], v[34:35], v[8:9]
	s_waitcnt lgkmcnt(1)
	v_fmac_f64_e32 v[6:7], v[36:37], v[38:39]
	;; [unrolled: 2-line block ×3, first 2 shown]
	s_barrier
	ds_write_b64 v27, v[6:7]
	s_waitcnt lgkmcnt(0)
	s_barrier
	s_and_saveexec_b64 s[8:9], s[6:7]
	s_cbranch_execz .LBB166_52
; %bb.51:
	ds_read2_b64 v[6:9], v23 offset1:1
	ds_read2_b64 v[34:37], v23 offset0:2 offset1:3
	ds_read2_b64 v[38:41], v23 offset0:4 offset1:5
	s_waitcnt lgkmcnt(2)
	v_add_f64 v[10:11], v[6:7], v[8:9]
	ds_read2_b64 v[6:9], v23 offset0:6 offset1:7
	s_waitcnt lgkmcnt(2)
	v_add_f64 v[10:11], v[10:11], v[34:35]
	v_add_f64 v[10:11], v[10:11], v[36:37]
	s_waitcnt lgkmcnt(1)
	v_add_f64 v[10:11], v[10:11], v[38:39]
	v_add_f64 v[10:11], v[10:11], v[40:41]
	;; [unrolled: 3-line block ×3, first 2 shown]
.LBB166_52:
	s_or_b64 exec, exec, s[8:9]
	s_movk_i32 s8, 0xff00
	s_mov_b32 s9, -1
	v_lshl_add_u64 v[4:5], v[4:5], 0, s[8:9]
	s_and_b64 vcc, exec, s[30:31]
	s_barrier
	s_cbranch_vccz .LBB166_65
; %bb.53:
	v_sub_co_u32_e32 v6, vcc, v4, v2
	s_ashr_i32 s19, s18, 31
	s_nop 0
	v_subbrev_co_u32_e32 v7, vcc, 0, v5, vcc
	v_lshl_add_u64 v[6:7], s[18:19], 3, v[6:7]
	v_lshl_add_u64 v[6:7], v[6:7], 0, -8
	v_cmp_gt_i32_e32 vcc, s18, v0
	s_sub_i32 s12, s18, 32
	v_mov_b64_e32 v[8:9], 0
	v_cndmask_b32_e32 v7, v7, v5, vcc
	v_cndmask_b32_e32 v6, v6, v4, vcc
	v_cmp_gt_i32_e64 s[8:9], s12, v1
	v_mov_b64_e32 v[10:11], v[8:9]
	s_and_saveexec_b64 s[10:11], s[8:9]
	s_cbranch_execz .LBB166_55
; %bb.54:
	flat_load_dwordx2 v[10:11], v[6:7]
.LBB166_55:
	s_or_b64 exec, exec, s[10:11]
	v_add_u32_e32 v21, 8, v1
	v_add_lshl_u32 v3, v19, v0, 3
	v_cmp_gt_i32_e64 s[8:9], s12, v21
	s_waitcnt vmcnt(0) lgkmcnt(0)
	ds_write_b64 v3, v[10:11]
	s_and_saveexec_b64 s[10:11], s[8:9]
	s_cbranch_execz .LBB166_57
; %bb.56:
	s_lshl_b32 s8, s22, 3
	s_ashr_i32 s9, s8, 31
	v_lshl_add_u64 v[8:9], s[8:9], 3, v[6:7]
	flat_load_dwordx2 v[8:9], v[8:9]
.LBB166_57:
	s_or_b64 exec, exec, s[10:11]
	s_waitcnt vmcnt(0) lgkmcnt(0)
	ds_write_b64 v3, v[8:9] offset:2112
	v_add_u32_e32 v33, 16, v1
	v_mov_b64_e32 v[8:9], 0
	v_cmp_gt_i32_e64 s[8:9], s12, v33
	v_mov_b64_e32 v[10:11], v[8:9]
	s_and_saveexec_b64 s[10:11], s[8:9]
	s_cbranch_execz .LBB166_59
; %bb.58:
	s_lshl_b32 s8, s22, 4
	s_ashr_i32 s9, s8, 31
	v_lshl_add_u64 v[10:11], s[8:9], 3, v[6:7]
	flat_load_dwordx2 v[10:11], v[10:11]
.LBB166_59:
	s_or_b64 exec, exec, s[10:11]
	s_waitcnt vmcnt(0) lgkmcnt(0)
	ds_write_b64 v3, v[10:11] offset:4224
	v_add_u32_e32 v10, 24, v1
	v_cmp_gt_i32_e64 s[8:9], s12, v10
	s_and_saveexec_b64 s[10:11], s[8:9]
	s_cbranch_execz .LBB166_61
; %bb.60:
	s_mul_i32 s8, s22, 24
	s_ashr_i32 s9, s8, 31
	v_lshl_add_u64 v[8:9], s[8:9], 3, v[6:7]
	flat_load_dwordx2 v[8:9], v[8:9]
.LBB166_61:
	s_or_b64 exec, exec, s[10:11]
	s_waitcnt vmcnt(0) lgkmcnt(0)
	ds_write_b64 v3, v[8:9] offset:6336
	v_mov_b32_e32 v3, 0
	v_lshl_add_u64 v[2:3], v[6:7], 0, v[2:3]
	s_lshl_b64 s[8:9], s[18:19], 3
	v_mov_b32_e32 v6, s9
	v_subrev_co_u32_e64 v2, s[8:9], s8, v2
	s_nop 1
	v_subb_co_u32_e64 v3, s[8:9], v3, v6, s[8:9]
	v_lshl_add_u64 v[2:3], v[2:3], 0, 8
	v_cndmask_b32_e32 v17, v3, v5, vcc
	v_cndmask_b32_e32 v16, v2, v4, vcc
	s_branch .LBB166_67
.LBB166_62:
	ds_read_b64 v[6:7], v20
	s_waitcnt lgkmcnt(0)
	ds_write_b64 v21, v[6:7]
	s_or_b64 exec, exec, s[16:17]
	s_and_saveexec_b64 s[6:7], s[8:9]
	s_cbranch_execz .LBB166_47
.LBB166_63:
	ds_read_b64 v[6:7], v31
	s_waitcnt lgkmcnt(0)
	ds_write_b64 v21, v[6:7] offset:8
	s_or_b64 exec, exec, s[6:7]
	s_and_saveexec_b64 s[6:7], s[10:11]
	s_cbranch_execz .LBB166_48
.LBB166_64:
	ds_read_b64 v[6:7], v31 offset:264
	s_waitcnt lgkmcnt(0)
	ds_write_b64 v21, v[6:7] offset:16
	s_or_b64 exec, exec, s[6:7]
	v_add_u32_e32 v32, 0x2380, v32
	s_and_saveexec_b64 s[6:7], s[12:13]
	s_cbranch_execnz .LBB166_49
	s_branch .LBB166_50
.LBB166_65:
                                        ; implicit-def: $vgpr16_vgpr17
                                        ; implicit-def: $vgpr21
                                        ; implicit-def: $vgpr33
                                        ; implicit-def: $vgpr10
	s_cbranch_execz .LBB166_67
; %bb.66:
	flat_load_dwordx2 v[2:3], v[4:5]
	s_lshl_b32 s8, s22, 3
	v_add_lshl_u32 v0, v19, v0, 3
	s_ashr_i32 s9, s8, 31
	v_lshl_add_u64 v[6:7], s[8:9], 3, v[4:5]
	s_ashr_i32 s23, s22, 31
	s_lshl_b64 s[8:9], s[22:23], 6
	v_add_u32_e32 v21, 8, v1
	v_add_u32_e32 v33, 16, v1
	;; [unrolled: 1-line block ×3, first 2 shown]
	v_mov_b64_e32 v[16:17], v[4:5]
	s_waitcnt vmcnt(0) lgkmcnt(0)
	ds_write_b64 v0, v[2:3]
	flat_load_dwordx2 v[2:3], v[6:7]
	v_lshl_add_u64 v[6:7], v[6:7], 0, s[8:9]
	s_waitcnt vmcnt(0) lgkmcnt(0)
	ds_write_b64 v0, v[2:3] offset:2112
	flat_load_dwordx2 v[2:3], v[6:7]
	v_lshl_add_u64 v[6:7], v[6:7], 0, s[8:9]
	s_waitcnt vmcnt(0) lgkmcnt(0)
	ds_write_b64 v0, v[2:3] offset:4224
	flat_load_dwordx2 v[2:3], v[6:7]
	s_waitcnt vmcnt(0) lgkmcnt(0)
	ds_write_b64 v0, v[2:3] offset:6336
.LBB166_67:
	v_lshlrev_b32_e32 v0, 3, v1
	s_waitcnt lgkmcnt(0)
	s_barrier
	v_add_lshl_u32 v1, v21, v18, 3
	v_lshlrev_b32_e32 v2, 3, v21
	v_add_lshl_u32 v3, v33, v18, 3
	ds_read_b64 v[34:35], v0 offset:9088
	ds_read_b64 v[36:37], v1
	ds_read_b64 v[38:39], v2 offset:9088
	ds_read_b64 v[40:41], v3
	v_lshlrev_b32_e32 v19, 3, v33
	v_add_lshl_u32 v18, v10, v18, 3
	v_lshlrev_b32_e32 v46, 3, v10
	ds_read_b64 v[20:21], v20
	ds_read_b128 v[8:11], v32 offset:256
	ds_read_b64 v[42:43], v27
	ds_read_b128 v[0:3], v32 offset:272
	ds_read2_b64 v[4:7], v31 offset1:33
	ds_read_b64 v[32:33], v19 offset:9088
	ds_read_b64 v[44:45], v18
	ds_read_b64 v[46:47], v46 offset:9088
	ds_read_b64 v[18:19], v30
	s_waitcnt lgkmcnt(6)
	v_fma_f64 v[30:31], v[42:43], v[34:35], 0
	v_fmac_f64_e32 v[30:31], v[36:37], v[38:39]
	s_waitcnt lgkmcnt(3)
	v_fmac_f64_e32 v[30:31], v[40:41], v[32:33]
	s_waitcnt lgkmcnt(1)
	;; [unrolled: 2-line block ×3, first 2 shown]
	s_barrier
	ds_write_b64 v27, v[30:31]
	s_waitcnt lgkmcnt(0)
	s_barrier
	s_and_saveexec_b64 s[8:9], s[6:7]
	s_cbranch_execz .LBB166_69
; %bb.68:
	ds_read2_b64 v[30:33], v23 offset1:1
	ds_read2_b64 v[34:37], v23 offset0:2 offset1:3
	s_waitcnt lgkmcnt(1)
	v_add_f64 v[38:39], v[28:29], v[30:31]
	ds_read2_b64 v[28:31], v23 offset0:4 offset1:5
	v_add_f64 v[32:33], v[38:39], v[32:33]
	ds_read2_b64 v[38:41], v23 offset0:6 offset1:7
	s_waitcnt lgkmcnt(2)
	v_add_f64 v[32:33], v[32:33], v[34:35]
	v_add_f64 v[32:33], v[32:33], v[36:37]
	s_waitcnt lgkmcnt(1)
	v_add_f64 v[28:29], v[32:33], v[28:29]
	v_add_f64 v[28:29], v[28:29], v[30:31]
	;; [unrolled: 3-line block ×3, first 2 shown]
.LBB166_69:
	s_or_b64 exec, exec, s[8:9]
	v_fma_f64 v[8:9], v[20:21], v[8:9], 0
	v_fmac_f64_e32 v[8:9], v[4:5], v[10:11]
	v_fmac_f64_e32 v[8:9], v[6:7], v[0:1]
	;; [unrolled: 1-line block ×3, first 2 shown]
	s_barrier
	ds_write_b64 v27, v[8:9]
	s_waitcnt lgkmcnt(0)
	s_barrier
	s_and_saveexec_b64 s[6:7], s[4:5]
	s_cbranch_execz .LBB166_71
; %bb.70:
	ds_read2_b64 v[0:3], v23 offset1:1
	ds_read2_b64 v[4:7], v23 offset0:2 offset1:3
	ds_read2_b64 v[8:11], v23 offset0:4 offset1:5
	s_waitcnt lgkmcnt(2)
	v_add_f64 v[0:1], v[28:29], v[0:1]
	v_add_f64 v[18:19], v[0:1], v[2:3]
	ds_read2_b64 v[0:3], v23 offset0:6 offset1:7
	s_waitcnt lgkmcnt(2)
	v_add_f64 v[4:5], v[18:19], v[4:5]
	v_add_f64 v[4:5], v[4:5], v[6:7]
	s_waitcnt lgkmcnt(1)
	v_add_f64 v[4:5], v[4:5], v[8:9]
	v_add_f64 v[4:5], v[4:5], v[10:11]
	;; [unrolled: 3-line block ×3, first 2 shown]
.LBB166_71:
	s_or_b64 exec, exec, s[6:7]
	s_load_dwordx2 s[0:1], s[0:1], 0x68
	s_mul_hi_u32 s4, s36, s24
	s_mul_i32 s37, s37, s24
	s_add_i32 s4, s4, s37
	s_mul_i32 s6, s36, s24
	s_mul_i32 s4, s4, s3
	s_mul_hi_u32 s5, s6, s3
	s_add_i32 s5, s5, s4
	s_mul_i32 s4, s6, s3
	s_lshl_b64 s[4:5], s[4:5], 3
	s_waitcnt lgkmcnt(0)
	s_add_u32 s4, s0, s4
	s_addc_u32 s5, s1, s5
	s_mul_hi_i32 s1, s36, s2
	s_mul_i32 s0, s36, s2
	s_lshl_b64 s[0:1], s[0:1], 3
	s_add_u32 s6, s4, s0
	s_addc_u32 s7, s5, s1
	s_add_i32 s8, s2, 1
	s_cmp_ge_u32 s8, s3
	v_lshlrev_b32_e32 v27, 3, v26
	s_barrier
	s_cbranch_scc1 .LBB166_128
; %bb.72:
	s_mul_i32 s0, s26, s33
	s_ashr_i32 s1, s0, 31
	s_lshl_b64 s[0:1], s[0:1], 3
	v_and_b32_e32 v4, 48, v26
	v_lshlrev_b32_e32 v144, 2, v25
	v_mov_b32_e32 v0, s1
	v_subrev_co_u32_e32 v30, vcc, s0, v14
	v_and_b32_e32 v2, 15, v26
	v_lshlrev_b32_e32 v5, 3, v4
	s_movk_i32 s9, 0x218
	v_subb_co_u32_e32 v31, vcc, v15, v0, vcc
	v_lshrrev_b32_e32 v3, 4, v22
	v_mad_u64_u32 v[0:1], s[0:1], v144, s22, v[26:27]
	v_mad_u32_u24 v147, v2, s9, v5
	v_or_b32_e32 v5, 0x78, v27
	v_ashrrev_i32_e32 v1, 31, v0
	v_mad_u32_u24 v148, v2, s9, v5
	v_lshlrev_b32_e32 v5, 5, v3
	v_mul_i32_i24_e32 v6, 0xffffffe8, v3
	v_add_u32_e32 v3, s26, v4
	s_lshl_b32 s24, s33, 6
	s_lshl_b32 s4, s22, 4
	v_mad_u32_u24 v149, v2, s9, v5
	s_ashr_i32 s23, s22, 31
	s_lshl_b32 s30, s22, 1
	s_mul_i32 s34, s22, 3
	v_mov_b32_e32 v5, 0x2180
	s_mul_i32 s33, s33, s8
	v_add3_u32 v34, v3, v2, 64
	v_lshlrev_b64 v[2:3], 3, v[0:1]
	s_lshl_b64 s[12:13], s[28:29], 3
	s_add_i32 s19, s3, -2
	s_ashr_i32 s5, s4, 31
	s_ashr_i32 s31, s30, 31
	;; [unrolled: 1-line block ×3, first 2 shown]
	v_lshl_add_u32 v153, v25, 5, v5
	s_lshl_b64 s[16:17], s[22:23], 3
	s_lshl_b32 s8, s33, 6
	v_lshlrev_b64 v[4:5], 3, v[12:13]
	s_lshl_b64 s[26:27], s[22:23], 4
	v_mad_i64_i32 v[40:41], s[38:39], v12, -8, v[2:3]
	v_lshl_add_u64 v[2:3], s[28:29], 0, v[0:1]
	v_sub_co_u32_e32 v36, vcc, 0, v4
	s_add_u32 s36, s26, s12
	v_lshlrev_b64 v[2:3], 3, v[2:3]
	v_subb_co_u32_e32 v37, vcc, 0, v5, vcc
	s_addc_u32 s37, s27, s13
	s_lshl_b64 s[10:11], s[4:5], 5
	v_mad_i64_i32 v[4:5], s[38:39], s22, 24, v[2:3]
	s_add_u32 s38, s16, s12
	s_addc_u32 s39, s17, s13
	s_lshl_b64 s[30:31], s[30:31], 3
	s_add_u32 s40, s12, s30
	s_addc_u32 s41, s13, s31
	s_lshl_b64 s[34:35], s[34:35], 3
	v_lshl_add_u64 v[46:47], v[16:17], 0, s[40:41]
	s_add_u32 s40, s12, s34
	s_addc_u32 s41, s13, s35
	v_lshl_add_u64 v[48:49], v[16:17], 0, s[40:41]
	s_lshl_b64 s[40:41], s[4:5], 3
	s_add_u32 s42, s36, s40
	s_addc_u32 s43, s37, s41
	s_add_u32 s28, s28, s4
	s_addc_u32 s29, s29, s5
	v_lshl_add_u64 v[0:1], s[28:29], 0, v[0:1]
	v_lshlrev_b64 v[0:1], 3, v[0:1]
	v_mad_i64_i32 v[0:1], s[28:29], s22, 24, v[0:1]
	s_add_u32 s28, s38, s40
	s_addc_u32 s29, s39, s41
	v_lshl_add_u64 v[54:55], v[16:17], 0, s[28:29]
	s_add_u32 s28, s12, s40
	s_addc_u32 s29, s13, s41
	v_lshl_add_u64 v[44:45], v[16:17], 0, s[38:39]
	;; [unrolled: 3-line block ×4, first 2 shown]
	s_lshl_b64 s[28:29], s[4:5], 4
	v_lshl_add_u64 v[38:39], v[16:17], 0, s[36:37]
	s_add_u32 s36, s36, s28
	s_movk_i32 s9, 0x860
	s_mul_i32 s33, s22, 24
	s_addc_u32 s37, s37, s29
	v_mad_u32_u24 v154, v25, s9, v27
	s_mul_hi_i32 s9, s22, 24
	v_lshl_add_u64 v[62:63], v[16:17], 0, s[36:37]
	s_add_u32 s36, s33, s28
	s_addc_u32 s37, s9, s29
	v_lshl_add_u64 v[32:33], v[16:17], 0, s[12:13]
	s_add_u32 s12, s28, s12
	s_addc_u32 s13, s29, s13
	s_add_u32 s28, s12, s16
	s_addc_u32 s29, s13, s17
	v_lshl_add_u64 v[66:67], v[16:17], 0, s[28:29]
	s_add_u32 s28, s12, s30
	s_addc_u32 s29, s13, s31
	v_lshl_add_u64 v[68:69], v[16:17], 0, s[12:13]
	s_add_u32 s12, s12, s34
	s_addc_u32 s13, s13, s35
	s_mul_i32 s9, s22, 0x180
	v_lshl_add_u64 v[70:71], v[16:17], 0, s[28:29]
	s_mul_hi_i32 s28, s4, 24
	s_add_u32 s26, s9, s26
	v_lshl_add_u64 v[52:53], v[16:17], 0, v[0:1]
	v_lshl_add_u64 v[0:1], s[36:37], 0, v[2:3]
	s_addc_u32 s27, s28, s27
	v_lshl_add_u64 v[64:65], v[16:17], 0, v[0:1]
	v_lshl_add_u64 v[0:1], s[26:27], 0, v[2:3]
	s_add_u32 s9, s22, s4
	v_lshl_add_u64 v[72:73], v[16:17], 0, v[0:1]
	s_addc_u32 s5, s23, s5
	v_mad_u64_u32 v[0:1], s[22:23], s9, 24, v[2:3]
	v_lshl_add_u64 v[42:43], v[16:17], 0, v[4:5]
	v_mov_b32_e32 v4, v1
	v_mad_u64_u32 v[4:5], s[22:23], s5, 24, v[4:5]
	v_mov_b32_e32 v1, v4
	v_lshl_add_u64 v[74:75], v[16:17], 0, v[0:1]
	v_mad_i64_i32 v[0:1], s[4:5], s4, 24, v[2:3]
	v_lshl_add_u64 v[2:3], v[0:1], 0, s[16:17]
	v_lshl_add_u64 v[76:77], v[16:17], 0, v[2:3]
	;; [unrolled: 1-line block ×5, first 2 shown]
	v_add_u32_e32 v145, 0x2180, v27
	v_add_u32_e32 v146, 0x2380, v27
	v_cmp_gt_u32_e64 s[0:1], 64, v22
	v_or_b32_e32 v150, 1, v144
	v_or_b32_e32 v151, 2, v144
	;; [unrolled: 1-line block ×3, first 2 shown]
	v_add_u32_e32 v155, 16, v144
	v_add_u32_e32 v156, 17, v144
	;; [unrolled: 1-line block ×4, first 2 shown]
	v_lshl_add_u64 v[50:51], v[16:17], 0, s[42:43]
	v_lshl_add_u64 v[58:59], v[16:17], 0, s[38:39]
	;; [unrolled: 1-line block ×5, first 2 shown]
	v_add_u32_e32 v159, v149, v6
	v_add_u32_e32 v160, 32, v144
	;; [unrolled: 1-line block ×9, first 2 shown]
	s_cmp_eq_u32 s19, s2
	s_cselect_b32 s22, s25, 0
	s_and_saveexec_b64 s[4:5], s[14:15]
	s_cbranch_execz .LBB166_76
.LBB166_73:
	s_cmp_eq_u32 s22, 0
	s_cselect_b64 s[12:13], -1, 0
	v_cmp_gt_i32_e32 vcc, s22, v26
	s_or_b64 s[16:17], s[12:13], vcc
	v_mov_b64_e32 v[0:1], 0
	s_and_saveexec_b64 s[12:13], s[16:17]
	s_cbranch_execz .LBB166_75
; %bb.74:
	s_ashr_i32 s9, s8, 31
	v_lshl_add_u64 v[0:1], s[8:9], 3, v[30:31]
	flat_load_dwordx2 v[0:1], v[0:1]
.LBB166_75:
	s_or_b64 exec, exec, s[12:13]
	s_waitcnt vmcnt(0) lgkmcnt(0)
	ds_write_b64 v145, v[0:1]
.LBB166_76:                             ; =>This Inner Loop Header: Depth=1
	s_or_b64 exec, exec, s[4:5]
	s_cmp_eq_u32 s22, 0
	s_cselect_b64 s[12:13], -1, 0
	s_cmp_lg_u32 s22, 0
	s_cselect_b64 s[16:17], -1, 0
	v_lshl_add_u64 v[0:1], v[32:33], 0, v[40:41]
	s_and_b64 vcc, exec, s[16:17]
	s_waitcnt lgkmcnt(0)
	s_barrier
	s_cbranch_vccz .LBB166_124
; %bb.77:                               ;   in Loop: Header=BB166_76 Depth=1
	v_mov_b64_e32 v[86:87], 0
	v_cmp_gt_i32_e32 vcc, s22, v144
	v_mov_b64_e32 v[88:89], v[86:87]
	s_and_saveexec_b64 s[4:5], vcc
	s_cbranch_execz .LBB166_79
; %bb.78:                               ;   in Loop: Header=BB166_76 Depth=1
	flat_load_dwordx2 v[88:89], v[0:1]
.LBB166_79:                             ;   in Loop: Header=BB166_76 Depth=1
	s_or_b64 exec, exec, s[4:5]
	v_cmp_gt_i32_e32 vcc, s22, v150
	s_and_saveexec_b64 s[4:5], vcc
	s_cbranch_execz .LBB166_81
; %bb.80:                               ;   in Loop: Header=BB166_76 Depth=1
	v_lshl_add_u64 v[2:3], v[44:45], 0, v[40:41]
	flat_load_dwordx2 v[86:87], v[2:3]
.LBB166_81:                             ;   in Loop: Header=BB166_76 Depth=1
	s_or_b64 exec, exec, s[4:5]
	v_mov_b64_e32 v[90:91], 0
	v_cmp_gt_i32_e32 vcc, s22, v151
	v_mov_b64_e32 v[92:93], v[90:91]
	s_and_saveexec_b64 s[4:5], vcc
	s_cbranch_execz .LBB166_83
; %bb.82:                               ;   in Loop: Header=BB166_76 Depth=1
	v_lshl_add_u64 v[2:3], v[46:47], 0, v[40:41]
	flat_load_dwordx2 v[92:93], v[2:3]
.LBB166_83:                             ;   in Loop: Header=BB166_76 Depth=1
	s_or_b64 exec, exec, s[4:5]
	v_cmp_gt_i32_e32 vcc, s22, v152
	s_and_saveexec_b64 s[4:5], vcc
	s_cbranch_execz .LBB166_85
; %bb.84:                               ;   in Loop: Header=BB166_76 Depth=1
	v_lshl_add_u64 v[2:3], v[48:49], 0, v[40:41]
	flat_load_dwordx2 v[90:91], v[2:3]
.LBB166_85:                             ;   in Loop: Header=BB166_76 Depth=1
	s_or_b64 exec, exec, s[4:5]
	s_branch .LBB166_87
.LBB166_86:                             ;   in Loop: Header=BB166_76 Depth=1
	s_waitcnt vmcnt(0) lgkmcnt(0)
	flat_load_dwordx2 v[88:89], v[0:1]
	v_lshl_add_u64 v[0:1], v[44:45], 0, v[40:41]
	flat_load_dwordx2 v[86:87], v[0:1]
	v_lshl_add_u64 v[0:1], v[38:39], 0, v[40:41]
	flat_load_dwordx2 v[92:93], v[0:1]
	v_lshl_add_u64 v[0:1], v[42:43], 0, v[36:37]
	flat_load_dwordx2 v[90:91], v[0:1]
.LBB166_87:                             ;   in Loop: Header=BB166_76 Depth=1
	ds_read_b64 v[0:1], v146
	ds_read_b64 v[94:95], v153
	v_cndmask_b32_e64 v8, 0, 1, s[16:17]
	v_cmp_ne_u32_e64 s[4:5], 1, v8
	s_andn2_b64 vcc, exec, s[16:17]
	s_waitcnt vmcnt(0) lgkmcnt(0)
	v_mul_f64 v[2:3], v[88:89], v[0:1]
	v_mul_f64 v[4:5], v[86:87], v[0:1]
	ds_write_b64 v154, v[2:3]
	v_mul_f64 v[6:7], v[92:93], v[0:1]
	ds_read_b64 v[96:97], v153 offset:8
	ds_write_b64 v154, v[4:5] offset:536
	ds_read_b64 v[98:99], v153 offset:16
	ds_write_b64 v154, v[6:7] offset:1072
	v_mul_f64 v[0:1], v[90:91], v[0:1]
	ds_read_b64 v[100:101], v153 offset:24
	ds_write_b64 v154, v[0:1] offset:1608
	s_waitcnt lgkmcnt(0)
	s_barrier
	ds_read2_b64 v[4:7], v149 offset1:1
	ds_read2_b64 v[0:3], v149 offset0:2 offset1:3
	v_lshl_add_u64 v[8:9], v[56:57], 0, v[40:41]
	s_waitcnt lgkmcnt(0)
	s_barrier
	s_cbranch_vccnz .LBB166_125
; %bb.88:                               ;   in Loop: Header=BB166_76 Depth=1
	v_mov_b64_e32 v[102:103], 0
	v_cmp_gt_i32_e32 vcc, s22, v155
	v_mov_b64_e32 v[104:105], v[102:103]
	s_and_saveexec_b64 s[16:17], vcc
	s_cbranch_execz .LBB166_90
; %bb.89:                               ;   in Loop: Header=BB166_76 Depth=1
	flat_load_dwordx2 v[104:105], v[8:9]
.LBB166_90:                             ;   in Loop: Header=BB166_76 Depth=1
	s_or_b64 exec, exec, s[16:17]
	v_cmp_gt_i32_e32 vcc, s22, v156
	s_and_saveexec_b64 s[16:17], vcc
	s_cbranch_execz .LBB166_92
; %bb.91:                               ;   in Loop: Header=BB166_76 Depth=1
	v_lshl_add_u64 v[10:11], v[54:55], 0, v[40:41]
	flat_load_dwordx2 v[102:103], v[10:11]
.LBB166_92:                             ;   in Loop: Header=BB166_76 Depth=1
	s_or_b64 exec, exec, s[16:17]
	v_mov_b64_e32 v[106:107], 0
	v_cmp_gt_i32_e32 vcc, s22, v157
	v_mov_b64_e32 v[108:109], v[106:107]
	s_and_saveexec_b64 s[16:17], vcc
	s_cbranch_execz .LBB166_94
; %bb.93:                               ;   in Loop: Header=BB166_76 Depth=1
	v_lshl_add_u64 v[10:11], v[58:59], 0, v[40:41]
	flat_load_dwordx2 v[108:109], v[10:11]
.LBB166_94:                             ;   in Loop: Header=BB166_76 Depth=1
	s_or_b64 exec, exec, s[16:17]
	v_cmp_gt_i32_e32 vcc, s22, v158
	s_and_saveexec_b64 s[16:17], vcc
	s_cbranch_execz .LBB166_96
; %bb.95:                               ;   in Loop: Header=BB166_76 Depth=1
	v_lshl_add_u64 v[10:11], v[60:61], 0, v[40:41]
	flat_load_dwordx2 v[106:107], v[10:11]
.LBB166_96:                             ;   in Loop: Header=BB166_76 Depth=1
	s_or_b64 exec, exec, s[16:17]
	s_branch .LBB166_98
.LBB166_97:                             ;   in Loop: Header=BB166_76 Depth=1
	s_waitcnt vmcnt(0) lgkmcnt(0)
	flat_load_dwordx2 v[104:105], v[8:9]
	v_lshl_add_u64 v[8:9], v[54:55], 0, v[40:41]
	flat_load_dwordx2 v[102:103], v[8:9]
	v_lshl_add_u64 v[8:9], v[50:51], 0, v[40:41]
	;; [unrolled: 2-line block ×3, first 2 shown]
	flat_load_dwordx2 v[106:107], v[8:9]
.LBB166_98:                             ;   in Loop: Header=BB166_76 Depth=1
	ds_read_b64 v[8:9], v146
	ds_read_b64 v[110:111], v153 offset:128
	s_and_b64 vcc, exec, s[4:5]
	v_lshl_add_u64 v[16:17], v[68:69], 0, v[40:41]
	s_waitcnt vmcnt(0) lgkmcnt(0)
	v_mul_f64 v[10:11], v[104:105], v[8:9]
	v_mul_f64 v[12:13], v[102:103], v[8:9]
	ds_write_b64 v154, v[10:11]
	v_mul_f64 v[14:15], v[108:109], v[8:9]
	ds_read_b64 v[112:113], v153 offset:136
	ds_write_b64 v154, v[12:13] offset:536
	ds_read_b64 v[114:115], v153 offset:144
	ds_write_b64 v154, v[14:15] offset:1072
	v_mul_f64 v[8:9], v[106:107], v[8:9]
	ds_read_b64 v[116:117], v153 offset:152
	ds_write_b64 v154, v[8:9] offset:1608
	s_waitcnt lgkmcnt(0)
	s_barrier
	ds_read2_b64 v[12:15], v149 offset1:1
	ds_read2_b64 v[8:11], v149 offset0:2 offset1:3
	s_waitcnt lgkmcnt(0)
	s_barrier
	s_cbranch_vccnz .LBB166_126
; %bb.99:                               ;   in Loop: Header=BB166_76 Depth=1
	v_mov_b64_e32 v[118:119], 0
	v_cmp_gt_i32_e32 vcc, s22, v160
	v_mov_b64_e32 v[120:121], v[118:119]
	s_and_saveexec_b64 s[16:17], vcc
	s_cbranch_execz .LBB166_101
; %bb.100:                              ;   in Loop: Header=BB166_76 Depth=1
	flat_load_dwordx2 v[120:121], v[16:17]
.LBB166_101:                            ;   in Loop: Header=BB166_76 Depth=1
	s_or_b64 exec, exec, s[16:17]
	v_cmp_gt_i32_e32 vcc, s22, v161
	s_and_saveexec_b64 s[16:17], vcc
	s_cbranch_execz .LBB166_103
; %bb.102:                              ;   in Loop: Header=BB166_76 Depth=1
	v_lshl_add_u64 v[18:19], v[66:67], 0, v[40:41]
	flat_load_dwordx2 v[118:119], v[18:19]
.LBB166_103:                            ;   in Loop: Header=BB166_76 Depth=1
	s_or_b64 exec, exec, s[16:17]
	v_mov_b64_e32 v[122:123], 0
	v_cmp_gt_i32_e32 vcc, s22, v162
	v_mov_b64_e32 v[124:125], v[122:123]
	s_and_saveexec_b64 s[16:17], vcc
	s_cbranch_execz .LBB166_105
; %bb.104:                              ;   in Loop: Header=BB166_76 Depth=1
	v_lshl_add_u64 v[18:19], v[70:71], 0, v[40:41]
	flat_load_dwordx2 v[124:125], v[18:19]
.LBB166_105:                            ;   in Loop: Header=BB166_76 Depth=1
	s_or_b64 exec, exec, s[16:17]
	v_cmp_gt_i32_e32 vcc, s22, v163
	s_and_saveexec_b64 s[16:17], vcc
	s_cbranch_execz .LBB166_107
; %bb.106:                              ;   in Loop: Header=BB166_76 Depth=1
	v_lshl_add_u64 v[18:19], v[84:85], 0, v[40:41]
	flat_load_dwordx2 v[122:123], v[18:19]
.LBB166_107:                            ;   in Loop: Header=BB166_76 Depth=1
	s_or_b64 exec, exec, s[16:17]
	s_branch .LBB166_109
.LBB166_108:                            ;   in Loop: Header=BB166_76 Depth=1
	s_waitcnt vmcnt(0) lgkmcnt(0)
	flat_load_dwordx2 v[120:121], v[16:17]
	v_lshl_add_u64 v[16:17], v[66:67], 0, v[40:41]
	flat_load_dwordx2 v[118:119], v[16:17]
	v_lshl_add_u64 v[16:17], v[62:63], 0, v[40:41]
	;; [unrolled: 2-line block ×3, first 2 shown]
	flat_load_dwordx2 v[122:123], v[16:17]
.LBB166_109:                            ;   in Loop: Header=BB166_76 Depth=1
	ds_read_b64 v[16:17], v146
	ds_read_b64 v[126:127], v153 offset:256
	s_and_b64 vcc, exec, s[4:5]
	v_lshl_add_u64 v[142:143], v[78:79], 0, v[36:37]
	s_waitcnt vmcnt(0) lgkmcnt(0)
	v_mul_f64 v[18:19], v[120:121], v[16:17]
	v_mul_f64 v[20:21], v[118:119], v[16:17]
	ds_write_b64 v154, v[18:19]
	v_mul_f64 v[22:23], v[124:125], v[16:17]
	ds_read_b64 v[128:129], v153 offset:264
	ds_write_b64 v154, v[20:21] offset:536
	ds_read_b64 v[130:131], v153 offset:272
	ds_write_b64 v154, v[22:23] offset:1072
	v_mul_f64 v[16:17], v[122:123], v[16:17]
	ds_read_b64 v[132:133], v153 offset:280
	ds_write_b64 v154, v[16:17] offset:1608
	s_waitcnt lgkmcnt(0)
	s_barrier
	ds_read2_b64 v[20:23], v149 offset1:1
	ds_read2_b64 v[16:19], v149 offset0:2 offset1:3
	s_waitcnt lgkmcnt(0)
	s_barrier
	s_cbranch_vccnz .LBB166_127
; %bb.110:                              ;   in Loop: Header=BB166_76 Depth=1
	v_mov_b64_e32 v[134:135], 0
	v_cmp_gt_i32_e32 vcc, s22, v164
	v_mov_b64_e32 v[136:137], v[134:135]
	s_and_saveexec_b64 s[4:5], vcc
	s_cbranch_execz .LBB166_112
; %bb.111:                              ;   in Loop: Header=BB166_76 Depth=1
	flat_load_dwordx2 v[136:137], v[142:143]
.LBB166_112:                            ;   in Loop: Header=BB166_76 Depth=1
	s_or_b64 exec, exec, s[4:5]
	v_cmp_gt_i32_e32 vcc, s22, v165
	s_and_saveexec_b64 s[4:5], vcc
	s_cbranch_execz .LBB166_114
; %bb.113:                              ;   in Loop: Header=BB166_76 Depth=1
	v_lshl_add_u64 v[134:135], v[76:77], 0, v[36:37]
	flat_load_dwordx2 v[134:135], v[134:135]
.LBB166_114:                            ;   in Loop: Header=BB166_76 Depth=1
	s_or_b64 exec, exec, s[4:5]
	v_mov_b64_e32 v[138:139], 0
	v_cmp_gt_i32_e32 vcc, s22, v166
	v_mov_b64_e32 v[140:141], v[138:139]
	s_and_saveexec_b64 s[4:5], vcc
	s_cbranch_execz .LBB166_116
; %bb.115:                              ;   in Loop: Header=BB166_76 Depth=1
	v_lshl_add_u64 v[140:141], v[80:81], 0, v[36:37]
	flat_load_dwordx2 v[140:141], v[140:141]
.LBB166_116:                            ;   in Loop: Header=BB166_76 Depth=1
	s_or_b64 exec, exec, s[4:5]
	v_cmp_gt_i32_e32 vcc, s22, v167
	s_and_saveexec_b64 s[4:5], vcc
	s_cbranch_execz .LBB166_118
; %bb.117:                              ;   in Loop: Header=BB166_76 Depth=1
	v_lshl_add_u64 v[138:139], v[82:83], 0, v[36:37]
	flat_load_dwordx2 v[138:139], v[138:139]
.LBB166_118:                            ;   in Loop: Header=BB166_76 Depth=1
	s_or_b64 exec, exec, s[4:5]
	s_branch .LBB166_120
.LBB166_119:                            ;   in Loop: Header=BB166_76 Depth=1
	s_waitcnt vmcnt(0) lgkmcnt(0)
	v_lshl_add_u64 v[138:139], v[72:73], 0, v[36:37]
	v_lshl_add_u64 v[134:135], v[76:77], 0, v[36:37]
	flat_load_dwordx2 v[140:141], v[138:139]
	v_lshl_add_u64 v[138:139], v[74:75], 0, v[36:37]
	flat_load_dwordx2 v[136:137], v[142:143]
	s_nop 0
	flat_load_dwordx2 v[134:135], v[134:135]
	s_nop 0
	flat_load_dwordx2 v[138:139], v[138:139]
.LBB166_120:                            ;   in Loop: Header=BB166_76 Depth=1
	v_add_f64 v[12:13], v[12:13], 0
	v_add_f64 v[12:13], v[12:13], v[14:15]
	ds_read_b64 v[14:15], v146
	v_add_f64 v[20:21], v[20:21], 0
	v_add_f64 v[20:21], v[20:21], v[22:23]
	;; [unrolled: 1-line block ×7, first 2 shown]
	ds_read_b64 v[4:5], v153 offset:384
	s_waitcnt vmcnt(0) lgkmcnt(0)
	v_mul_f64 v[8:9], v[136:137], v[14:15]
	ds_write_b64 v154, v[8:9]
	v_mul_f64 v[10:11], v[134:135], v[14:15]
	ds_read_b64 v[8:9], v153 offset:392
	ds_write_b64 v154, v[10:11] offset:536
	v_mul_f64 v[12:13], v[140:141], v[14:15]
	ds_read_b64 v[10:11], v153 offset:400
	ds_write_b64 v154, v[12:13] offset:1072
	;; [unrolled: 3-line block ×3, first 2 shown]
	s_waitcnt lgkmcnt(0)
	s_barrier
	ds_read2_b64 v[14:17], v149 offset1:1
	v_add_f64 v[6:7], v[18:19], v[6:7]
	ds_read2_b64 v[18:21], v149 offset0:2 offset1:3
	v_add_f64 v[0:1], v[6:7], v[0:1]
	v_add_f64 v[0:1], v[0:1], v[2:3]
	s_waitcnt lgkmcnt(1)
	v_add_f64 v[2:3], v[14:15], 0
	v_cmp_gt_i32_e32 vcc, s22, v26
	v_add_f64 v[2:3], v[2:3], v[16:17]
	s_or_b64 s[4:5], s[12:13], vcc
	s_waitcnt lgkmcnt(0)
	v_add_f64 v[2:3], v[2:3], v[18:19]
	s_and_b64 s[12:13], s[0:1], s[4:5]
	v_add_f64 v[2:3], v[2:3], v[20:21]
	s_barrier
	ds_write2_b64 v159, v[0:1], v[142:143] offset1:16
	ds_write2_b64 v159, v[22:23], v[2:3] offset0:32 offset1:48
	s_waitcnt lgkmcnt(0)
	s_barrier
	s_and_saveexec_b64 s[4:5], s[12:13]
	s_cbranch_execz .LBB166_122
; %bb.121:                              ;   in Loop: Header=BB166_76 Depth=1
	ds_read2_b64 v[0:3], v147 offset1:1
	ds_read2_b64 v[14:17], v147 offset0:2 offset1:3
	ds_read2_b64 v[18:21], v147 offset0:4 offset1:5
	;; [unrolled: 1-line block ×3, first 2 shown]
	v_ashrrev_i32_e32 v35, 31, v34
	s_waitcnt lgkmcnt(3)
	v_add_f64 v[0:1], v[0:1], v[2:3]
	s_waitcnt lgkmcnt(2)
	v_add_f64 v[0:1], v[0:1], v[14:15]
	v_add_f64 v[0:1], v[0:1], v[16:17]
	s_waitcnt lgkmcnt(1)
	v_add_f64 v[6:7], v[0:1], v[18:19]
	ds_read2_b64 v[0:3], v147 offset0:8 offset1:9
	ds_read2_b64 v[14:17], v147 offset0:10 offset1:11
	v_add_f64 v[6:7], v[6:7], v[20:21]
	s_waitcnt lgkmcnt(2)
	v_add_f64 v[6:7], v[6:7], v[168:169]
	v_add_f64 v[6:7], v[6:7], v[170:171]
	s_waitcnt lgkmcnt(1)
	v_add_f64 v[0:1], v[6:7], v[0:1]
	v_add_f64 v[6:7], v[0:1], v[2:3]
	ds_read2_b64 v[0:3], v147 offset0:12 offset1:13
	s_waitcnt lgkmcnt(1)
	v_add_f64 v[6:7], v[6:7], v[14:15]
	ds_read_b64 v[14:15], v147 offset:112
	ds_read_b64 v[18:19], v148
	v_add_f64 v[6:7], v[6:7], v[16:17]
	s_waitcnt lgkmcnt(2)
	v_add_f64 v[0:1], v[6:7], v[0:1]
	v_add_f64 v[0:1], v[0:1], v[2:3]
	s_waitcnt lgkmcnt(1)
	v_add_f64 v[0:1], v[0:1], v[14:15]
	s_waitcnt lgkmcnt(0)
	v_add_f64 v[0:1], v[0:1], v[18:19]
	v_lshl_add_u64 v[2:3], v[34:35], 3, s[6:7]
	global_store_dwordx2 v[2:3], v[0:1], off
.LBB166_122:                            ;   in Loop: Header=BB166_76 Depth=1
	s_or_b64 exec, exec, s[4:5]
	v_fmac_f64_e32 v[28:29], v[88:89], v[94:95]
	v_fmac_f64_e32 v[28:29], v[86:87], v[96:97]
	;; [unrolled: 1-line block ×15, first 2 shown]
	s_add_i32 s4, s2, 1
	s_add_i32 s8, s8, s24
	;; [unrolled: 1-line block ×3, first 2 shown]
	v_fmac_f64_e32 v[28:29], v[138:139], v[12:13]
	v_add_u32_e32 v34, 64, v34
	v_lshl_add_u64 v[38:39], v[38:39], 0, s[10:11]
	v_lshl_add_u64 v[42:43], v[42:43], 0, s[10:11]
	;; [unrolled: 1-line block ×23, first 2 shown]
	s_cmp_ge_u32 s2, s3
	v_lshl_add_u64 v[82:83], v[82:83], 0, s[10:11]
	s_barrier
	s_cbranch_scc1 .LBB166_128
; %bb.123:                              ;   in Loop: Header=BB166_76 Depth=1
	s_mov_b32 s2, s4
	s_cmp_eq_u32 s19, s2
	s_cselect_b32 s22, s25, 0
	s_and_saveexec_b64 s[4:5], s[14:15]
	s_cbranch_execnz .LBB166_73
	s_branch .LBB166_76
.LBB166_124:                            ;   in Loop: Header=BB166_76 Depth=1
                                        ; implicit-def: $vgpr90_vgpr91
                                        ; implicit-def: $vgpr92_vgpr93
                                        ; implicit-def: $vgpr86_vgpr87
                                        ; implicit-def: $vgpr88_vgpr89
	s_cbranch_execnz .LBB166_86
	s_branch .LBB166_87
.LBB166_125:                            ;   in Loop: Header=BB166_76 Depth=1
                                        ; implicit-def: $vgpr106_vgpr107
                                        ; implicit-def: $vgpr108_vgpr109
                                        ; implicit-def: $vgpr102_vgpr103
                                        ; implicit-def: $vgpr104_vgpr105
	s_cbranch_execnz .LBB166_97
	s_branch .LBB166_98
.LBB166_126:                            ;   in Loop: Header=BB166_76 Depth=1
                                        ; implicit-def: $vgpr122_vgpr123
                                        ; implicit-def: $vgpr124_vgpr125
                                        ; implicit-def: $vgpr118_vgpr119
                                        ; implicit-def: $vgpr120_vgpr121
	s_cbranch_execnz .LBB166_108
	s_branch .LBB166_109
.LBB166_127:                            ;   in Loop: Header=BB166_76 Depth=1
                                        ; implicit-def: $vgpr138_vgpr139
                                        ; implicit-def: $vgpr140_vgpr141
                                        ; implicit-def: $vgpr134_vgpr135
                                        ; implicit-def: $vgpr136_vgpr137
	s_cbranch_execnz .LBB166_119
	s_branch .LBB166_120
.LBB166_128:
	s_movk_i32 s0, 0x218
	v_cmp_gt_i32_e32 vcc, s18, v26
	v_mad_u32_u24 v0, v25, s0, v27
	s_or_b64 s[0:1], s[20:21], vcc
	s_and_b64 s[0:1], s[14:15], s[0:1]
	ds_write_b64 v0, v[28:29]
	s_waitcnt lgkmcnt(0)
	s_barrier
	s_and_saveexec_b64 s[2:3], s[0:1]
	s_cbranch_execz .LBB166_130
; %bb.129:
	ds_read2_b64 v[0:3], v27 offset1:67
	ds_read2_b64 v[4:7], v27 offset0:134 offset1:201
	v_ashrrev_i32_e32 v25, 31, v24
	s_waitcnt lgkmcnt(1)
	v_add_f64 v[0:1], v[0:1], v[2:3]
	s_waitcnt lgkmcnt(0)
	v_add_f64 v[0:1], v[0:1], v[4:5]
	v_add_f64 v[0:1], v[0:1], v[6:7]
	v_lshl_add_u64 v[2:3], v[24:25], 3, s[6:7]
	global_store_dwordx2 v[2:3], v[0:1], off
.LBB166_130:
	s_endpgm
	.section	.rodata,"a",@progbits
	.p2align	6, 0x0
	.amdhsa_kernel _ZL26rocblas_hemvn_kernel_upperILb0ELi64ELi4ELi33ELi32ELi16EidPKPKdPdEviT6_lT7_lT5_lS6_lS7_lS5_lT8_i
		.amdhsa_group_segment_fixed_size 9600
		.amdhsa_private_segment_fixed_size 0
		.amdhsa_kernarg_size 376
		.amdhsa_user_sgpr_count 2
		.amdhsa_user_sgpr_dispatch_ptr 0
		.amdhsa_user_sgpr_queue_ptr 0
		.amdhsa_user_sgpr_kernarg_segment_ptr 1
		.amdhsa_user_sgpr_dispatch_id 0
		.amdhsa_user_sgpr_kernarg_preload_length 0
		.amdhsa_user_sgpr_kernarg_preload_offset 0
		.amdhsa_user_sgpr_private_segment_size 0
		.amdhsa_uses_dynamic_stack 0
		.amdhsa_enable_private_segment 0
		.amdhsa_system_sgpr_workgroup_id_x 1
		.amdhsa_system_sgpr_workgroup_id_y 0
		.amdhsa_system_sgpr_workgroup_id_z 1
		.amdhsa_system_sgpr_workgroup_info 0
		.amdhsa_system_vgpr_workitem_id 1
		.amdhsa_next_free_vgpr 172
		.amdhsa_next_free_sgpr 44
		.amdhsa_accum_offset 172
		.amdhsa_reserve_vcc 1
		.amdhsa_float_round_mode_32 0
		.amdhsa_float_round_mode_16_64 0
		.amdhsa_float_denorm_mode_32 3
		.amdhsa_float_denorm_mode_16_64 3
		.amdhsa_dx10_clamp 1
		.amdhsa_ieee_mode 1
		.amdhsa_fp16_overflow 0
		.amdhsa_tg_split 0
		.amdhsa_exception_fp_ieee_invalid_op 0
		.amdhsa_exception_fp_denorm_src 0
		.amdhsa_exception_fp_ieee_div_zero 0
		.amdhsa_exception_fp_ieee_overflow 0
		.amdhsa_exception_fp_ieee_underflow 0
		.amdhsa_exception_fp_ieee_inexact 0
		.amdhsa_exception_int_div_zero 0
	.end_amdhsa_kernel
	.section	.text._ZL26rocblas_hemvn_kernel_upperILb0ELi64ELi4ELi33ELi32ELi16EidPKPKdPdEviT6_lT7_lT5_lS6_lS7_lS5_lT8_i,"axG",@progbits,_ZL26rocblas_hemvn_kernel_upperILb0ELi64ELi4ELi33ELi32ELi16EidPKPKdPdEviT6_lT7_lT5_lS6_lS7_lS5_lT8_i,comdat
.Lfunc_end166:
	.size	_ZL26rocblas_hemvn_kernel_upperILb0ELi64ELi4ELi33ELi32ELi16EidPKPKdPdEviT6_lT7_lT5_lS6_lS7_lS5_lT8_i, .Lfunc_end166-_ZL26rocblas_hemvn_kernel_upperILb0ELi64ELi4ELi33ELi32ELi16EidPKPKdPdEviT6_lT7_lT5_lS6_lS7_lS5_lT8_i
                                        ; -- End function
	.section	.AMDGPU.csdata,"",@progbits
; Kernel info:
; codeLenInByte = 6928
; NumSgprs: 50
; NumVgprs: 172
; NumAgprs: 0
; TotalNumVgprs: 172
; ScratchSize: 0
; MemoryBound: 0
; FloatMode: 240
; IeeeMode: 1
; LDSByteSize: 9600 bytes/workgroup (compile time only)
; SGPRBlocks: 6
; VGPRBlocks: 21
; NumSGPRsForWavesPerEU: 50
; NumVGPRsForWavesPerEU: 172
; AccumOffset: 172
; Occupancy: 2
; WaveLimiterHint : 1
; COMPUTE_PGM_RSRC2:SCRATCH_EN: 0
; COMPUTE_PGM_RSRC2:USER_SGPR: 2
; COMPUTE_PGM_RSRC2:TRAP_HANDLER: 0
; COMPUTE_PGM_RSRC2:TGID_X_EN: 1
; COMPUTE_PGM_RSRC2:TGID_Y_EN: 0
; COMPUTE_PGM_RSRC2:TGID_Z_EN: 1
; COMPUTE_PGM_RSRC2:TIDIG_COMP_CNT: 1
; COMPUTE_PGM_RSRC3_GFX90A:ACCUM_OFFSET: 42
; COMPUTE_PGM_RSRC3_GFX90A:TG_SPLIT: 0
	.section	.text._ZL36rocblas_hemvn_kernel_upper_block_sumILi64EidPKPddEviT1_lS3_lT2_lT0_lPT3_i,"axG",@progbits,_ZL36rocblas_hemvn_kernel_upper_block_sumILi64EidPKPddEviT1_lS3_lT2_lT0_lPT3_i,comdat
	.globl	_ZL36rocblas_hemvn_kernel_upper_block_sumILi64EidPKPddEviT1_lS3_lT2_lT0_lPT3_i ; -- Begin function _ZL36rocblas_hemvn_kernel_upper_block_sumILi64EidPKPddEviT1_lS3_lT2_lT0_lPT3_i
	.p2align	8
	.type	_ZL36rocblas_hemvn_kernel_upper_block_sumILi64EidPKPddEviT1_lS3_lT2_lT0_lPT3_i,@function
_ZL36rocblas_hemvn_kernel_upper_block_sumILi64EidPKPddEviT1_lS3_lT2_lT0_lPT3_i: ; @_ZL36rocblas_hemvn_kernel_upper_block_sumILi64EidPKPddEviT1_lS3_lT2_lT0_lPT3_i
; %bb.0:
	s_load_dwordx2 s[8:9], s[0:1], 0x8
	s_load_dwordx2 s[10:11], s[0:1], 0x18
	s_waitcnt lgkmcnt(0)
	v_cmp_eq_f64_e64 s[4:5], s[8:9], 0
	v_cmp_eq_f64_e64 s[6:7], s[10:11], 1.0
	s_and_b64 s[4:5], s[4:5], s[6:7]
	s_and_b64 vcc, exec, s[4:5]
	s_cbranch_vccnz .LBB167_19
; %bb.1:
	s_mov_b32 s14, s3
	s_load_dwordx4 s[4:7], s[0:1], 0x28
	s_load_dword s3, s[0:1], 0x38
	s_load_dword s16, s[0:1], 0x0
	s_mov_b32 s15, 0
	s_lshl_b64 s[12:13], s[14:15], 3
	s_waitcnt lgkmcnt(0)
	s_add_u32 s4, s4, s12
	s_addc_u32 s5, s5, s13
	s_load_dwordx2 s[4:5], s[4:5], 0x0
	s_lshl_b64 s[6:7], s[6:7], 3
	v_lshl_or_b32 v0, s2, 6, v0
	v_cmp_neq_f64_e64 s[18:19], s[8:9], 0
	s_mov_b64 s[12:13], 0
	s_waitcnt lgkmcnt(0)
	s_add_u32 s6, s4, s6
	s_addc_u32 s7, s5, s7
	s_and_b64 vcc, exec, s[18:19]
	v_cmp_gt_i32_e64 s[4:5], s16, v0
	s_cbranch_vccnz .LBB167_6
; %bb.2:
	s_mov_b64 s[18:19], 0
                                        ; implicit-def: $vgpr4_vgpr5
                                        ; implicit-def: $vgpr2_vgpr3
	s_and_saveexec_b64 s[20:21], s[4:5]
	s_cbranch_execz .LBB167_7
; %bb.3:
	v_cmp_eq_f64_e64 s[4:5], s[10:11], 0
	v_mul_lo_u32 v2, v0, s3
	v_mov_b64_e32 v[4:5], 0
	v_ashrrev_i32_e32 v3, 31, v2
	s_and_b64 vcc, exec, s[4:5]
	s_cbranch_vccnz .LBB167_5
; %bb.4:
	v_lshl_add_u64 v[4:5], v[2:3], 3, s[6:7]
	global_load_dwordx2 v[4:5], v[4:5], off
	s_waitcnt vmcnt(0)
	v_mul_f64 v[4:5], v[4:5], s[10:11]
.LBB167_5:
	s_mov_b64 s[12:13], exec
	s_or_b64 exec, exec, s[20:21]
	s_and_b64 vcc, exec, s[18:19]
	s_cbranch_vccnz .LBB167_8
	s_branch .LBB167_17
.LBB167_6:
                                        ; implicit-def: $vgpr4_vgpr5
                                        ; implicit-def: $vgpr2_vgpr3
	s_cbranch_execnz .LBB167_8
	s_branch .LBB167_17
.LBB167_7:
	s_or_b64 exec, exec, s[20:21]
	s_and_b64 vcc, exec, s[18:19]
	s_cbranch_vccz .LBB167_17
.LBB167_8:
	v_cmp_gt_i32_e32 vcc, s16, v0
                                        ; implicit-def: $vgpr4_vgpr5
                                        ; implicit-def: $vgpr2_vgpr3
	s_and_saveexec_b64 s[4:5], vcc
	s_cbranch_execz .LBB167_16
; %bb.9:
	s_cmp_lt_i32 s2, 0
	v_mov_b64_e32 v[6:7], 0
	s_cbranch_scc1 .LBB167_12
; %bb.10:
	s_load_dwordx2 s[18:19], s[0:1], 0x48
	s_load_dword s15, s[0:1], 0x58
	s_ashr_i32 s17, s16, 31
	s_mul_hi_u32 s0, s16, s14
	s_mul_i32 s1, s17, s14
	s_add_i32 s0, s0, s1
	s_mul_i32 s14, s16, s14
	s_waitcnt lgkmcnt(0)
	s_mul_i32 s0, s0, s15
	s_mul_hi_u32 s1, s14, s15
	s_add_i32 s1, s1, s0
	s_mul_i32 s0, s14, s15
	s_lshl_b64 s[0:1], s[0:1], 3
	s_add_u32 s0, s18, s0
	s_addc_u32 s1, s19, s1
	v_mov_b32_e32 v1, 0
	v_lshl_add_u64 v[2:3], v[0:1], 3, s[0:1]
	s_add_i32 s2, s2, 1
	s_lshl_b64 s[0:1], s[16:17], 3
	v_mov_b64_e32 v[6:7], 0
.LBB167_11:                             ; =>This Inner Loop Header: Depth=1
	global_load_dwordx2 v[4:5], v[2:3], off
	s_add_i32 s2, s2, -1
	v_lshl_add_u64 v[2:3], v[2:3], 0, s[0:1]
	s_cmp_eq_u32 s2, 0
	s_waitcnt vmcnt(0)
	v_add_f64 v[6:7], v[6:7], v[4:5]
	s_cbranch_scc0 .LBB167_11
.LBB167_12:
	v_cmp_eq_f64_e64 s[14:15], s[10:11], 0
	v_mul_lo_u32 v2, v0, s3
	s_mov_b64 s[0:1], 0
	s_and_b64 vcc, exec, s[14:15]
	v_ashrrev_i32_e32 v3, 31, v2
	s_cbranch_vccz .LBB167_20
; %bb.13:
	v_mul_f64 v[4:5], v[6:7], s[8:9]
	s_andn2_b64 vcc, exec, s[0:1]
	s_cbranch_vccnz .LBB167_15
.LBB167_14:
	v_lshl_add_u64 v[0:1], v[2:3], 3, s[6:7]
	global_load_dwordx2 v[0:1], v[0:1], off
	s_waitcnt vmcnt(0)
	v_mul_f64 v[4:5], v[0:1], s[10:11]
	v_fmac_f64_e32 v[4:5], s[8:9], v[6:7]
.LBB167_15:
	s_or_b64 s[12:13], s[12:13], exec
.LBB167_16:
	s_or_b64 exec, exec, s[4:5]
.LBB167_17:
	s_and_saveexec_b64 s[0:1], s[12:13]
	s_cbranch_execz .LBB167_19
; %bb.18:
	v_lshl_add_u64 v[0:1], v[2:3], 3, s[6:7]
	global_store_dwordx2 v[0:1], v[4:5], off
.LBB167_19:
	s_endpgm
.LBB167_20:
                                        ; implicit-def: $vgpr4_vgpr5
	s_branch .LBB167_14
	.section	.rodata,"a",@progbits
	.p2align	6, 0x0
	.amdhsa_kernel _ZL36rocblas_hemvn_kernel_upper_block_sumILi64EidPKPddEviT1_lS3_lT2_lT0_lPT3_i
		.amdhsa_group_segment_fixed_size 0
		.amdhsa_private_segment_fixed_size 0
		.amdhsa_kernarg_size 344
		.amdhsa_user_sgpr_count 2
		.amdhsa_user_sgpr_dispatch_ptr 0
		.amdhsa_user_sgpr_queue_ptr 0
		.amdhsa_user_sgpr_kernarg_segment_ptr 1
		.amdhsa_user_sgpr_dispatch_id 0
		.amdhsa_user_sgpr_kernarg_preload_length 0
		.amdhsa_user_sgpr_kernarg_preload_offset 0
		.amdhsa_user_sgpr_private_segment_size 0
		.amdhsa_uses_dynamic_stack 0
		.amdhsa_enable_private_segment 0
		.amdhsa_system_sgpr_workgroup_id_x 1
		.amdhsa_system_sgpr_workgroup_id_y 0
		.amdhsa_system_sgpr_workgroup_id_z 1
		.amdhsa_system_sgpr_workgroup_info 0
		.amdhsa_system_vgpr_workitem_id 0
		.amdhsa_next_free_vgpr 8
		.amdhsa_next_free_sgpr 22
		.amdhsa_accum_offset 8
		.amdhsa_reserve_vcc 1
		.amdhsa_float_round_mode_32 0
		.amdhsa_float_round_mode_16_64 0
		.amdhsa_float_denorm_mode_32 3
		.amdhsa_float_denorm_mode_16_64 3
		.amdhsa_dx10_clamp 1
		.amdhsa_ieee_mode 1
		.amdhsa_fp16_overflow 0
		.amdhsa_tg_split 0
		.amdhsa_exception_fp_ieee_invalid_op 0
		.amdhsa_exception_fp_denorm_src 0
		.amdhsa_exception_fp_ieee_div_zero 0
		.amdhsa_exception_fp_ieee_overflow 0
		.amdhsa_exception_fp_ieee_underflow 0
		.amdhsa_exception_fp_ieee_inexact 0
		.amdhsa_exception_int_div_zero 0
	.end_amdhsa_kernel
	.section	.text._ZL36rocblas_hemvn_kernel_upper_block_sumILi64EidPKPddEviT1_lS3_lT2_lT0_lPT3_i,"axG",@progbits,_ZL36rocblas_hemvn_kernel_upper_block_sumILi64EidPKPddEviT1_lS3_lT2_lT0_lPT3_i,comdat
.Lfunc_end167:
	.size	_ZL36rocblas_hemvn_kernel_upper_block_sumILi64EidPKPddEviT1_lS3_lT2_lT0_lPT3_i, .Lfunc_end167-_ZL36rocblas_hemvn_kernel_upper_block_sumILi64EidPKPddEviT1_lS3_lT2_lT0_lPT3_i
                                        ; -- End function
	.section	.AMDGPU.csdata,"",@progbits
; Kernel info:
; codeLenInByte = 544
; NumSgprs: 28
; NumVgprs: 8
; NumAgprs: 0
; TotalNumVgprs: 8
; ScratchSize: 0
; MemoryBound: 0
; FloatMode: 240
; IeeeMode: 1
; LDSByteSize: 0 bytes/workgroup (compile time only)
; SGPRBlocks: 3
; VGPRBlocks: 0
; NumSGPRsForWavesPerEU: 28
; NumVGPRsForWavesPerEU: 8
; AccumOffset: 8
; Occupancy: 8
; WaveLimiterHint : 1
; COMPUTE_PGM_RSRC2:SCRATCH_EN: 0
; COMPUTE_PGM_RSRC2:USER_SGPR: 2
; COMPUTE_PGM_RSRC2:TRAP_HANDLER: 0
; COMPUTE_PGM_RSRC2:TGID_X_EN: 1
; COMPUTE_PGM_RSRC2:TGID_Y_EN: 0
; COMPUTE_PGM_RSRC2:TGID_Z_EN: 1
; COMPUTE_PGM_RSRC2:TIDIG_COMP_CNT: 0
; COMPUTE_PGM_RSRC3_GFX90A:ACCUM_OFFSET: 1
; COMPUTE_PGM_RSRC3_GFX90A:TG_SPLIT: 0
	.section	.text._ZL50rocblas_symv_kernel_lower_double_buffered_diagonalILi32ELi4E24rocblas_internal_val_ptrIdEPKPKdPKPdEvbiT1_lT2_lllSA_lllS9_lT3_llli,"axG",@progbits,_ZL50rocblas_symv_kernel_lower_double_buffered_diagonalILi32ELi4E24rocblas_internal_val_ptrIdEPKPKdPKPdEvbiT1_lT2_lllSA_lllS9_lT3_llli,comdat
	.globl	_ZL50rocblas_symv_kernel_lower_double_buffered_diagonalILi32ELi4E24rocblas_internal_val_ptrIdEPKPKdPKPdEvbiT1_lT2_lllSA_lllS9_lT3_llli ; -- Begin function _ZL50rocblas_symv_kernel_lower_double_buffered_diagonalILi32ELi4E24rocblas_internal_val_ptrIdEPKPKdPKPdEvbiT1_lT2_lllSA_lllS9_lT3_llli
	.p2align	8
	.type	_ZL50rocblas_symv_kernel_lower_double_buffered_diagonalILi32ELi4E24rocblas_internal_val_ptrIdEPKPKdPKPdEvbiT1_lT2_lllSA_lllS9_lT3_llli,@function
_ZL50rocblas_symv_kernel_lower_double_buffered_diagonalILi32ELi4E24rocblas_internal_val_ptrIdEPKPKdPKPdEvbiT1_lT2_lllSA_lllS9_lT3_llli: ; @_ZL50rocblas_symv_kernel_lower_double_buffered_diagonalILi32ELi4E24rocblas_internal_val_ptrIdEPKPKdPKPdEvbiT1_lT2_lllSA_lllS9_lT3_llli
; %bb.0:
	s_mov_b32 s18, s3
	s_load_dword s3, s[0:1], 0x0
	s_load_dwordx8 s[4:11], s[0:1], 0x8
	s_load_dwordx2 s[16:17], s[0:1], 0x28
	s_load_dwordx4 s[12:15], s[0:1], 0x58
	s_waitcnt lgkmcnt(0)
	s_bitcmp1_b32 s3, 0
	s_cselect_b64 s[22:23], -1, 0
	s_xor_b64 s[20:21], s[22:23], -1
	s_and_b64 vcc, exec, s[22:23]
	v_mov_b64_e32 v[2:3], s[4:5]
	s_cbranch_vccnz .LBB168_2
; %bb.1:
	s_mul_i32 s3, s18, s7
	s_mul_hi_u32 s7, s18, s6
	s_add_i32 s7, s7, s3
	s_mul_i32 s6, s18, s6
	s_lshl_b64 s[6:7], s[6:7], 3
	s_add_u32 s4, s4, s6
	s_addc_u32 s5, s5, s7
	v_mov_b64_e32 v[2:3], s[4:5]
	flat_load_dwordx2 v[2:3], v[2:3]
.LBB168_2:
	s_andn2_b64 vcc, exec, s[20:21]
	v_mov_b64_e32 v[4:5], s[12:13]
	s_cbranch_vccnz .LBB168_4
; %bb.3:
	s_mul_i32 s3, s18, s15
	s_mul_hi_u32 s4, s18, s14
	s_add_i32 s5, s4, s3
	s_mul_i32 s4, s18, s14
	s_lshl_b64 s[4:5], s[4:5], 3
	s_add_u32 s4, s12, s4
	s_addc_u32 s5, s13, s5
	v_mov_b64_e32 v[4:5], s[4:5]
	flat_load_dwordx2 v[4:5], v[4:5]
.LBB168_4:
	s_waitcnt vmcnt(0) lgkmcnt(0)
	v_cmp_neq_f64_e32 vcc, 0, v[2:3]
	v_cmp_neq_f64_e64 s[4:5], 1.0, v[4:5]
	s_or_b64 s[4:5], vcc, s[4:5]
	s_and_saveexec_b64 s[6:7], s[4:5]
	s_cbranch_execz .LBB168_38
; %bb.5:
	v_cmp_neq_f64_e64 s[4:5], 0, v[2:3]
	v_cmp_eq_f64_e32 vcc, 0, v[2:3]
                                        ; implicit-def: $sgpr14_sgpr15
	s_and_saveexec_b64 s[6:7], vcc
	s_xor_b64 s[6:7], exec, s[6:7]
; %bb.6:
	s_mov_b32 s19, 0
	s_mov_b64 s[14:15], 0
; %bb.7:
	s_or_saveexec_b64 s[12:13], s[6:7]
	s_load_dwordx2 s[6:7], s[0:1], 0x68
	v_mov_b64_e32 v[6:7], s[18:19]
	v_mov_b64_e32 v[8:9], s[14:15]
	s_xor_b64 exec, exec, s[12:13]
	s_cbranch_execz .LBB168_9
; %bb.8:
	s_mov_b32 s19, 0
	s_lshl_b64 s[14:15], s[18:19], 3
	s_add_u32 s8, s8, s14
	s_addc_u32 s9, s9, s15
	s_load_dwordx2 s[8:9], s[8:9], 0x0
	s_lshl_b64 s[10:11], s[10:11], 3
	v_mov_b64_e32 v[6:7], s[18:19]
	s_waitcnt lgkmcnt(0)
	s_add_u32 s8, s8, s10
	s_addc_u32 s9, s9, s11
	v_mov_b64_e32 v[8:9], s[8:9]
.LBB168_9:
	s_or_b64 exec, exec, s[12:13]
	s_load_dwordx4 s[8:11], s[0:1], 0x38
	s_load_dwordx2 s[12:13], s[0:1], 0x48
	v_mov_b64_e32 v[10:11], 0
	s_and_saveexec_b64 s[14:15], s[4:5]
	s_cbranch_execz .LBB168_11
; %bb.10:
	s_waitcnt lgkmcnt(0)
	v_mov_b32_e32 v10, s8
	v_mov_b32_e32 v11, s9
	v_lshl_add_u64 v[10:11], v[6:7], 3, v[10:11]
	global_load_dwordx2 v[10:11], v[10:11], off
	s_waitcnt vmcnt(0)
	v_lshl_add_u64 v[10:11], s[10:11], 3, v[10:11]
.LBB168_11:
	s_or_b64 exec, exec, s[14:15]
	s_waitcnt lgkmcnt(0)
	v_lshl_add_u64 v[6:7], v[6:7], 3, s[6:7]
	global_load_dwordx2 v[6:7], v[6:7], off
	s_load_dwordx4 s[4:7], s[0:1], 0x70
	s_lshl_b32 s8, s2, 5
	s_ashr_i32 s9, s8, 31
	v_and_b32_e32 v12, 0x3ff, v0
	v_bfe_u32 v13, v0, 10, 10
	s_waitcnt lgkmcnt(0)
	s_mul_i32 s2, s8, s7
	s_mul_hi_u32 s3, s8, s6
	s_add_i32 s2, s3, s2
	s_mul_i32 s3, s9, s6
	s_add_i32 s3, s2, s3
	s_mul_i32 s2, s8, s6
	s_lshl_b64 s[0:1], s[4:5], 3
	s_lshl_b64 s[2:3], s[2:3], 3
	s_add_u32 s0, s2, s0
	s_addc_u32 s1, s3, s1
	s_waitcnt vmcnt(0)
	v_lshl_add_u64 v[0:1], s[0:1], 0, v[6:7]
	s_and_saveexec_b64 s[0:1], vcc
	s_xor_b64 s[0:1], exec, s[0:1]
	s_cbranch_execz .LBB168_15
; %bb.12:
	v_cmp_eq_u32_e32 vcc, 0, v13
	s_and_saveexec_b64 s[2:3], vcc
	s_cbranch_execz .LBB168_14
; %bb.13:
	v_mad_u64_u32 v[2:3], s[4:5], v12, s6, 0
	v_mov_b32_e32 v6, v3
	v_mad_u64_u32 v[6:7], s[4:5], v12, s7, v[6:7]
	v_mov_b32_e32 v3, v6
	v_lshl_add_u64 v[0:1], v[2:3], 3, v[0:1]
	global_load_dwordx2 v[2:3], v[0:1], off
	s_waitcnt vmcnt(0)
	v_mul_f64 v[2:3], v[4:5], v[2:3]
	global_store_dwordx2 v[0:1], v[2:3], off
.LBB168_14:
	s_or_b64 exec, exec, s[2:3]
                                        ; implicit-def: $vgpr13
                                        ; implicit-def: $vgpr12
                                        ; implicit-def: $vgpr2_vgpr3
                                        ; implicit-def: $vgpr4_vgpr5
                                        ; implicit-def: $vgpr0_vgpr1
                                        ; implicit-def: $vgpr8_vgpr9
                                        ; implicit-def: $vgpr10_vgpr11
.LBB168_15:
	s_andn2_saveexec_b64 s[0:1], s[0:1]
	s_cbranch_execz .LBB168_38
; %bb.16:
	v_cmp_eq_u32_e32 vcc, 0, v13
	v_mov_b64_e32 v[6:7], 0
	s_and_saveexec_b64 s[2:3], vcc
	s_cbranch_execz .LBB168_20
; %bb.17:
	v_cmp_neq_f64_e64 s[0:1], 0, v[4:5]
	v_mov_b64_e32 v[6:7], 0
	s_and_saveexec_b64 s[4:5], s[0:1]
	s_cbranch_execz .LBB168_19
; %bb.18:
	v_mad_u64_u32 v[6:7], s[0:1], v12, s6, 0
	v_mov_b32_e32 v14, v7
	v_mad_u64_u32 v[14:15], s[0:1], v12, s7, v[14:15]
	v_mov_b32_e32 v7, v14
	v_lshl_add_u64 v[6:7], v[6:7], 3, v[0:1]
	global_load_dwordx2 v[6:7], v[6:7], off
	s_waitcnt vmcnt(0)
	v_mul_f64 v[6:7], v[4:5], v[6:7]
.LBB168_19:
	s_or_b64 exec, exec, s[4:5]
	s_mul_i32 s0, s8, s13
	s_mul_hi_u32 s1, s8, s12
	s_add_i32 s0, s1, s0
	s_mul_i32 s1, s9, s12
	s_add_i32 s1, s0, s1
	s_mul_i32 s0, s8, s12
	v_lshl_add_u64 v[10:11], s[0:1], 3, v[10:11]
	v_mad_u64_u32 v[14:15], s[0:1], v12, s12, 0
	v_mov_b32_e32 v16, v15
	v_mad_u64_u32 v[16:17], s[0:1], v12, s13, v[16:17]
	v_mov_b32_e32 v15, v16
	v_lshl_add_u64 v[10:11], v[14:15], 3, v[10:11]
	flat_load_dwordx2 v[10:11], v[10:11]
	v_lshlrev_b32_e32 v14, 3, v12
	s_waitcnt vmcnt(0) lgkmcnt(0)
	ds_write_b64 v14, v[10:11] offset:10240
.LBB168_20:
	s_or_b64 exec, exec, s[2:3]
	s_add_u32 s0, s16, 1
	s_addc_u32 s1, s17, 0
	s_mul_i32 s2, s0, s9
	s_mul_hi_u32 s3, s0, s8
	s_add_i32 s2, s3, s2
	s_mul_i32 s1, s1, s8
	s_add_i32 s1, s2, s1
	s_mul_i32 s0, s0, s8
	v_lshl_add_u64 v[8:9], s[0:1], 3, v[8:9]
	v_mad_u64_u32 v[10:11], s[0:1], v13, s16, 0
	v_mov_b32_e32 v14, v11
	v_mad_u64_u32 v[14:15], s[0:1], v13, s17, v[14:15]
	v_mov_b32_e32 v11, v14
	v_lshl_add_u64 v[10:11], v[10:11], 3, v[8:9]
	v_lshlrev_b32_e32 v8, 3, v12
	v_mov_b32_e32 v9, 0
	v_lshl_add_u64 v[10:11], v[10:11], 0, v[8:9]
	flat_load_dwordx2 v[14:15], v[10:11]
	v_lshl_add_u32 v9, v13, 5, v12
	v_lshlrev_b32_e32 v9, 3, v9
	s_lshl_b64 s[2:3], s[16:17], 5
	v_lshl_add_u64 v[10:11], v[10:11], 0, s[2:3]
	v_add_u32_e32 v19, 4, v13
	v_add_u32_e32 v18, 8, v13
	v_cmp_lt_u32_e64 s[0:1], 15, v12
	s_waitcnt vmcnt(0) lgkmcnt(0)
	ds_write_b64 v9, v[14:15]
	flat_load_dwordx2 v[16:17], v[10:11]
	v_lshlrev_b32_e32 v14, 5, v19
	v_add_lshl_u32 v14, v14, v12, 3
	v_lshl_add_u64 v[10:11], v[10:11], 0, s[2:3]
	v_lshlrev_b32_e32 v15, 5, v18
	v_add_lshl_u32 v15, v15, v12, 3
	s_waitcnt vmcnt(0) lgkmcnt(0)
	ds_write_b64 v14, v[16:17]
	flat_load_dwordx2 v[16:17], v[10:11]
	v_lshl_add_u64 v[10:11], v[10:11], 0, s[2:3]
	s_waitcnt vmcnt(0) lgkmcnt(0)
	ds_write_b64 v15, v[16:17]
	flat_load_dwordx2 v[20:21], v[10:11]
	v_add_u32_e32 v17, 12, v13
	v_lshlrev_b32_e32 v16, 5, v17
	v_add_lshl_u32 v16, v16, v12, 3
	s_waitcnt vmcnt(0) lgkmcnt(0)
	ds_write_b64 v16, v[20:21]
	s_and_saveexec_b64 s[4:5], s[0:1]
	s_cbranch_execz .LBB168_22
; %bb.21:
	v_lshl_add_u64 v[10:11], v[10:11], 0, s[2:3]
	flat_load_dwordx2 v[20:21], v[10:11]
	s_lshl_b64 s[0:1], s[16:17], 2
	v_lshl_add_u64 v[10:11], s[0:1], 3, v[10:11]
	s_waitcnt vmcnt(0) lgkmcnt(0)
	ds_write_b64 v9, v[20:21] offset:4096
	flat_load_dwordx2 v[20:21], v[10:11]
	v_lshl_add_u64 v[10:11], v[10:11], 0, s[2:3]
	s_waitcnt vmcnt(0) lgkmcnt(0)
	ds_write_b64 v9, v[20:21] offset:5120
	flat_load_dwordx2 v[20:21], v[10:11]
	v_lshl_add_u64 v[10:11], v[10:11], 0, s[2:3]
	s_waitcnt vmcnt(0) lgkmcnt(0)
	ds_write_b64 v9, v[20:21] offset:6144
	flat_load_dwordx2 v[10:11], v[10:11]
	s_waitcnt vmcnt(0) lgkmcnt(0)
	ds_write_b64 v9, v[10:11] offset:7168
.LBB168_22:
	s_or_b64 exec, exec, s[4:5]
	v_cmp_lt_u32_e64 s[0:1], v12, v13
	v_lshlrev_b32_e32 v10, 5, v12
	s_waitcnt lgkmcnt(0)
	s_barrier
	s_and_saveexec_b64 s[2:3], s[0:1]
	s_cbranch_execz .LBB168_24
; %bb.23:
	v_add_lshl_u32 v11, v10, v13, 3
	ds_read_b64 v[20:21], v11
	s_waitcnt lgkmcnt(0)
	ds_write_b64 v9, v[20:21]
.LBB168_24:
	s_or_b64 exec, exec, s[2:3]
	v_sub_u32_e32 v11, v12, v13
	v_sub_u32_e32 v20, 0, v11
	v_max_i32_e32 v20, v11, v20
	v_cmp_gt_u32_e64 s[0:1], 4, v20
	v_add_lshl_u32 v21, v13, v10, 3
	s_and_saveexec_b64 s[2:3], s[0:1]
	s_cbranch_execnz .LBB168_39
; %bb.25:
	s_or_b64 exec, exec, s[2:3]
	v_cmp_gt_u32_e64 s[0:1], 8, v20
	s_and_saveexec_b64 s[2:3], s[0:1]
	s_cbranch_execnz .LBB168_40
.LBB168_26:
	s_or_b64 exec, exec, s[2:3]
	v_cmp_gt_u32_e64 s[0:1], 12, v20
	s_and_saveexec_b64 s[2:3], s[0:1]
	s_cbranch_execz .LBB168_28
.LBB168_27:
	ds_read_b64 v[22:23], v21 offset:96
	s_waitcnt lgkmcnt(0)
	ds_write_b64 v16, v[22:23]
.LBB168_28:
	s_or_b64 exec, exec, s[2:3]
	v_add_u32_e32 v11, 16, v13
	v_cmp_gt_u32_e64 s[0:1], 16, v20
	v_lshlrev_b32_e32 v11, 5, v11
	s_and_saveexec_b64 s[2:3], s[0:1]
	s_cbranch_execnz .LBB168_41
; %bb.29:
	s_or_b64 exec, exec, s[2:3]
	v_cmp_gt_u32_e64 s[0:1], 20, v20
	s_and_saveexec_b64 s[2:3], s[0:1]
	s_cbranch_execnz .LBB168_42
.LBB168_30:
	s_or_b64 exec, exec, s[2:3]
	v_cmp_gt_u32_e64 s[0:1], 24, v20
	s_and_saveexec_b64 s[2:3], s[0:1]
	s_cbranch_execz .LBB168_32
.LBB168_31:
	v_add_lshl_u32 v18, v18, v10, 3
	ds_read_b64 v[18:19], v18 offset:128
	s_waitcnt lgkmcnt(0)
	ds_write_b64 v9, v[18:19] offset:6144
.LBB168_32:
	s_or_b64 exec, exec, s[2:3]
	v_cmp_lt_u32_e64 s[0:1], 27, v20
	v_add_u32_e32 v18, 28, v13
                                        ; implicit-def: $vgpr19
	s_and_saveexec_b64 s[2:3], s[0:1]
	s_xor_b64 s[0:1], exec, s[2:3]
; %bb.33:
	v_add_u32_e32 v18, 28, v13
	v_lshl_add_u32 v19, v18, 5, v12
                                        ; implicit-def: $vgpr17
                                        ; implicit-def: $vgpr10
; %bb.34:
	s_andn2_saveexec_b64 s[0:1], s[0:1]
	s_cbranch_execz .LBB168_36
; %bb.35:
	v_add_lshl_u32 v10, v17, v10, 3
	ds_read_b64 v[20:21], v10 offset:128
	v_lshl_add_u32 v19, v18, 5, v12
	v_lshlrev_b32_e32 v10, 3, v19
	s_waitcnt lgkmcnt(0)
	ds_write_b64 v10, v[20:21]
.LBB168_36:
	s_or_b64 exec, exec, s[0:1]
	v_lshlrev_b32_e32 v36, 3, v13
	v_add_u32_e32 v10, 0x2800, v36
	s_waitcnt lgkmcnt(0)
	s_barrier
	ds_read2_b64 v[20:23], v10 offset1:4
	ds_read_b64 v[24:25], v9
	ds_read_b64 v[26:27], v14
	ds_read_b64 v[28:29], v15
	ds_read_b64 v[30:31], v16
	ds_read2_b64 v[14:17], v10 offset0:8 offset1:12
	s_waitcnt lgkmcnt(4)
	v_fma_f64 v[32:33], v[24:25], v[20:21], 0
	s_waitcnt lgkmcnt(3)
	v_fmac_f64_e32 v[32:33], v[26:27], v[22:23]
	ds_read2_b64 v[20:23], v10 offset0:16 offset1:20
	v_lshlrev_b32_e32 v10, 5, v13
	v_add_lshl_u32 v10, v10, v12, 3
	v_add_lshl_u32 v11, v11, v12, 3
	ds_read2st64_b64 v[24:27], v10 offset0:10 offset1:12
	v_lshlrev_b32_e32 v34, 3, v18
	v_lshlrev_b32_e32 v13, 3, v19
	ds_read_b64 v[10:11], v11
	ds_read_b64 v[18:19], v13
	ds_read_b64 v[34:35], v34 offset:10240
	ds_read_b64 v[36:37], v36 offset:10432
	s_waitcnt lgkmcnt(6)
	v_fmac_f64_e32 v[32:33], v[28:29], v[14:15]
	v_fmac_f64_e32 v[32:33], v[30:31], v[16:17]
	s_waitcnt lgkmcnt(3)
	v_fmac_f64_e32 v[32:33], v[10:11], v[20:21]
	v_fmac_f64_e32 v[32:33], v[24:25], v[22:23]
	;; [unrolled: 3-line block ×3, first 2 shown]
	ds_write_b64 v9, v[32:33] offset:8192
	s_waitcnt lgkmcnt(0)
	s_barrier
	s_and_saveexec_b64 s[0:1], vcc
	s_cbranch_execz .LBB168_38
; %bb.37:
	v_add_u32_e32 v13, 0x2000, v8
	ds_read2_b64 v[8:11], v13 offset1:32
	ds_read2_b64 v[14:17], v13 offset0:64 offset1:96
	v_cmp_neq_f64_e32 vcc, 0, v[4:5]
	v_mad_u64_u32 v[4:5], s[0:1], v12, s6, 0
	s_waitcnt lgkmcnt(1)
	v_add_f64 v[8:9], v[8:9], 0
	v_add_f64 v[8:9], v[8:9], v[10:11]
	s_waitcnt lgkmcnt(0)
	v_add_f64 v[8:9], v[8:9], v[14:15]
	v_add_f64 v[8:9], v[8:9], v[16:17]
	v_mul_f64 v[10:11], v[2:3], v[8:9]
	v_fmac_f64_e32 v[6:7], v[2:3], v[8:9]
	v_cndmask_b32_e32 v2, v10, v6, vcc
	v_mov_b32_e32 v6, v5
	v_cndmask_b32_e32 v3, v11, v7, vcc
	v_mad_u64_u32 v[6:7], s[0:1], v12, s7, v[6:7]
	v_mov_b32_e32 v5, v6
	v_lshl_add_u64 v[0:1], v[4:5], 3, v[0:1]
	global_store_dwordx2 v[0:1], v[2:3], off
.LBB168_38:
	s_endpgm
.LBB168_39:
	ds_read_b64 v[22:23], v21 offset:32
	s_waitcnt lgkmcnt(0)
	ds_write_b64 v14, v[22:23]
	s_or_b64 exec, exec, s[2:3]
	v_cmp_gt_u32_e64 s[0:1], 8, v20
	s_and_saveexec_b64 s[2:3], s[0:1]
	s_cbranch_execz .LBB168_26
.LBB168_40:
	ds_read_b64 v[22:23], v21 offset:64
	s_waitcnt lgkmcnt(0)
	ds_write_b64 v15, v[22:23]
	s_or_b64 exec, exec, s[2:3]
	v_cmp_gt_u32_e64 s[0:1], 12, v20
	s_and_saveexec_b64 s[2:3], s[0:1]
	s_cbranch_execnz .LBB168_27
	s_branch .LBB168_28
.LBB168_41:
	ds_read_b64 v[22:23], v21 offset:128
	v_add_lshl_u32 v21, v11, v12, 3
	s_waitcnt lgkmcnt(0)
	ds_write_b64 v21, v[22:23]
	s_or_b64 exec, exec, s[2:3]
	v_cmp_gt_u32_e64 s[0:1], 20, v20
	s_and_saveexec_b64 s[2:3], s[0:1]
	s_cbranch_execz .LBB168_30
.LBB168_42:
	v_add_lshl_u32 v19, v19, v10, 3
	ds_read_b64 v[22:23], v19 offset:128
	s_waitcnt lgkmcnt(0)
	ds_write_b64 v9, v[22:23] offset:5120
	s_or_b64 exec, exec, s[2:3]
	v_cmp_gt_u32_e64 s[0:1], 24, v20
	s_and_saveexec_b64 s[2:3], s[0:1]
	s_cbranch_execnz .LBB168_31
	s_branch .LBB168_32
	.section	.rodata,"a",@progbits
	.p2align	6, 0x0
	.amdhsa_kernel _ZL50rocblas_symv_kernel_lower_double_buffered_diagonalILi32ELi4E24rocblas_internal_val_ptrIdEPKPKdPKPdEvbiT1_lT2_lllSA_lllS9_lT3_llli
		.amdhsa_group_segment_fixed_size 10496
		.amdhsa_private_segment_fixed_size 0
		.amdhsa_kernarg_size 140
		.amdhsa_user_sgpr_count 2
		.amdhsa_user_sgpr_dispatch_ptr 0
		.amdhsa_user_sgpr_queue_ptr 0
		.amdhsa_user_sgpr_kernarg_segment_ptr 1
		.amdhsa_user_sgpr_dispatch_id 0
		.amdhsa_user_sgpr_kernarg_preload_length 0
		.amdhsa_user_sgpr_kernarg_preload_offset 0
		.amdhsa_user_sgpr_private_segment_size 0
		.amdhsa_uses_dynamic_stack 0
		.amdhsa_enable_private_segment 0
		.amdhsa_system_sgpr_workgroup_id_x 1
		.amdhsa_system_sgpr_workgroup_id_y 0
		.amdhsa_system_sgpr_workgroup_id_z 1
		.amdhsa_system_sgpr_workgroup_info 0
		.amdhsa_system_vgpr_workitem_id 1
		.amdhsa_next_free_vgpr 38
		.amdhsa_next_free_sgpr 24
		.amdhsa_accum_offset 40
		.amdhsa_reserve_vcc 1
		.amdhsa_float_round_mode_32 0
		.amdhsa_float_round_mode_16_64 0
		.amdhsa_float_denorm_mode_32 3
		.amdhsa_float_denorm_mode_16_64 3
		.amdhsa_dx10_clamp 1
		.amdhsa_ieee_mode 1
		.amdhsa_fp16_overflow 0
		.amdhsa_tg_split 0
		.amdhsa_exception_fp_ieee_invalid_op 0
		.amdhsa_exception_fp_denorm_src 0
		.amdhsa_exception_fp_ieee_div_zero 0
		.amdhsa_exception_fp_ieee_overflow 0
		.amdhsa_exception_fp_ieee_underflow 0
		.amdhsa_exception_fp_ieee_inexact 0
		.amdhsa_exception_int_div_zero 0
	.end_amdhsa_kernel
	.section	.text._ZL50rocblas_symv_kernel_lower_double_buffered_diagonalILi32ELi4E24rocblas_internal_val_ptrIdEPKPKdPKPdEvbiT1_lT2_lllSA_lllS9_lT3_llli,"axG",@progbits,_ZL50rocblas_symv_kernel_lower_double_buffered_diagonalILi32ELi4E24rocblas_internal_val_ptrIdEPKPKdPKPdEvbiT1_lT2_lllSA_lllS9_lT3_llli,comdat
.Lfunc_end168:
	.size	_ZL50rocblas_symv_kernel_lower_double_buffered_diagonalILi32ELi4E24rocblas_internal_val_ptrIdEPKPKdPKPdEvbiT1_lT2_lllSA_lllS9_lT3_llli, .Lfunc_end168-_ZL50rocblas_symv_kernel_lower_double_buffered_diagonalILi32ELi4E24rocblas_internal_val_ptrIdEPKPKdPKPdEvbiT1_lT2_lllSA_lllS9_lT3_llli
                                        ; -- End function
	.section	.AMDGPU.csdata,"",@progbits
; Kernel info:
; codeLenInByte = 2024
; NumSgprs: 30
; NumVgprs: 38
; NumAgprs: 0
; TotalNumVgprs: 38
; ScratchSize: 0
; MemoryBound: 0
; FloatMode: 240
; IeeeMode: 1
; LDSByteSize: 10496 bytes/workgroup (compile time only)
; SGPRBlocks: 3
; VGPRBlocks: 4
; NumSGPRsForWavesPerEU: 30
; NumVGPRsForWavesPerEU: 38
; AccumOffset: 40
; Occupancy: 3
; WaveLimiterHint : 1
; COMPUTE_PGM_RSRC2:SCRATCH_EN: 0
; COMPUTE_PGM_RSRC2:USER_SGPR: 2
; COMPUTE_PGM_RSRC2:TRAP_HANDLER: 0
; COMPUTE_PGM_RSRC2:TGID_X_EN: 1
; COMPUTE_PGM_RSRC2:TGID_Y_EN: 0
; COMPUTE_PGM_RSRC2:TGID_Z_EN: 1
; COMPUTE_PGM_RSRC2:TIDIG_COMP_CNT: 1
; COMPUTE_PGM_RSRC3_GFX90A:ACCUM_OFFSET: 9
; COMPUTE_PGM_RSRC3_GFX90A:TG_SPLIT: 0
	.section	.text._ZL54rocblas_symv_kernel_lower_double_buffered_non_diagonalILi32ELi4ELi4E24rocblas_internal_val_ptrIdEPKPKdPKPdEvbiT2_lT3_lllSA_lllT4_llli,"axG",@progbits,_ZL54rocblas_symv_kernel_lower_double_buffered_non_diagonalILi32ELi4ELi4E24rocblas_internal_val_ptrIdEPKPKdPKPdEvbiT2_lT3_lllSA_lllT4_llli,comdat
	.globl	_ZL54rocblas_symv_kernel_lower_double_buffered_non_diagonalILi32ELi4ELi4E24rocblas_internal_val_ptrIdEPKPKdPKPdEvbiT2_lT3_lllSA_lllT4_llli ; -- Begin function _ZL54rocblas_symv_kernel_lower_double_buffered_non_diagonalILi32ELi4ELi4E24rocblas_internal_val_ptrIdEPKPKdPKPdEvbiT2_lT3_lllSA_lllT4_llli
	.p2align	8
	.type	_ZL54rocblas_symv_kernel_lower_double_buffered_non_diagonalILi32ELi4ELi4E24rocblas_internal_val_ptrIdEPKPKdPKPdEvbiT2_lT3_lllSA_lllT4_llli,@function
_ZL54rocblas_symv_kernel_lower_double_buffered_non_diagonalILi32ELi4ELi4E24rocblas_internal_val_ptrIdEPKPKdPKPdEvbiT2_lT3_lllSA_lllT4_llli: ; @_ZL54rocblas_symv_kernel_lower_double_buffered_non_diagonalILi32ELi4ELi4E24rocblas_internal_val_ptrIdEPKPKdPKPdEvbiT2_lT3_lllSA_lllT4_llli
; %bb.0:
	s_load_dword s5, s[0:1], 0x0
	s_load_dwordx8 s[8:15], s[0:1], 0x8
	s_load_dwordx2 s[16:17], s[0:1], 0x28
	s_waitcnt lgkmcnt(0)
	s_bitcmp1_b32 s5, 0
	s_cselect_b64 s[6:7], -1, 0
	s_and_b64 vcc, exec, s[6:7]
	v_mov_b64_e32 v[8:9], s[8:9]
	s_cbranch_vccnz .LBB169_2
; %bb.1:
	s_mul_i32 s5, s4, s11
	s_mul_hi_u32 s6, s4, s10
	s_add_i32 s7, s6, s5
	s_mul_i32 s6, s4, s10
	s_lshl_b64 s[6:7], s[6:7], 3
	s_add_u32 s6, s8, s6
	s_addc_u32 s7, s9, s7
	v_mov_b64_e32 v[2:3], s[6:7]
	flat_load_dwordx2 v[8:9], v[2:3]
.LBB169_2:
	s_waitcnt vmcnt(0) lgkmcnt(0)
	v_cmp_neq_f64_e32 vcc, 0, v[8:9]
	s_and_saveexec_b64 s[6:7], vcc
	s_cbranch_execz .LBB169_19
; %bb.3:
	s_load_dwordx2 s[6:7], s[0:1], 0x80
	s_waitcnt lgkmcnt(0)
	v_cvt_f32_u32_e32 v1, s7
	s_add_i32 s5, s6, -1
	s_cmp_eq_u32 s2, s5
	v_rcp_iflag_f32_e32 v1, v1
	s_nop 0
	v_mul_f32_e32 v1, 0x4f7ffffe, v1
	v_cvt_u32_f32_e32 v1, v1
	s_nop 0
	v_readfirstlane_b32 s8, v1
	s_cbranch_scc1 .LBB169_19
; %bb.4:
	s_sub_i32 s9, 0, s7
	s_mul_i32 s9, s9, s8
	s_not_b32 s5, s2
	s_mul_hi_u32 s9, s8, s9
	s_add_i32 s6, s6, s5
	s_add_i32 s8, s8, s9
	s_mov_b32 s5, 0
	s_mul_hi_u32 s22, s6, s8
	s_load_dwordx4 s[8:11], s[0:1], 0x38
	s_load_dwordx2 s[18:19], s[0:1], 0x48
	s_lshl_b64 s[4:5], s[4:5], 3
	s_add_u32 s12, s12, s4
	s_addc_u32 s13, s13, s5
	s_load_dwordx2 s[20:21], s[0:1], 0x58
	s_waitcnt lgkmcnt(0)
	s_add_u32 s8, s8, s4
	s_addc_u32 s9, s9, s5
	s_load_dwordx2 s[8:9], s[8:9], 0x0
	v_and_b32_e32 v74, 0x3ff, v0
	s_add_u32 s20, s20, s4
	s_addc_u32 s21, s21, s5
	s_lshl_b64 s[4:5], s[10:11], 3
	s_waitcnt lgkmcnt(0)
	s_add_u32 s8, s8, s4
	v_bfe_u32 v0, v0, 10, 10
	s_addc_u32 s9, s9, s5
	s_lshl_b32 s10, s2, 5
	s_ashr_i32 s11, s10, 31
	v_cmp_eq_u32_e32 vcc, 0, v0
	s_and_saveexec_b64 s[4:5], vcc
	s_cbranch_execz .LBB169_6
; %bb.5:
	s_mul_i32 s2, s10, s19
	s_mul_hi_u32 s23, s10, s18
	s_add_i32 s2, s23, s2
	s_mul_i32 s23, s11, s18
	s_add_i32 s25, s2, s23
	s_mul_i32 s24, s10, s18
	v_mad_u64_u32 v[2:3], s[26:27], v74, s18, 0
	s_lshl_b64 s[24:25], s[24:25], 3
	v_mov_b32_e32 v4, v3
	s_add_u32 s24, s8, s24
	v_mad_u64_u32 v[4:5], s[26:27], v74, s19, v[4:5]
	s_addc_u32 s25, s9, s25
	v_mov_b32_e32 v3, v4
	v_lshl_add_u64 v[2:3], v[2:3], 3, s[24:25]
	global_load_dwordx2 v[2:3], v[2:3], off
	v_lshlrev_b32_e32 v1, 3, v74
	s_waitcnt vmcnt(0)
	ds_write_b64 v1, v[2:3] offset:6144
.LBB169_6:
	s_or_b64 exec, exec, s[4:5]
	s_mul_i32 s2, s22, s7
	s_sub_i32 s2, s6, s2
	s_add_i32 s4, s22, 1
	s_sub_i32 s5, s2, s7
	s_cmp_ge_u32 s2, s7
	s_cselect_b32 s4, s4, s22
	s_cselect_b32 s2, s5, s2
	s_add_i32 s5, s4, 1
	s_cmp_ge_u32 s2, s7
	s_cselect_b32 s2, s5, s4
	s_add_i32 s4, s7, -1
	s_cmp_lg_u32 s3, s4
	s_mov_b32 s22, s2
	s_cbranch_scc1 .LBB169_8
; %bb.7:
	s_mul_i32 s4, s2, s7
	s_sub_i32 s4, s6, s4
	s_add_i32 s22, s4, s2
.LBB169_8:
	s_cmp_eq_u32 s22, 0
	s_cbranch_scc1 .LBB169_19
; %bb.9:
	s_load_dwordx4 s[4:7], s[0:1], 0x60
	s_load_dwordx2 s[24:25], s[20:21], 0x0
	v_lshl_add_u32 v0, v0, 5, v74
	v_and_b32_e32 v10, 15, v74
	v_mov_b64_e32 v[36:37], 0
	s_waitcnt lgkmcnt(0)
	s_lshl_b64 s[0:1], s[4:5], 3
	s_mul_i32 s4, s10, s7
	s_mul_hi_u32 s5, s10, s6
	s_add_u32 s20, s24, s0
	s_addc_u32 s21, s25, s1
	s_add_i32 s0, s5, s4
	s_mul_i32 s1, s11, s6
	s_add_i32 s1, s0, s1
	s_mul_i32 s0, s10, s6
	s_lshl_b64 s[0:1], s[0:1], 3
	s_add_u32 s0, s20, s0
	s_addc_u32 s1, s21, s1
	v_lshrrev_b32_e32 v75, 4, v0
	s_cmp_lt_i32 s22, 1
	v_lshlrev_b32_e32 v12, 3, v10
	v_mov_b64_e32 v[38:39], v[36:37]
	v_mov_b64_e32 v[40:41], v[36:37]
	;; [unrolled: 1-line block ×3, first 2 shown]
	s_barrier
	s_cbranch_scc1 .LBB169_17
; %bb.10:
	s_mul_i32 s3, s3, s2
	v_lshlrev_b32_e32 v3, 2, v75
	v_mov_b32_e32 v11, 0
	s_lshl_b32 s2, s3, 5
	s_load_dwordx2 s[20:21], s[12:13], 0x0
	v_mad_u64_u32 v[0:1], s[4:5], v3, s16, v[10:11]
	s_ashr_i32 s3, s2, 31
	s_mul_i32 s12, s2, s7
	s_mul_hi_u32 s13, s2, s6
	v_mov_b32_e32 v2, v1
	s_add_i32 s12, s13, s12
	s_mul_i32 s13, s3, s6
	v_mad_u64_u32 v[2:3], s[4:5], v3, s17, v[2:3]
	s_add_i32 s13, s12, s13
	s_mul_i32 s12, s2, s6
	s_lshl_b64 s[4:5], s[18:19], 8
	s_lshl_b64 s[12:13], s[12:13], 3
	s_add_u32 s12, s0, s12
	s_addc_u32 s13, s1, s13
	s_lshl_b64 s[14:15], s[14:15], 3
	s_waitcnt lgkmcnt(0)
	s_add_u32 s23, s20, s14
	s_addc_u32 s26, s21, s15
	s_add_u32 s14, s16, 1
	s_addc_u32 s15, s17, 0
	s_mul_i32 s20, s14, s11
	s_mul_hi_u32 s21, s14, s10
	s_add_i32 s20, s21, s20
	s_mul_i32 s15, s15, s10
	s_add_i32 s15, s20, s15
	s_mul_i32 s14, s14, s10
	s_lshl_b64 s[14:15], s[14:15], 3
	s_add_u32 s24, s23, s14
	s_addc_u32 s25, s26, s15
	s_lshl_b64 s[20:21], s[2:3], 3
	s_add_u32 s2, s24, s20
	v_mov_b32_e32 v1, v2
	s_addc_u32 s3, s25, s21
	v_lshl_add_u64 v[0:1], v[0:1], 3, s[2:3]
	s_lshl_b64 s[2:3], s[16:17], 3
	global_load_dwordx2 v[18:19], v[0:1], off offset:256
	v_lshl_add_u64 v[0:1], v[0:1], 0, s[2:3]
	global_load_dwordx2 v[22:23], v[0:1], off offset:256
	v_lshl_add_u64 v[0:1], v[0:1], 0, s[2:3]
	;; [unrolled: 2-line block ×3, first 2 shown]
	global_load_dwordx2 v[26:27], v[0:1], off offset:256
	v_lshlrev_b32_e32 v4, 5, v75
	v_or_b32_e32 v0, v4, v10
	v_mov_b32_e32 v2, 0x1000
	s_lshl_b64 s[2:3], s[6:7], 8
	v_mad_u64_u32 v[14:15], s[24:25], v74, s6, 0
	s_lshl_b64 s[10:11], s[10:11], 3
	v_lshl_add_u32 v76, v0, 3, v2
	v_mov_b32_e32 v0, v15
	s_add_u32 s10, s20, s10
	v_mad_u64_u32 v[0:1], s[24:25], v74, s7, v[0:1]
	s_addc_u32 s11, s21, s11
	v_mov_b32_e32 v13, v11
	v_mov_b32_e32 v15, v0
	v_lshl_add_u64 v[0:1], s[10:11], 0, v[12:13]
	s_mov_b64 s[10:11], 0x100
	v_lshl_add_u32 v78, v74, 3, v2
	v_lshl_add_u64 v[2:3], v[0:1], 0, s[10:11]
	v_mad_u64_u32 v[16:17], s[24:25], s18, v2, 0
	s_mov_b64 s[24:25], 0x180
	s_nop 0
	v_lshl_add_u64 v[0:1], v[0:1], 0, s[24:25]
	v_mul_lo_u32 v5, s19, v2
	v_mul_lo_u32 v3, s18, v3
	;; [unrolled: 1-line block ×4, first 2 shown]
	v_mad_u64_u32 v[20:21], s[18:19], s18, v0, 0
	s_add_u32 s18, s23, s20
	s_addc_u32 s19, s26, s21
	s_add_u32 s14, s18, s14
	s_addc_u32 s15, s19, s15
	v_add3_u32 v17, v17, v3, v5
	v_add3_u32 v21, v21, v1, v2
	v_or_b32_e32 v3, 8, v4
	v_mov_b64_e32 v[0:1], s[14:15]
	v_mad_u64_u32 v[28:29], s[18:19], s16, v3, v[0:1]
	v_mov_b32_e32 v2, v29
	v_mad_u64_u32 v[2:3], s[18:19], s17, v3, v[2:3]
	v_or_b32_e32 v3, 16, v4
	v_mad_u64_u32 v[30:31], s[18:19], s16, v3, v[0:1]
	v_mov_b32_e32 v29, v2
	v_mov_b32_e32 v2, v31
	v_mad_u64_u32 v[2:3], s[18:19], s17, v3, v[2:3]
	v_mov_b32_e32 v31, v2
	v_or_b32_e32 v2, 24, v4
	v_mad_u64_u32 v[34:35], s[18:19], s16, v2, v[0:1]
	v_mov_b32_e32 v0, v35
	v_mad_u64_u32 v[0:1], s[18:19], s17, v2, v[0:1]
	v_mov_b32_e32 v35, v0
	;; [unrolled: 2-line block ×4, first 2 shown]
	v_lshlrev_b64 v[0:1], 5, v[0:1]
	v_mov_b64_e32 v[32:33], 0
	v_add_u32_e32 v77, 0x1800, v4
	v_lshl_add_u64 v[42:43], s[14:15], 0, v[0:1]
	v_mov_b64_e32 v[44:45], s[12:13]
	v_mov_b64_e32 v[40:41], v[32:33]
	;; [unrolled: 1-line block ×4, first 2 shown]
	s_waitcnt vmcnt(3)
	v_mov_b64_e32 v[46:47], v[18:19]
	s_waitcnt vmcnt(2)
	v_mov_b64_e32 v[48:49], v[22:23]
	;; [unrolled: 2-line block ×4, first 2 shown]
.LBB169_11:                             ; =>This Inner Loop Header: Depth=1
	v_lshl_add_u64 v[0:1], s[8:9], 0, v[16:17]
	v_lshl_add_u64 v[66:67], v[42:43], 0, v[12:13]
	;; [unrolled: 1-line block ×6, first 2 shown]
	global_load_dwordx2 v[56:57], v[0:1], off
	global_load_dwordx2 v[54:55], v[2:3], off
	global_load_dwordx2 v[58:59], v[66:67], off offset:384
	global_load_dwordx2 v[60:61], v[70:71], off offset:384
	global_load_dwordx2 v[62:63], v[68:69], off offset:384
	global_load_dwordx2 v[64:65], v[72:73], off offset:384
	ds_read_b128 v[4:7], v77
	ds_read_b128 v[0:3], v77 offset:16
	s_cmp_eq_u32 s22, 1
	s_cbranch_scc1 .LBB169_13
; %bb.12:                               ;   in Loop: Header=BB169_11 Depth=1
	global_load_dwordx2 v[46:47], v[66:67], off offset:512
	global_load_dwordx2 v[48:49], v[70:71], off offset:512
	;; [unrolled: 1-line block ×4, first 2 shown]
.LBB169_13:                             ;   in Loop: Header=BB169_11 Depth=1
	s_waitcnt lgkmcnt(1)
	v_fma_f64 v[66:67], v[18:19], v[4:5], 0
	s_waitcnt vmcnt(3)
	v_fma_f64 v[4:5], v[58:59], v[4:5], 0
	v_fmac_f64_e32 v[66:67], v[22:23], v[6:7]
	s_waitcnt vmcnt(2)
	v_fmac_f64_e32 v[4:5], v[60:61], v[6:7]
	s_waitcnt lgkmcnt(0)
	v_fmac_f64_e32 v[66:67], v[24:25], v[0:1]
	s_waitcnt vmcnt(1)
	v_fmac_f64_e32 v[4:5], v[62:63], v[0:1]
	v_fmac_f64_e32 v[66:67], v[26:27], v[2:3]
	s_waitcnt vmcnt(0)
	v_fmac_f64_e32 v[4:5], v[64:65], v[2:3]
	s_barrier
	ds_write2_b64 v76, v[66:67], v[4:5] offset1:16
	s_waitcnt lgkmcnt(0)
	s_barrier
	s_and_saveexec_b64 s[12:13], vcc
	s_cbranch_execz .LBB169_15
; %bb.14:                               ;   in Loop: Header=BB169_11 Depth=1
	ds_read2_b64 v[0:3], v78 offset1:32
	ds_read2_b64 v[4:7], v78 offset0:64 offset1:96
	ds_read2_b64 v[66:69], v78 offset0:128 offset1:160
	;; [unrolled: 1-line block ×3, first 2 shown]
	v_lshl_add_u64 v[44:45], v[44:45], 0, s[2:3]
	s_waitcnt lgkmcnt(3)
	v_add_f64 v[0:1], v[0:1], 0
	v_add_f64 v[0:1], v[0:1], v[2:3]
	s_waitcnt lgkmcnt(2)
	v_add_f64 v[0:1], v[0:1], v[4:5]
	v_add_f64 v[0:1], v[0:1], v[6:7]
	;; [unrolled: 3-line block ×4, first 2 shown]
	v_lshl_add_u64 v[2:3], v[14:15], 3, v[44:45]
	v_mul_f64 v[0:1], v[8:9], v[0:1]
	global_atomic_add_f64 v[2:3], v[0:1], off
.LBB169_15:                             ;   in Loop: Header=BB169_11 Depth=1
	s_or_b64 exec, exec, s[12:13]
	s_add_u32 s8, s8, s4
	v_fmac_f64_e32 v[32:33], v[56:57], v[18:19]
	v_fmac_f64_e32 v[40:41], v[56:57], v[22:23]
	;; [unrolled: 1-line block ×4, first 2 shown]
	s_addc_u32 s9, s9, s5
	s_add_i32 s22, s22, -1
	v_fmac_f64_e32 v[32:33], v[54:55], v[58:59]
	v_fmac_f64_e32 v[40:41], v[54:55], v[60:61]
	;; [unrolled: 1-line block ×4, first 2 shown]
	v_lshl_add_u64 v[28:29], v[28:29], 0, s[10:11]
	v_lshl_add_u64 v[30:31], v[30:31], 0, s[10:11]
	;; [unrolled: 1-line block ×3, first 2 shown]
	s_cmp_eq_u32 s22, 0
	v_lshl_add_u64 v[42:43], v[42:43], 0, s[10:11]
	s_cbranch_scc1 .LBB169_17
; %bb.16:                               ;   in Loop: Header=BB169_11 Depth=1
	v_mov_b64_e32 v[18:19], v[46:47]
	v_mov_b64_e32 v[22:23], v[48:49]
	;; [unrolled: 1-line block ×4, first 2 shown]
	s_branch .LBB169_11
.LBB169_17:
	v_lshl_or_b32 v0, v75, 9, v12
	ds_write2_b64 v0, v[32:33], v[40:41] offset1:16
	ds_write2_b64 v0, v[38:39], v[36:37] offset0:32 offset1:48
	s_waitcnt lgkmcnt(0)
	s_barrier
	s_and_b64 exec, exec, vcc
	s_cbranch_execz .LBB169_19
; %bb.18:
	v_lshlrev_b32_e32 v14, 4, v74
	v_add_u32_e32 v1, 1, v74
	v_and_or_b32 v1, v1, 15, v14
	v_lshlrev_b32_e32 v2, 3, v1
	v_add_u32_e32 v1, 2, v74
	v_or_b32_e32 v15, v10, v14
	v_and_or_b32 v1, v1, 15, v14
	v_lshlrev_b32_e32 v0, 3, v15
	v_lshlrev_b32_e32 v4, 3, v1
	v_add_u32_e32 v1, 3, v74
	v_and_or_b32 v6, v1, 15, v14
	ds_read_b64 v[0:1], v0
	ds_read_b64 v[2:3], v2
	;; [unrolled: 1-line block ×3, first 2 shown]
	v_lshlrev_b32_e32 v6, 3, v6
	ds_read_b64 v[6:7], v6
	s_waitcnt lgkmcnt(3)
	v_add_f64 v[0:1], v[0:1], 0
	s_waitcnt lgkmcnt(2)
	v_add_f64 v[0:1], v[0:1], v[2:3]
	v_add_u32_e32 v3, 5, v74
	v_and_or_b32 v3, v3, 15, v14
	s_waitcnt lgkmcnt(1)
	v_add_f64 v[0:1], v[0:1], v[4:5]
	v_lshlrev_b32_e32 v4, 3, v3
	v_add_u32_e32 v3, 6, v74
	v_and_or_b32 v3, v3, 15, v14
	v_add_u32_e32 v2, 4, v74
	v_lshlrev_b32_e32 v10, 3, v3
	v_add_u32_e32 v3, 7, v74
	v_and_or_b32 v2, v2, 15, v14
	v_and_or_b32 v3, v3, 15, v14
	v_lshlrev_b32_e32 v2, 3, v2
	v_lshlrev_b32_e32 v12, 3, v3
	ds_read_b64 v[2:3], v2
	ds_read_b64 v[4:5], v4
	;; [unrolled: 1-line block ×4, first 2 shown]
	s_waitcnt lgkmcnt(4)
	v_add_f64 v[0:1], v[0:1], v[6:7]
	s_waitcnt lgkmcnt(3)
	v_add_f64 v[0:1], v[0:1], v[2:3]
	v_add_u32_e32 v3, 9, v74
	v_and_or_b32 v3, v3, 15, v14
	s_waitcnt lgkmcnt(2)
	v_add_f64 v[0:1], v[0:1], v[4:5]
	v_lshlrev_b32_e32 v4, 3, v3
	v_add_u32_e32 v3, 10, v74
	v_xor_b32_e32 v2, 8, v15
	v_and_or_b32 v3, v3, 15, v14
	v_lshlrev_b32_e32 v2, 3, v2
	v_lshlrev_b32_e32 v6, 3, v3
	v_add_u32_e32 v3, 11, v74
	s_waitcnt lgkmcnt(1)
	v_add_f64 v[0:1], v[0:1], v[10:11]
	v_and_or_b32 v10, v3, 15, v14
	ds_read_b64 v[2:3], v2
	ds_read_b64 v[4:5], v4
	;; [unrolled: 1-line block ×3, first 2 shown]
	s_waitcnt lgkmcnt(3)
	v_add_f64 v[0:1], v[0:1], v[12:13]
	v_lshlrev_b32_e32 v10, 3, v10
	s_waitcnt lgkmcnt(2)
	v_add_f64 v[0:1], v[0:1], v[2:3]
	v_add_u32_e32 v3, 13, v74
	v_and_or_b32 v3, v3, 15, v14
	s_waitcnt lgkmcnt(1)
	v_add_f64 v[0:1], v[0:1], v[4:5]
	v_lshlrev_b32_e32 v4, 3, v3
	v_add_u32_e32 v3, 14, v74
	ds_read_b64 v[10:11], v10
	v_and_or_b32 v3, v3, 15, v14
	s_waitcnt lgkmcnt(1)
	v_add_f64 v[0:1], v[0:1], v[6:7]
	v_add_u32_e32 v2, 12, v74
	v_lshlrev_b32_e32 v6, 3, v3
	v_add_u32_e32 v3, -1, v74
	v_and_or_b32 v2, v2, 15, v14
	v_and_or_b32 v3, v3, 15, v14
	v_lshlrev_b32_e32 v2, 3, v2
	v_lshlrev_b32_e32 v12, 3, v3
	ds_read_b64 v[2:3], v2
	ds_read_b64 v[4:5], v4
	;; [unrolled: 1-line block ×4, first 2 shown]
	s_waitcnt lgkmcnt(4)
	v_add_f64 v[0:1], v[0:1], v[10:11]
	s_waitcnt lgkmcnt(3)
	v_add_f64 v[0:1], v[0:1], v[2:3]
	v_mad_u64_u32 v[2:3], s[2:3], v74, s6, 0
	s_waitcnt lgkmcnt(2)
	v_add_f64 v[0:1], v[0:1], v[4:5]
	v_mov_b32_e32 v4, v3
	s_waitcnt lgkmcnt(1)
	v_add_f64 v[0:1], v[0:1], v[6:7]
	v_mad_u64_u32 v[4:5], s[2:3], v74, s7, v[4:5]
	s_waitcnt lgkmcnt(0)
	v_add_f64 v[0:1], v[0:1], v[12:13]
	v_mov_b32_e32 v3, v4
	v_lshl_add_u64 v[2:3], v[2:3], 3, s[0:1]
	v_mul_f64 v[0:1], v[8:9], v[0:1]
	global_atomic_add_f64 v[2:3], v[0:1], off
.LBB169_19:
	s_endpgm
	.section	.rodata,"a",@progbits
	.p2align	6, 0x0
	.amdhsa_kernel _ZL54rocblas_symv_kernel_lower_double_buffered_non_diagonalILi32ELi4ELi4E24rocblas_internal_val_ptrIdEPKPKdPKPdEvbiT2_lT3_lllSA_lllT4_llli
		.amdhsa_group_segment_fixed_size 6400
		.amdhsa_private_segment_fixed_size 0
		.amdhsa_kernarg_size 384
		.amdhsa_user_sgpr_count 2
		.amdhsa_user_sgpr_dispatch_ptr 0
		.amdhsa_user_sgpr_queue_ptr 0
		.amdhsa_user_sgpr_kernarg_segment_ptr 1
		.amdhsa_user_sgpr_dispatch_id 0
		.amdhsa_user_sgpr_kernarg_preload_length 0
		.amdhsa_user_sgpr_kernarg_preload_offset 0
		.amdhsa_user_sgpr_private_segment_size 0
		.amdhsa_uses_dynamic_stack 0
		.amdhsa_enable_private_segment 0
		.amdhsa_system_sgpr_workgroup_id_x 1
		.amdhsa_system_sgpr_workgroup_id_y 1
		.amdhsa_system_sgpr_workgroup_id_z 1
		.amdhsa_system_sgpr_workgroup_info 0
		.amdhsa_system_vgpr_workitem_id 1
		.amdhsa_next_free_vgpr 79
		.amdhsa_next_free_sgpr 28
		.amdhsa_accum_offset 80
		.amdhsa_reserve_vcc 1
		.amdhsa_float_round_mode_32 0
		.amdhsa_float_round_mode_16_64 0
		.amdhsa_float_denorm_mode_32 3
		.amdhsa_float_denorm_mode_16_64 3
		.amdhsa_dx10_clamp 1
		.amdhsa_ieee_mode 1
		.amdhsa_fp16_overflow 0
		.amdhsa_tg_split 0
		.amdhsa_exception_fp_ieee_invalid_op 0
		.amdhsa_exception_fp_denorm_src 0
		.amdhsa_exception_fp_ieee_div_zero 0
		.amdhsa_exception_fp_ieee_overflow 0
		.amdhsa_exception_fp_ieee_underflow 0
		.amdhsa_exception_fp_ieee_inexact 0
		.amdhsa_exception_int_div_zero 0
	.end_amdhsa_kernel
	.section	.text._ZL54rocblas_symv_kernel_lower_double_buffered_non_diagonalILi32ELi4ELi4E24rocblas_internal_val_ptrIdEPKPKdPKPdEvbiT2_lT3_lllSA_lllT4_llli,"axG",@progbits,_ZL54rocblas_symv_kernel_lower_double_buffered_non_diagonalILi32ELi4ELi4E24rocblas_internal_val_ptrIdEPKPKdPKPdEvbiT2_lT3_lllSA_lllT4_llli,comdat
.Lfunc_end169:
	.size	_ZL54rocblas_symv_kernel_lower_double_buffered_non_diagonalILi32ELi4ELi4E24rocblas_internal_val_ptrIdEPKPKdPKPdEvbiT2_lT3_lllSA_lllT4_llli, .Lfunc_end169-_ZL54rocblas_symv_kernel_lower_double_buffered_non_diagonalILi32ELi4ELi4E24rocblas_internal_val_ptrIdEPKPKdPKPdEvbiT2_lT3_lllSA_lllT4_llli
                                        ; -- End function
	.section	.AMDGPU.csdata,"",@progbits
; Kernel info:
; codeLenInByte = 2368
; NumSgprs: 34
; NumVgprs: 79
; NumAgprs: 0
; TotalNumVgprs: 79
; ScratchSize: 0
; MemoryBound: 0
; FloatMode: 240
; IeeeMode: 1
; LDSByteSize: 6400 bytes/workgroup (compile time only)
; SGPRBlocks: 4
; VGPRBlocks: 9
; NumSGPRsForWavesPerEU: 34
; NumVGPRsForWavesPerEU: 79
; AccumOffset: 80
; Occupancy: 5
; WaveLimiterHint : 1
; COMPUTE_PGM_RSRC2:SCRATCH_EN: 0
; COMPUTE_PGM_RSRC2:USER_SGPR: 2
; COMPUTE_PGM_RSRC2:TRAP_HANDLER: 0
; COMPUTE_PGM_RSRC2:TGID_X_EN: 1
; COMPUTE_PGM_RSRC2:TGID_Y_EN: 1
; COMPUTE_PGM_RSRC2:TGID_Z_EN: 1
; COMPUTE_PGM_RSRC2:TIDIG_COMP_CNT: 1
; COMPUTE_PGM_RSRC3_GFX90A:ACCUM_OFFSET: 19
; COMPUTE_PGM_RSRC3_GFX90A:TG_SPLIT: 0
	.section	.text._ZL58rocblas_symv_kernel_lower_double_buffered_diagonal_genericILi32ELi4E24rocblas_internal_val_ptrIdEPKPKdPKPdEvbiT1_lT2_lllSA_lllS9_lT3_lllii,"axG",@progbits,_ZL58rocblas_symv_kernel_lower_double_buffered_diagonal_genericILi32ELi4E24rocblas_internal_val_ptrIdEPKPKdPKPdEvbiT1_lT2_lllSA_lllS9_lT3_lllii,comdat
	.globl	_ZL58rocblas_symv_kernel_lower_double_buffered_diagonal_genericILi32ELi4E24rocblas_internal_val_ptrIdEPKPKdPKPdEvbiT1_lT2_lllSA_lllS9_lT3_lllii ; -- Begin function _ZL58rocblas_symv_kernel_lower_double_buffered_diagonal_genericILi32ELi4E24rocblas_internal_val_ptrIdEPKPKdPKPdEvbiT1_lT2_lllSA_lllS9_lT3_lllii
	.p2align	8
	.type	_ZL58rocblas_symv_kernel_lower_double_buffered_diagonal_genericILi32ELi4E24rocblas_internal_val_ptrIdEPKPKdPKPdEvbiT1_lT2_lllSA_lllS9_lT3_lllii,@function
_ZL58rocblas_symv_kernel_lower_double_buffered_diagonal_genericILi32ELi4E24rocblas_internal_val_ptrIdEPKPKdPKPdEvbiT1_lT2_lllSA_lllS9_lT3_lllii: ; @_ZL58rocblas_symv_kernel_lower_double_buffered_diagonal_genericILi32ELi4E24rocblas_internal_val_ptrIdEPKPKdPKPdEvbiT1_lT2_lllSA_lllS9_lT3_lllii
; %bb.0:
	s_mov_b32 s18, s3
	s_load_dword s3, s[0:1], 0x0
	s_load_dwordx8 s[4:11], s[0:1], 0x8
	s_load_dwordx2 s[16:17], s[0:1], 0x28
	s_load_dwordx4 s[12:15], s[0:1], 0x58
	s_waitcnt lgkmcnt(0)
	s_bitcmp1_b32 s3, 0
	s_cselect_b64 s[22:23], -1, 0
	s_xor_b64 s[20:21], s[22:23], -1
	s_and_b64 vcc, exec, s[22:23]
	v_mov_b64_e32 v[4:5], s[4:5]
	s_cbranch_vccnz .LBB170_2
; %bb.1:
	s_mul_i32 s3, s18, s7
	s_mul_hi_u32 s7, s18, s6
	s_add_i32 s7, s7, s3
	s_mul_i32 s6, s18, s6
	s_lshl_b64 s[6:7], s[6:7], 3
	s_add_u32 s4, s4, s6
	s_addc_u32 s5, s5, s7
	v_mov_b64_e32 v[2:3], s[4:5]
	flat_load_dwordx2 v[4:5], v[2:3]
.LBB170_2:
	s_andn2_b64 vcc, exec, s[20:21]
	v_mov_b64_e32 v[2:3], s[12:13]
	s_cbranch_vccnz .LBB170_4
; %bb.3:
	s_mul_i32 s3, s18, s15
	s_mul_hi_u32 s4, s18, s14
	s_add_i32 s5, s4, s3
	s_mul_i32 s4, s18, s14
	s_lshl_b64 s[4:5], s[4:5], 3
	s_add_u32 s4, s12, s4
	s_addc_u32 s5, s13, s5
	v_mov_b64_e32 v[2:3], s[4:5]
	flat_load_dwordx2 v[2:3], v[2:3]
.LBB170_4:
	s_waitcnt vmcnt(0) lgkmcnt(0)
	v_cmp_neq_f64_e32 vcc, 0, v[4:5]
	v_cmp_neq_f64_e64 s[4:5], 1.0, v[2:3]
	s_or_b64 s[4:5], vcc, s[4:5]
	s_and_saveexec_b64 s[6:7], s[4:5]
	s_cbranch_execz .LBB170_74
; %bb.5:
	v_cmp_neq_f64_e64 s[4:5], 0, v[4:5]
	v_cmp_eq_f64_e32 vcc, 0, v[4:5]
                                        ; implicit-def: $sgpr14_sgpr15
	s_and_saveexec_b64 s[6:7], vcc
	s_xor_b64 s[6:7], exec, s[6:7]
; %bb.6:
	s_mov_b32 s19, 0
	s_mov_b64 s[14:15], 0
; %bb.7:
	s_or_saveexec_b64 s[12:13], s[6:7]
	s_load_dwordx2 s[6:7], s[0:1], 0x68
	v_mov_b64_e32 v[8:9], s[18:19]
	v_mov_b64_e32 v[10:11], s[14:15]
	s_xor_b64 exec, exec, s[12:13]
	s_cbranch_execz .LBB170_9
; %bb.8:
	s_mov_b32 s19, 0
	s_lshl_b64 s[14:15], s[18:19], 3
	s_add_u32 s8, s8, s14
	s_addc_u32 s9, s9, s15
	s_load_dwordx2 s[8:9], s[8:9], 0x0
	s_lshl_b64 s[10:11], s[10:11], 3
	v_mov_b64_e32 v[8:9], s[18:19]
	s_waitcnt lgkmcnt(0)
	s_add_u32 s8, s8, s10
	s_addc_u32 s9, s9, s11
	v_mov_b64_e32 v[10:11], s[8:9]
.LBB170_9:
	s_or_b64 exec, exec, s[12:13]
	s_load_dwordx4 s[8:11], s[0:1], 0x38
	s_load_dwordx2 s[12:13], s[0:1], 0x48
	v_mov_b64_e32 v[6:7], 0
	s_and_saveexec_b64 s[14:15], s[4:5]
	s_cbranch_execz .LBB170_11
; %bb.10:
	s_waitcnt lgkmcnt(0)
	v_mov_b32_e32 v6, s8
	v_mov_b32_e32 v7, s9
	v_lshl_add_u64 v[6:7], v[8:9], 3, v[6:7]
	global_load_dwordx2 v[6:7], v[6:7], off
	s_waitcnt vmcnt(0)
	v_lshl_add_u64 v[6:7], s[10:11], 3, v[6:7]
.LBB170_11:
	s_or_b64 exec, exec, s[14:15]
	s_waitcnt lgkmcnt(0)
	v_lshl_add_u64 v[8:9], v[8:9], 3, s[6:7]
	global_load_dwordx2 v[8:9], v[8:9], off
	s_load_dwordx4 s[4:7], s[0:1], 0x70
	s_load_dword s18, s[0:1], 0x88
	s_lshl_b32 s19, s2, 5
	s_ashr_i32 s20, s19, 31
	v_and_b32_e32 v22, 0x3ff, v0
	s_waitcnt lgkmcnt(0)
	s_mul_i32 s3, s19, s7
	s_mul_hi_u32 s8, s19, s6
	s_add_i32 s3, s8, s3
	s_mul_i32 s8, s20, s6
	s_add_i32 s9, s3, s8
	s_mul_i32 s8, s19, s6
	s_lshl_b64 s[4:5], s[4:5], 3
	s_lshl_b64 s[8:9], s[8:9], 3
	s_add_u32 s4, s8, s4
	s_addc_u32 s5, s9, s5
	v_bfe_u32 v23, v0, 10, 10
	s_waitcnt vmcnt(0)
	v_lshl_add_u64 v[0:1], s[4:5], 0, v[8:9]
	s_and_saveexec_b64 s[4:5], vcc
	s_xor_b64 s[4:5], exec, s[4:5]
	s_cbranch_execz .LBB170_18
; %bb.12:
	v_cmp_eq_u32_e32 vcc, 0, v23
	s_and_saveexec_b64 s[8:9], vcc
	s_cbranch_execz .LBB170_17
; %bb.13:
	v_cmp_gt_i32_e64 s[10:11], s18, v22
	v_cmp_le_i32_e32 vcc, s18, v22
	s_and_saveexec_b64 s[14:15], vcc
	s_cbranch_execz .LBB170_15
; %bb.14:
	s_load_dword s3, s[0:1], 0x90
	s_waitcnt lgkmcnt(0)
	s_add_i32 s3, s3, -1
	s_cmp_lt_u32 s2, s3
	s_cselect_b64 s[22:23], -1, 0
	s_andn2_b64 s[10:11], s[10:11], exec
	s_and_b64 s[22:23], s[22:23], exec
	s_or_b64 s[10:11], s[10:11], s[22:23]
.LBB170_15:
	s_or_b64 exec, exec, s[14:15]
	s_and_b64 exec, exec, s[10:11]
	s_cbranch_execz .LBB170_17
; %bb.16:
	v_mad_u64_u32 v[4:5], s[10:11], v22, s6, 0
	v_mov_b32_e32 v6, v5
	v_mad_u64_u32 v[6:7], s[10:11], v22, s7, v[6:7]
	v_mov_b32_e32 v5, v6
	v_lshl_add_u64 v[0:1], v[4:5], 3, v[0:1]
	global_load_dwordx2 v[4:5], v[0:1], off
	s_waitcnt vmcnt(0)
	v_mul_f64 v[2:3], v[2:3], v[4:5]
	global_store_dwordx2 v[0:1], v[2:3], off
.LBB170_17:
	s_or_b64 exec, exec, s[8:9]
                                        ; implicit-def: $vgpr23
                                        ; implicit-def: $vgpr22
                                        ; implicit-def: $vgpr4_vgpr5
                                        ; implicit-def: $vgpr2_vgpr3
                                        ; implicit-def: $vgpr0_vgpr1
                                        ; implicit-def: $vgpr10_vgpr11
                                        ; implicit-def: $vgpr6_vgpr7
.LBB170_18:
	s_andn2_saveexec_b64 s[4:5], s[4:5]
	s_cbranch_execz .LBB170_74
; %bb.19:
	s_mul_i32 s3, s19, s13
	s_mul_hi_u32 s4, s19, s12
	s_add_i32 s3, s4, s3
	s_load_dword s4, s[0:1], 0x90
	s_mul_i32 s0, s20, s12
	s_add_i32 s1, s3, s0
	s_mul_i32 s0, s19, s12
	v_lshl_add_u64 v[8:9], s[0:1], 3, v[6:7]
	s_waitcnt lgkmcnt(0)
	s_add_i32 s4, s4, -1
	s_cmp_lg_u32 s2, s4
	s_cselect_b64 s[2:3], -1, 0
	v_cmp_eq_u32_e64 s[0:1], 0, v23
	s_and_b64 vcc, exec, s[2:3]
	s_cbranch_vccz .LBB170_25
; %bb.20:
	v_mov_b64_e32 v[6:7], 0
	s_and_saveexec_b64 s[4:5], s[0:1]
	s_cbranch_execz .LBB170_24
; %bb.21:
	v_mad_u64_u32 v[6:7], s[8:9], v22, s12, 0
	v_mov_b32_e32 v12, v7
	v_mad_u64_u32 v[12:13], s[8:9], v22, s13, v[12:13]
	v_mov_b32_e32 v7, v12
	v_lshl_add_u64 v[6:7], v[6:7], 3, v[8:9]
	flat_load_dwordx2 v[6:7], v[6:7]
	v_lshlrev_b32_e32 v12, 3, v22
	v_cmp_neq_f64_e32 vcc, 0, v[2:3]
	s_waitcnt vmcnt(0) lgkmcnt(0)
	ds_write_b64 v12, v[6:7] offset:10240
	v_mov_b64_e32 v[6:7], 0
	s_and_saveexec_b64 s[8:9], vcc
	s_cbranch_execz .LBB170_23
; %bb.22:
	v_mad_u64_u32 v[6:7], s[10:11], v22, s6, 0
	v_mov_b32_e32 v12, v7
	v_mad_u64_u32 v[12:13], s[10:11], v22, s7, v[12:13]
	v_mov_b32_e32 v7, v12
	v_lshl_add_u64 v[6:7], v[6:7], 3, v[0:1]
	global_load_dwordx2 v[6:7], v[6:7], off
	s_waitcnt vmcnt(0)
	v_mul_f64 v[6:7], v[2:3], v[6:7]
.LBB170_23:
	s_or_b64 exec, exec, s[8:9]
.LBB170_24:
	s_or_b64 exec, exec, s[4:5]
	s_cbranch_execz .LBB170_26
	s_branch .LBB170_35
.LBB170_25:
                                        ; implicit-def: $vgpr6_vgpr7
.LBB170_26:
	v_mov_b64_e32 v[6:7], 0
	s_and_saveexec_b64 s[4:5], s[0:1]
	s_cbranch_execz .LBB170_34
; %bb.27:
	v_cmp_le_i32_e32 vcc, s18, v22
                                        ; implicit-def: $sgpr10_sgpr11
	s_and_saveexec_b64 s[8:9], vcc
	s_xor_b64 s[8:9], exec, s[8:9]
	s_cbranch_execz .LBB170_29
; %bb.28:
	v_mov_b32_e32 v6, 0
	v_lshlrev_b32_e32 v8, 3, v22
	v_mov_b32_e32 v7, v6
	ds_write_b64 v8, v[6:7] offset:10240
	s_mov_b64 s[10:11], 0
                                        ; implicit-def: $vgpr8_vgpr9
.LBB170_29:
	s_or_saveexec_b64 s[8:9], s[8:9]
	v_mov_b64_e32 v[6:7], s[10:11]
	s_xor_b64 exec, exec, s[8:9]
	s_cbranch_execz .LBB170_33
; %bb.30:
	v_mad_u64_u32 v[6:7], s[10:11], v22, s12, 0
	v_mov_b32_e32 v12, v7
	v_mad_u64_u32 v[12:13], s[10:11], v22, s13, v[12:13]
	v_mov_b32_e32 v7, v12
	v_lshl_add_u64 v[6:7], v[6:7], 3, v[8:9]
	flat_load_dwordx2 v[6:7], v[6:7]
	v_lshlrev_b32_e32 v8, 3, v22
	v_cmp_neq_f64_e32 vcc, 0, v[2:3]
	s_waitcnt vmcnt(0) lgkmcnt(0)
	ds_write_b64 v8, v[6:7] offset:10240
	v_mov_b64_e32 v[6:7], 0
	s_and_saveexec_b64 s[10:11], vcc
	s_cbranch_execz .LBB170_32
; %bb.31:
	v_mad_u64_u32 v[6:7], s[12:13], v22, s6, 0
	v_mov_b32_e32 v8, v7
	v_mad_u64_u32 v[8:9], s[12:13], v22, s7, v[8:9]
	v_mov_b32_e32 v7, v8
	v_lshl_add_u64 v[6:7], v[6:7], 3, v[0:1]
	global_load_dwordx2 v[6:7], v[6:7], off
	s_waitcnt vmcnt(0)
	v_mul_f64 v[6:7], v[2:3], v[6:7]
.LBB170_32:
	s_or_b64 exec, exec, s[10:11]
.LBB170_33:
	s_or_b64 exec, exec, s[8:9]
.LBB170_34:
	s_or_b64 exec, exec, s[4:5]
.LBB170_35:
	s_add_u32 s4, s16, 1
	s_addc_u32 s5, s17, 0
	s_mul_i32 s8, s4, s20
	s_mul_hi_u32 s9, s4, s19
	s_add_i32 s8, s9, s8
	s_mul_i32 s5, s5, s19
	s_add_i32 s9, s8, s5
	s_mul_i32 s8, s4, s19
	v_mad_u64_u32 v[14:15], s[4:5], v23, s16, 0
	v_mov_b32_e32 v9, 0
	v_mov_b32_e32 v8, v15
	v_mad_u64_u32 v[16:17], s[4:5], v23, s17, v[8:9]
	v_lshl_add_u64 v[12:13], s[8:9], 3, v[10:11]
	v_mov_b32_e32 v15, v16
	v_lshl_add_u64 v[14:15], v[14:15], 3, v[12:13]
	v_lshlrev_b32_e32 v8, 3, v22
	v_lshl_add_u32 v25, v23, 5, v22
	v_lshl_add_u64 v[12:13], v[14:15], 0, v[8:9]
	s_andn2_b64 vcc, exec, s[2:3]
	v_lshlrev_b32_e32 v24, 3, v25
	s_cbranch_vccnz .LBB170_37
; %bb.36:
	flat_load_dwordx2 v[16:17], v[12:13]
	v_lshlrev_b32_e32 v26, 3, v25
	s_lshl_b64 s[4:5], s[16:17], 5
	v_lshl_add_u64 v[18:19], v[12:13], 0, s[4:5]
	v_mov_b32_e32 v9, 0x60
	s_mul_i32 s10, s17, 0x60
	s_mul_i32 s12, s17, 0xe0
	s_waitcnt vmcnt(0) lgkmcnt(0)
	ds_write_b64 v26, v[16:17]
	flat_load_dwordx2 v[16:17], v[18:19]
	v_lshl_add_u64 v[18:19], v[18:19], 0, s[4:5]
	v_mad_u64_u32 v[20:21], s[4:5], s16, v9, v[12:13]
	v_add_u32_e32 v21, s10, v21
	s_lshl_b64 s[4:5], s[16:17], 6
	v_mov_b32_e32 v9, 0xa0
	s_mul_i32 s10, s17, 0xa0
	s_waitcnt vmcnt(0) lgkmcnt(0)
	ds_write_b64 v26, v[16:17] offset:1024
	flat_load_dwordx2 v[16:17], v[18:19]
	v_lshl_add_u64 v[18:19], v[18:19], 0, s[4:5]
	s_waitcnt vmcnt(0) lgkmcnt(0)
	ds_write_b64 v26, v[16:17] offset:2048
	flat_load_dwordx2 v[16:17], v[20:21]
	s_waitcnt vmcnt(0) lgkmcnt(0)
	ds_write_b64 v26, v[16:17] offset:3072
	flat_load_dwordx2 v[16:17], v[18:19]
	v_mad_u64_u32 v[18:19], s[4:5], s16, v9, v[12:13]
	v_add_u32_e32 v19, s10, v19
	v_mov_b32_e32 v9, 0xc0
	s_mul_i32 s10, s17, 0xc0
	s_waitcnt vmcnt(0) lgkmcnt(0)
	ds_write_b64 v26, v[16:17] offset:4096
	flat_load_dwordx2 v[16:17], v[18:19]
	v_mad_u64_u32 v[18:19], s[4:5], s16, v9, v[12:13]
	v_add_u32_e32 v19, s10, v19
	v_add_u32_e32 v9, 0x380, v25
	s_waitcnt vmcnt(0) lgkmcnt(0)
	ds_write_b64 v26, v[16:17] offset:5120
	flat_load_dwordx2 v[18:19], v[18:19]
	v_mov_b32_e32 v16, 0xe0
	v_mad_u64_u32 v[16:17], s[4:5], s16, v16, v[12:13]
	v_add_u32_e32 v17, s12, v17
	s_mov_b64 s[4:5], -1
	s_waitcnt vmcnt(0) lgkmcnt(0)
	ds_write_b64 v26, v[18:19] offset:6144
	s_cbranch_execz .LBB170_38
	s_branch .LBB170_50
.LBB170_37:
	s_mov_b64 s[4:5], 0
                                        ; implicit-def: $vgpr16_vgpr17
                                        ; implicit-def: $vgpr9
.LBB170_38:
	s_mov_b32 s12, 0
	s_mov_b32 s13, s12
	v_mov_b64_e32 v[16:17], s[12:13]
	v_cmp_gt_i32_e32 vcc, s18, v22
	ds_write2st64_b64 v24, v[16:17], v[16:17] offset1:2
	ds_write2st64_b64 v24, v[16:17], v[16:17] offset0:4 offset1:6
	ds_write2st64_b64 v24, v[16:17], v[16:17] offset0:8 offset1:10
	;; [unrolled: 1-line block ×3, first 2 shown]
                                        ; implicit-def: $vgpr16_vgpr17
                                        ; implicit-def: $vgpr9
	s_and_saveexec_b64 s[10:11], vcc
	s_cbranch_execz .LBB170_49
; %bb.39:
	s_cmp_lt_u32 s18, 4
	s_cbranch_scc1 .LBB170_46
; %bb.40:
	s_lshr_b32 s12, s18, 2
	s_add_i32 s13, s12, -1
	s_cmp_lt_u32 s13, 3
	s_mov_b32 s13, 0
	s_cbranch_scc1 .LBB170_43
; %bb.41:
	s_lshl_b64 s[14:15], s[8:9], 3
	v_lshlrev_b32_e32 v28, 3, v23
	v_add_u32_e32 v19, 0x60, v28
	v_mov_b64_e32 v[20:21], s[14:15]
	v_mad_u64_u32 v[16:17], s[14:15], s16, v19, v[20:21]
	v_mov_b32_e32 v18, v17
	v_mad_u64_u32 v[18:19], s[14:15], s17, v19, v[18:19]
	v_add_u32_e32 v27, 64, v28
	v_mov_b32_e32 v17, v18
	v_mad_u64_u32 v[18:19], s[20:21], s16, v27, v[20:21]
	v_mov_b32_e32 v26, v19
	v_mad_u64_u32 v[26:27], s[20:21], s17, v27, v[26:27]
	v_add_u32_e32 v27, 32, v28
	v_mad_u64_u32 v[20:21], s[20:21], s16, v27, v[20:21]
	v_mov_b32_e32 v19, v26
	v_mov_b32_e32 v26, v21
	v_mad_u64_u32 v[26:27], s[20:21], s17, v27, v[26:27]
	v_mov_b32_e32 v21, v26
	s_and_b32 s13, s12, 0x3ffffffc
	v_mov_b32_e32 v9, 0
	v_lshl_add_u64 v[16:17], v[10:11], 0, v[16:17]
	s_lshl_b64 s[14:15], s[16:17], 7
	v_lshl_add_u64 v[18:19], v[10:11], 0, v[18:19]
	v_lshl_add_u64 v[20:21], v[10:11], 0, v[20:21]
	s_mov_b32 s19, 0
	v_mov_b32_e32 v26, v24
.LBB170_42:                             ; =>This Inner Loop Header: Depth=1
	v_lshl_add_u64 v[28:29], v[14:15], 0, v[8:9]
	flat_load_dwordx2 v[28:29], v[28:29]
	v_lshl_add_u64 v[30:31], v[20:21], 0, v[8:9]
	s_add_i32 s19, s19, 4
	v_lshl_add_u64 v[20:21], v[20:21], 0, s[14:15]
	v_lshl_add_u64 v[14:15], v[14:15], 0, s[14:15]
	s_cmp_lg_u32 s13, s19
	s_waitcnt vmcnt(0) lgkmcnt(0)
	ds_write_b64 v26, v[28:29]
	flat_load_dwordx2 v[28:29], v[30:31]
	v_lshl_add_u64 v[30:31], v[18:19], 0, v[8:9]
	v_lshl_add_u64 v[18:19], v[18:19], 0, s[14:15]
	s_waitcnt vmcnt(0) lgkmcnt(0)
	ds_write_b64 v26, v[28:29] offset:1024
	flat_load_dwordx2 v[28:29], v[30:31]
	v_lshl_add_u64 v[30:31], v[16:17], 0, v[8:9]
	v_lshl_add_u64 v[16:17], v[16:17], 0, s[14:15]
	s_waitcnt vmcnt(0) lgkmcnt(0)
	ds_write_b64 v26, v[28:29] offset:2048
	flat_load_dwordx2 v[28:29], v[30:31]
	s_waitcnt vmcnt(0) lgkmcnt(0)
	ds_write_b64 v26, v[28:29] offset:3072
	v_add_u32_e32 v26, 0x1000, v26
	s_cbranch_scc1 .LBB170_42
.LBB170_43:
	s_bfe_u32 s19, s18, 0x20002
	s_cmp_eq_u32 s19, 0
	s_mov_b32 s15, 0
	s_cbranch_scc1 .LBB170_46
; %bb.44:
	s_lshl_b32 s14, s13, 10
	v_lshlrev_b32_e32 v9, 8, v23
	v_add3_u32 v14, s14, v9, v8
	s_lshl_b64 s[8:9], s[8:9], 3
	v_lshlrev_b32_e32 v16, 3, v23
	v_mov_b32_e32 v17, 0
	s_lshl_b32 s14, s13, 2
	v_lshl_add_u64 v[18:19], s[14:15], 3, v[16:17]
	v_mov_b64_e32 v[20:21], s[8:9]
	v_mul_lo_u32 v9, s16, v19
	v_mul_lo_u32 v15, s17, v18
	v_mad_u64_u32 v[18:19], s[8:9], s16, v18, v[20:21]
	v_add3_u32 v19, v15, v19, v9
	v_mov_b32_e32 v9, v17
	v_lshl_add_u64 v[16:17], v[18:19], 0, v[8:9]
	v_lshl_add_u64 v[10:11], v[10:11], 0, v[16:17]
	s_lshl_b64 s[8:9], s[16:17], 5
.LBB170_45:                             ; =>This Inner Loop Header: Depth=1
	flat_load_dwordx2 v[16:17], v[10:11]
	s_add_i32 s19, s19, -1
	v_lshl_add_u64 v[10:11], v[10:11], 0, s[8:9]
	s_cmp_lg_u32 s19, 0
	s_waitcnt vmcnt(0) lgkmcnt(0)
	ds_write_b64 v14, v[16:17]
	v_add_u32_e32 v14, 0x400, v14
	s_cbranch_scc1 .LBB170_45
.LBB170_46:
	s_and_b32 s8, s18, 3
	v_cmp_gt_u32_e32 vcc, s8, v23
	s_mov_b64 s[14:15], s[4:5]
                                        ; implicit-def: $vgpr16_vgpr17
                                        ; implicit-def: $vgpr9
	s_and_saveexec_b64 s[8:9], vcc
; %bb.47:
	s_lshl_b32 s13, s12, 2
	s_mul_i32 s14, s13, s17
	s_mul_hi_u32 s15, s13, s16
	s_add_i32 s15, s15, s14
	s_mul_i32 s14, s13, s16
	v_lshl_add_u64 v[16:17], s[14:15], 3, v[12:13]
	v_lshl_add_u32 v9, s12, 7, v25
	s_or_b64 s[14:15], s[4:5], exec
; %bb.48:
	s_or_b64 exec, exec, s[8:9]
	s_andn2_b64 s[4:5], s[4:5], exec
	s_and_b64 s[8:9], s[14:15], exec
	s_or_b64 s[4:5], s[4:5], s[8:9]
.LBB170_49:
	s_or_b64 exec, exec, s[10:11]
.LBB170_50:
	s_and_saveexec_b64 s[8:9], s[4:5]
	s_cbranch_execz .LBB170_52
; %bb.51:
	flat_load_dwordx2 v[10:11], v[16:17]
	v_lshlrev_b32_e32 v9, 3, v9
	s_waitcnt vmcnt(0) lgkmcnt(0)
	ds_write_b64 v9, v[10:11]
.LBB170_52:
	s_or_b64 exec, exec, s[8:9]
	v_cmp_ge_u32_e32 vcc, v22, v23
	v_lshlrev_b32_e32 v10, 5, v22
	s_waitcnt lgkmcnt(0)
	s_barrier
	s_and_saveexec_b64 s[4:5], vcc
	s_xor_b64 s[4:5], exec, s[4:5]
; %bb.53:
	v_lshlrev_b32_e32 v10, 5, v22
; %bb.54:
	s_andn2_saveexec_b64 s[4:5], s[4:5]
	s_cbranch_execz .LBB170_56
; %bb.55:
	v_add_lshl_u32 v9, v10, v23, 3
	ds_read_b64 v[12:13], v9
	s_waitcnt lgkmcnt(0)
	ds_write_b64 v24, v[12:13]
.LBB170_56:
	s_or_b64 exec, exec, s[4:5]
	v_sub_u32_e32 v9, v22, v23
	v_sub_u32_e32 v11, 0, v9
	v_max_i32_e32 v12, v9, v11
	v_cmp_gt_u32_e32 vcc, 4, v12
	v_lshlrev_b32_e32 v9, 5, v23
	v_add_lshl_u32 v11, v10, v23, 3
	s_and_saveexec_b64 s[4:5], vcc
	s_cbranch_execnz .LBB170_75
; %bb.57:
	s_or_b64 exec, exec, s[4:5]
	v_cmp_gt_u32_e32 vcc, 8, v12
	s_and_saveexec_b64 s[4:5], vcc
	s_cbranch_execnz .LBB170_76
.LBB170_58:
	s_or_b64 exec, exec, s[4:5]
	v_cmp_gt_u32_e32 vcc, 12, v12
	s_and_saveexec_b64 s[4:5], vcc
	s_cbranch_execz .LBB170_60
.LBB170_59:
	ds_read_b64 v[14:15], v11 offset:96
	v_add_lshl_u32 v10, v9, v22, 3
	s_waitcnt lgkmcnt(0)
	ds_write_b64 v10, v[14:15] offset:3072
.LBB170_60:
	s_or_b64 exec, exec, s[4:5]
	v_add_u32_e32 v10, 16, v23
	v_cmp_gt_u32_e32 vcc, 16, v12
	v_lshlrev_b32_e32 v10, 5, v10
	s_and_saveexec_b64 s[4:5], vcc
	s_cbranch_execnz .LBB170_77
; %bb.61:
	s_or_b64 exec, exec, s[4:5]
	v_cmp_gt_u32_e32 vcc, 20, v12
	s_and_saveexec_b64 s[4:5], vcc
	s_cbranch_execnz .LBB170_78
.LBB170_62:
	s_or_b64 exec, exec, s[4:5]
	v_cmp_gt_u32_e32 vcc, 24, v12
	s_and_saveexec_b64 s[4:5], vcc
	s_cbranch_execz .LBB170_64
.LBB170_63:
	ds_read_b64 v[14:15], v11 offset:192
	s_waitcnt lgkmcnt(0)
	ds_write_b64 v24, v[14:15] offset:6144
.LBB170_64:
	s_or_b64 exec, exec, s[4:5]
	v_cmp_lt_u32_e32 vcc, 27, v12
	v_add_u32_e32 v13, 28, v23
                                        ; implicit-def: $vgpr12
	s_and_saveexec_b64 s[4:5], vcc
	s_xor_b64 s[4:5], exec, s[4:5]
; %bb.65:
	v_add_u32_e32 v13, 28, v23
	v_lshl_add_u32 v12, v13, 5, v22
                                        ; implicit-def: $vgpr11
; %bb.66:
	s_andn2_saveexec_b64 s[4:5], s[4:5]
	s_cbranch_execz .LBB170_68
; %bb.67:
	ds_read_b64 v[14:15], v11 offset:224
	v_lshl_add_u32 v12, v13, 5, v22
	v_lshlrev_b32_e32 v11, 3, v12
	s_waitcnt lgkmcnt(0)
	ds_write_b64 v11, v[14:15]
.LBB170_68:
	s_or_b64 exec, exec, s[4:5]
	v_lshlrev_b32_e32 v23, 3, v23
	v_add_u32_e32 v11, 0x2800, v23
	s_waitcnt lgkmcnt(0)
	s_barrier
	ds_read2_b64 v[14:17], v11 offset1:4
	v_add_lshl_u32 v9, v9, v22, 3
	ds_read_b64 v[26:27], v24
	ds_read2st64_b64 v[18:21], v9 offset0:2 offset1:4
	v_lshlrev_b32_e32 v13, 3, v13
	ds_read_b64 v[34:35], v13 offset:10240
	v_add_lshl_u32 v13, v10, v22, 3
	s_waitcnt lgkmcnt(2)
	v_fma_f64 v[36:37], v[26:27], v[14:15], 0
	s_waitcnt lgkmcnt(1)
	v_fmac_f64_e32 v[36:37], v[18:19], v[16:17]
	ds_read2_b64 v[14:17], v11 offset0:8 offset1:12
	ds_read2st64_b64 v[26:29], v9 offset0:6 offset1:10
	ds_read2_b64 v[30:33], v11 offset0:16 offset1:20
	v_lshlrev_b32_e32 v10, 3, v12
	ds_read_b64 v[10:11], v10
	ds_read_b64 v[12:13], v13
	ds_read_b64 v[18:19], v9 offset:6144
	ds_read_b64 v[38:39], v23 offset:10432
	s_waitcnt lgkmcnt(6)
	v_fmac_f64_e32 v[36:37], v[20:21], v[14:15]
	s_waitcnt lgkmcnt(5)
	v_fmac_f64_e32 v[36:37], v[26:27], v[16:17]
	;; [unrolled: 2-line block ×3, first 2 shown]
	v_fmac_f64_e32 v[36:37], v[28:29], v[32:33]
	s_waitcnt lgkmcnt(0)
	v_fmac_f64_e32 v[36:37], v[18:19], v[38:39]
	v_fmac_f64_e32 v[36:37], v[10:11], v[34:35]
	ds_write_b64 v24, v[36:37] offset:8192
	s_waitcnt lgkmcnt(0)
	s_barrier
	s_and_saveexec_b64 s[4:5], s[0:1]
	s_cbranch_execz .LBB170_74
; %bb.69:
	v_add_u32_e32 v12, 0x2000, v8
	ds_read2_b64 v[8:11], v12 offset1:32
	ds_read2_b64 v[12:15], v12 offset0:64 offset1:96
	v_cmp_neq_f64_e32 vcc, 0, v[2:3]
	s_mov_b64 s[0:1], -1
	s_waitcnt lgkmcnt(1)
	v_add_f64 v[8:9], v[8:9], 0
	v_add_f64 v[8:9], v[8:9], v[10:11]
	s_waitcnt lgkmcnt(0)
	v_add_f64 v[8:9], v[8:9], v[12:13]
	v_add_f64 v[8:9], v[8:9], v[14:15]
	v_mul_f64 v[10:11], v[4:5], v[8:9]
	v_fmac_f64_e32 v[6:7], v[4:5], v[8:9]
	v_cndmask_b32_e32 v3, v11, v7, vcc
	v_cndmask_b32_e32 v2, v10, v6, vcc
	s_and_b64 vcc, exec, s[2:3]
	s_cbranch_vccz .LBB170_71
; %bb.70:
	v_mad_u64_u32 v[4:5], s[0:1], v22, s6, 0
	v_mov_b32_e32 v6, v5
	v_mad_u64_u32 v[6:7], s[0:1], v22, s7, v[6:7]
	v_mov_b32_e32 v5, v6
	v_lshl_add_u64 v[4:5], v[4:5], 3, v[0:1]
	global_store_dwordx2 v[4:5], v[2:3], off
	s_mov_b64 s[0:1], 0
.LBB170_71:
	s_andn2_b64 vcc, exec, s[0:1]
	s_cbranch_vccnz .LBB170_74
; %bb.72:
	v_cmp_gt_i32_e32 vcc, s18, v22
	s_and_b64 exec, exec, vcc
	s_cbranch_execz .LBB170_74
; %bb.73:
	v_mad_u64_u32 v[4:5], s[0:1], v22, s6, 0
	v_mov_b32_e32 v6, v5
	v_mad_u64_u32 v[6:7], s[0:1], v22, s7, v[6:7]
	v_mov_b32_e32 v5, v6
	v_lshl_add_u64 v[0:1], v[4:5], 3, v[0:1]
	global_store_dwordx2 v[0:1], v[2:3], off
.LBB170_74:
	s_endpgm
.LBB170_75:
	ds_read_b64 v[14:15], v11 offset:32
	v_add_lshl_u32 v10, v9, v22, 3
	s_waitcnt lgkmcnt(0)
	ds_write_b64 v10, v[14:15] offset:1024
	s_or_b64 exec, exec, s[4:5]
	v_cmp_gt_u32_e32 vcc, 8, v12
	s_and_saveexec_b64 s[4:5], vcc
	s_cbranch_execz .LBB170_58
.LBB170_76:
	ds_read_b64 v[14:15], v11 offset:64
	v_add_lshl_u32 v10, v9, v22, 3
	s_waitcnt lgkmcnt(0)
	ds_write_b64 v10, v[14:15] offset:2048
	s_or_b64 exec, exec, s[4:5]
	v_cmp_gt_u32_e32 vcc, 12, v12
	s_and_saveexec_b64 s[4:5], vcc
	s_cbranch_execnz .LBB170_59
	s_branch .LBB170_60
.LBB170_77:
	ds_read_b64 v[14:15], v11 offset:128
	v_add_lshl_u32 v13, v10, v22, 3
	s_waitcnt lgkmcnt(0)
	ds_write_b64 v13, v[14:15]
	s_or_b64 exec, exec, s[4:5]
	v_cmp_gt_u32_e32 vcc, 20, v12
	s_and_saveexec_b64 s[4:5], vcc
	s_cbranch_execz .LBB170_62
.LBB170_78:
	ds_read_b64 v[14:15], v11 offset:160
	s_waitcnt lgkmcnt(0)
	ds_write_b64 v24, v[14:15] offset:5120
	s_or_b64 exec, exec, s[4:5]
	v_cmp_gt_u32_e32 vcc, 24, v12
	s_and_saveexec_b64 s[4:5], vcc
	s_cbranch_execnz .LBB170_63
	s_branch .LBB170_64
	.section	.rodata,"a",@progbits
	.p2align	6, 0x0
	.amdhsa_kernel _ZL58rocblas_symv_kernel_lower_double_buffered_diagonal_genericILi32ELi4E24rocblas_internal_val_ptrIdEPKPKdPKPdEvbiT1_lT2_lllSA_lllS9_lT3_lllii
		.amdhsa_group_segment_fixed_size 10496
		.amdhsa_private_segment_fixed_size 0
		.amdhsa_kernarg_size 400
		.amdhsa_user_sgpr_count 2
		.amdhsa_user_sgpr_dispatch_ptr 0
		.amdhsa_user_sgpr_queue_ptr 0
		.amdhsa_user_sgpr_kernarg_segment_ptr 1
		.amdhsa_user_sgpr_dispatch_id 0
		.amdhsa_user_sgpr_kernarg_preload_length 0
		.amdhsa_user_sgpr_kernarg_preload_offset 0
		.amdhsa_user_sgpr_private_segment_size 0
		.amdhsa_uses_dynamic_stack 0
		.amdhsa_enable_private_segment 0
		.amdhsa_system_sgpr_workgroup_id_x 1
		.amdhsa_system_sgpr_workgroup_id_y 0
		.amdhsa_system_sgpr_workgroup_id_z 1
		.amdhsa_system_sgpr_workgroup_info 0
		.amdhsa_system_vgpr_workitem_id 1
		.amdhsa_next_free_vgpr 40
		.amdhsa_next_free_sgpr 24
		.amdhsa_accum_offset 40
		.amdhsa_reserve_vcc 1
		.amdhsa_float_round_mode_32 0
		.amdhsa_float_round_mode_16_64 0
		.amdhsa_float_denorm_mode_32 3
		.amdhsa_float_denorm_mode_16_64 3
		.amdhsa_dx10_clamp 1
		.amdhsa_ieee_mode 1
		.amdhsa_fp16_overflow 0
		.amdhsa_tg_split 0
		.amdhsa_exception_fp_ieee_invalid_op 0
		.amdhsa_exception_fp_denorm_src 0
		.amdhsa_exception_fp_ieee_div_zero 0
		.amdhsa_exception_fp_ieee_overflow 0
		.amdhsa_exception_fp_ieee_underflow 0
		.amdhsa_exception_fp_ieee_inexact 0
		.amdhsa_exception_int_div_zero 0
	.end_amdhsa_kernel
	.section	.text._ZL58rocblas_symv_kernel_lower_double_buffered_diagonal_genericILi32ELi4E24rocblas_internal_val_ptrIdEPKPKdPKPdEvbiT1_lT2_lllSA_lllS9_lT3_lllii,"axG",@progbits,_ZL58rocblas_symv_kernel_lower_double_buffered_diagonal_genericILi32ELi4E24rocblas_internal_val_ptrIdEPKPKdPKPdEvbiT1_lT2_lllSA_lllS9_lT3_lllii,comdat
.Lfunc_end170:
	.size	_ZL58rocblas_symv_kernel_lower_double_buffered_diagonal_genericILi32ELi4E24rocblas_internal_val_ptrIdEPKPKdPKPdEvbiT1_lT2_lllSA_lllS9_lT3_lllii, .Lfunc_end170-_ZL58rocblas_symv_kernel_lower_double_buffered_diagonal_genericILi32ELi4E24rocblas_internal_val_ptrIdEPKPKdPKPdEvbiT1_lT2_lllSA_lllS9_lT3_lllii
                                        ; -- End function
	.section	.AMDGPU.csdata,"",@progbits
; Kernel info:
; codeLenInByte = 3084
; NumSgprs: 30
; NumVgprs: 40
; NumAgprs: 0
; TotalNumVgprs: 40
; ScratchSize: 0
; MemoryBound: 0
; FloatMode: 240
; IeeeMode: 1
; LDSByteSize: 10496 bytes/workgroup (compile time only)
; SGPRBlocks: 3
; VGPRBlocks: 4
; NumSGPRsForWavesPerEU: 30
; NumVGPRsForWavesPerEU: 40
; AccumOffset: 40
; Occupancy: 3
; WaveLimiterHint : 1
; COMPUTE_PGM_RSRC2:SCRATCH_EN: 0
; COMPUTE_PGM_RSRC2:USER_SGPR: 2
; COMPUTE_PGM_RSRC2:TRAP_HANDLER: 0
; COMPUTE_PGM_RSRC2:TGID_X_EN: 1
; COMPUTE_PGM_RSRC2:TGID_Y_EN: 0
; COMPUTE_PGM_RSRC2:TGID_Z_EN: 1
; COMPUTE_PGM_RSRC2:TIDIG_COMP_CNT: 1
; COMPUTE_PGM_RSRC3_GFX90A:ACCUM_OFFSET: 9
; COMPUTE_PGM_RSRC3_GFX90A:TG_SPLIT: 0
	.section	.text._ZL62rocblas_symv_kernel_lower_double_buffered_non_diagonal_genericILi32ELi4ELi4E24rocblas_internal_val_ptrIdEPKPKdPKPdEvbiT2_lT3_lllSA_lllT4_lllii,"axG",@progbits,_ZL62rocblas_symv_kernel_lower_double_buffered_non_diagonal_genericILi32ELi4ELi4E24rocblas_internal_val_ptrIdEPKPKdPKPdEvbiT2_lT3_lllSA_lllT4_lllii,comdat
	.globl	_ZL62rocblas_symv_kernel_lower_double_buffered_non_diagonal_genericILi32ELi4ELi4E24rocblas_internal_val_ptrIdEPKPKdPKPdEvbiT2_lT3_lllSA_lllT4_lllii ; -- Begin function _ZL62rocblas_symv_kernel_lower_double_buffered_non_diagonal_genericILi32ELi4ELi4E24rocblas_internal_val_ptrIdEPKPKdPKPdEvbiT2_lT3_lllSA_lllT4_lllii
	.p2align	8
	.type	_ZL62rocblas_symv_kernel_lower_double_buffered_non_diagonal_genericILi32ELi4ELi4E24rocblas_internal_val_ptrIdEPKPKdPKPdEvbiT2_lT3_lllSA_lllT4_lllii,@function
_ZL62rocblas_symv_kernel_lower_double_buffered_non_diagonal_genericILi32ELi4ELi4E24rocblas_internal_val_ptrIdEPKPKdPKPdEvbiT2_lT3_lllSA_lllT4_lllii: ; @_ZL62rocblas_symv_kernel_lower_double_buffered_non_diagonal_genericILi32ELi4ELi4E24rocblas_internal_val_ptrIdEPKPKdPKPdEvbiT2_lT3_lllSA_lllT4_lllii
; %bb.0:
	s_load_dword s5, s[0:1], 0x0
	s_load_dwordx8 s[8:15], s[0:1], 0x8
	s_load_dwordx2 s[6:7], s[0:1], 0x28
	s_waitcnt lgkmcnt(0)
	s_bitcmp1_b32 s5, 0
	s_cselect_b64 s[16:17], -1, 0
	s_and_b64 vcc, exec, s[16:17]
	v_mov_b64_e32 v[8:9], s[8:9]
	s_cbranch_vccnz .LBB171_2
; %bb.1:
	s_mul_i32 s5, s4, s11
	s_mul_hi_u32 s11, s4, s10
	s_add_i32 s11, s11, s5
	s_mul_i32 s10, s4, s10
	s_lshl_b64 s[10:11], s[10:11], 3
	s_add_u32 s8, s8, s10
	s_addc_u32 s9, s9, s11
	v_mov_b64_e32 v[2:3], s[8:9]
	flat_load_dwordx2 v[8:9], v[2:3]
.LBB171_2:
	s_waitcnt vmcnt(0) lgkmcnt(0)
	v_cmp_neq_f64_e32 vcc, 0, v[8:9]
	s_and_saveexec_b64 s[8:9], vcc
	s_cbranch_execz .LBB171_31
; %bb.3:
	s_load_dwordx2 s[8:9], s[0:1], 0x80
	s_waitcnt lgkmcnt(0)
	v_cvt_f32_u32_e32 v1, s9
	s_add_i32 s26, s8, -1
	s_cmp_eq_u32 s2, s26
	v_rcp_iflag_f32_e32 v1, v1
	s_nop 0
	v_mul_f32_e32 v1, 0x4f7ffffe, v1
	v_cvt_u32_f32_e32 v1, v1
	s_nop 0
	v_readfirstlane_b32 s10, v1
	s_cbranch_scc1 .LBB171_31
; %bb.4:
	s_sub_i32 s11, 0, s9
	s_not_b32 s5, s2
	s_mul_i32 s11, s11, s10
	s_add_i32 s26, s26, s5
	s_mov_b32 s5, 0
	s_mul_hi_u32 s11, s10, s11
	s_load_dwordx4 s[20:23], s[0:1], 0x38
	s_load_dwordx2 s[16:17], s[0:1], 0x48
	s_add_i32 s10, s10, s11
	s_lshl_b64 s[4:5], s[4:5], 3
	s_add_u32 s12, s12, s4
	s_addc_u32 s13, s13, s5
	s_load_dwordx2 s[18:19], s[0:1], 0x58
	s_mul_hi_u32 s27, s26, s10
	s_waitcnt lgkmcnt(0)
	s_add_u32 s10, s20, s4
	s_addc_u32 s11, s21, s5
	s_load_dwordx2 s[10:11], s[10:11], 0x0
	s_add_u32 s24, s18, s4
	s_addc_u32 s25, s19, s5
	s_lshl_b64 s[4:5], s[22:23], 3
	v_and_b32_e32 v76, 0x3ff, v0
	s_waitcnt lgkmcnt(0)
	s_add_u32 s18, s10, s4
	s_addc_u32 s19, s11, s5
	s_lshl_b32 s22, s2, 5
	s_ashr_i32 s23, s22, 31
	s_mul_i32 s4, s22, s17
	s_mul_hi_u32 s5, s22, s16
	s_add_i32 s4, s5, s4
	s_mul_i32 s5, s23, s16
	s_add_i32 s5, s4, s5
	s_mul_i32 s4, s22, s16
	s_lshl_b64 s[4:5], s[4:5], 3
	v_bfe_u32 v0, v0, 10, 10
	s_add_u32 s10, s18, s4
	s_addc_u32 s11, s19, s5
	v_cmp_eq_u32_e64 s[4:5], 0, v0
	s_and_saveexec_b64 s[20:21], s[4:5]
	s_cbranch_execz .LBB171_6
; %bb.5:
	v_mad_u64_u32 v[2:3], s[28:29], v76, s16, 0
	v_mov_b32_e32 v4, v3
	v_mad_u64_u32 v[4:5], s[28:29], v76, s17, v[4:5]
	v_mov_b32_e32 v3, v4
	v_lshl_add_u64 v[2:3], v[2:3], 3, s[10:11]
	global_load_dwordx2 v[2:3], v[2:3], off
	v_lshlrev_b32_e32 v1, 3, v76
	s_waitcnt vmcnt(0)
	ds_write_b64 v1, v[2:3] offset:6144
.LBB171_6:
	s_or_b64 exec, exec, s[20:21]
	s_mul_i32 s20, s27, s9
	s_sub_i32 s20, s26, s20
	s_add_i32 s21, s27, 1
	s_sub_i32 s28, s20, s9
	s_cmp_ge_u32 s20, s9
	s_cselect_b32 s21, s21, s27
	s_cselect_b32 s20, s28, s20
	s_add_i32 s27, s21, 1
	s_cmp_ge_u32 s20, s9
	s_cselect_b32 s27, s27, s21
	s_add_i32 s28, s9, -1
	s_cmp_eq_u32 s3, s28
	s_cselect_b64 s[20:21], -1, 0
	s_cmp_lg_u32 s3, s28
	s_mov_b32 s30, s27
	s_cbranch_scc1 .LBB171_8
; %bb.7:
	s_mul_i32 s9, s27, s9
	s_sub_i32 s9, s26, s9
	s_add_i32 s30, s9, s27
.LBB171_8:
	s_cmp_lg_u32 s3, s28
	s_cselect_b64 s[28:29], -1, 0
	s_cmp_eq_u32 s30, 0
	s_cselect_b64 s[34:35], -1, 0
	s_and_b64 s[28:29], s[28:29], s[34:35]
	s_and_b64 vcc, exec, s[28:29]
	s_cbranch_vccnz .LBB171_31
; %bb.9:
	s_load_dwordx2 s[34:35], s[12:13], 0x0
	s_load_dwordx2 s[28:29], s[24:25], 0x0
	s_mul_i32 s3, s3, s27
	s_lshl_b32 s26, s3, 5
	s_ashr_i32 s27, s26, 31
	s_lshl_b64 s[12:13], s[14:15], 3
	s_waitcnt lgkmcnt(0)
	s_add_u32 s3, s34, s12
	s_addc_u32 s9, s35, s13
	s_add_u32 s12, s6, 1
	s_addc_u32 s13, s7, 0
	s_mul_i32 s14, s12, s23
	s_mul_hi_u32 s15, s12, s22
	s_add_i32 s14, s15, s14
	s_mul_i32 s13, s13, s22
	s_add_i32 s13, s14, s13
	s_mul_i32 s12, s12, s22
	s_lshl_b64 s[12:13], s[12:13], 3
	s_add_u32 s3, s3, s12
	s_addc_u32 s9, s9, s13
	s_lshl_b64 s[24:25], s[26:27], 3
	s_add_u32 s12, s3, s24
	s_addc_u32 s13, s9, s25
	s_mul_i32 s3, s26, s17
	s_mul_hi_u32 s9, s26, s16
	s_add_i32 s3, s9, s3
	s_mul_i32 s9, s27, s16
	s_add_i32 s15, s3, s9
	s_mul_i32 s14, s26, s16
	v_lshl_add_u32 v0, v0, 5, v76
	s_lshl_b64 s[14:15], s[14:15], 3
	v_lshrrev_b32_e32 v77, 4, v0
	s_add_u32 s31, s10, s14
	v_and_b32_e32 v10, 15, v76
	v_lshlrev_b32_e32 v78, 2, v77
	v_mov_b32_e32 v11, 0
	s_addc_u32 s33, s11, s15
	v_mad_u64_u32 v[12:13], s[10:11], v78, s6, v[10:11]
	v_mov_b32_e32 v0, v13
	v_mad_u64_u32 v[0:1], s[10:11], v78, s7, v[0:1]
	s_lshl_b64 s[14:15], s[16:17], 5
	s_add_i32 s3, s8, -2
	v_mov_b32_e32 v13, v0
	s_cmp_ge_u32 s2, s3
	s_barrier
	s_cbranch_scc1 .LBB171_11
; %bb.10:
	v_lshl_add_u64 v[0:1], v[12:13], 3, s[12:13]
	global_load_dwordx2 v[30:31], v[0:1], off offset:256
	v_lshl_add_u64 v[2:3], s[6:7], 3, v[0:1]
	v_lshl_add_u64 v[4:5], s[6:7], 4, v[0:1]
	v_mad_u64_u32 v[0:1], s[8:9], s6, 24, v[0:1]
	global_load_dwordx2 v[32:33], v[2:3], off offset:256
	global_load_dwordx2 v[34:35], v[4:5], off offset:256
	v_mov_b32_e32 v2, v1
	v_mad_u64_u32 v[2:3], s[8:9], s7, 24, v[2:3]
	v_mov_b32_e32 v1, v2
	global_load_dwordx2 v[36:37], v[0:1], off offset:256
	v_mad_u64_u32 v[0:1], s[8:9], v10, s16, 0
	s_lshl_b64 s[2:3], s[14:15], 3
	v_mov_b32_e32 v2, v1
	s_add_u32 s2, s31, s2
	v_mad_u64_u32 v[2:3], s[8:9], v10, s17, v[2:3]
	s_addc_u32 s3, s33, s3
	v_mov_b32_e32 v1, v2
	v_lshl_add_u64 v[0:1], v[0:1], 3, s[2:3]
	global_load_dwordx2 v[28:29], v[0:1], off
	s_branch .LBB171_12
.LBB171_11:
	v_mov_b64_e32 v[28:29], 0
                                        ; implicit-def: $vgpr30_vgpr31
                                        ; implicit-def: $vgpr32_vgpr33
                                        ; implicit-def: $vgpr34_vgpr35
                                        ; implicit-def: $vgpr36_vgpr37
.LBB171_12:
	s_load_dwordx4 s[8:11], s[0:1], 0x60
	v_mov_b64_e32 v[14:15], 0
	v_lshlrev_b32_e32 v11, 3, v10
	s_waitcnt lgkmcnt(0)
	s_lshl_b64 s[2:3], s[8:9], 3
	s_mul_i32 s8, s22, s11
	s_mul_hi_u32 s9, s22, s10
	s_add_u32 s28, s28, s2
	s_mul_i32 s34, s23, s10
	s_addc_u32 s29, s29, s3
	s_add_i32 s2, s9, s8
	s_add_i32 s3, s2, s34
	s_mul_i32 s2, s22, s10
	s_lshl_b64 s[2:3], s[2:3], 3
	s_add_u32 s2, s28, s2
	s_mul_i32 s8, s26, s11
	s_mul_hi_u32 s9, s26, s10
	s_addc_u32 s3, s29, s3
	s_add_i32 s8, s9, s8
	s_mul_i32 s9, s27, s10
	s_add_i32 s9, s8, s9
	s_mul_i32 s8, s26, s10
	s_lshl_b64 s[8:9], s[8:9], 3
	s_add_u32 s26, s2, s8
	s_addc_u32 s27, s3, s9
	s_cmp_lt_i32 s30, 1
	s_cbranch_scc1 .LBB171_20
; %bb.13:
	v_lshl_or_b32 v0, v77, 8, v11
	v_mad_u64_u32 v[38:39], s[28:29], v76, s10, 0
	v_add_u32_e32 v79, 0x1000, v0
	v_mov_b32_e32 v0, v39
	v_mad_u64_u32 v[0:1], s[28:29], v76, s11, v[0:1]
	v_mov_b32_e32 v39, v0
	v_mov_b32_e32 v0, 0x1800
	v_lshl_add_u32 v80, v78, 3, v0
	v_mov_b32_e32 v0, 0x1000
	v_lshl_add_u32 v81, v76, 3, v0
	v_mad_u64_u32 v[0:1], s[28:29], s6, v77, 0
	v_mov_b32_e32 v2, v1
	v_mad_u64_u32 v[2:3], s[28:29], s7, v77, v[2:3]
	v_mov_b32_e32 v1, v2
	v_lshlrev_b64 v[0:1], 5, v[0:1]
	v_lshlrev_b32_e32 v2, 3, v10
	v_mov_b32_e32 v3, 0
	v_lshlrev_b32_e32 v4, 5, v77
	v_lshl_add_u64 v[40:41], v[0:1], 0, v[2:3]
	v_or_b32_e32 v1, 16, v4
	v_mad_u64_u32 v[42:43], s[28:29], s6, v1, v[2:3]
	v_mov_b32_e32 v0, v43
	v_mad_u64_u32 v[0:1], s[28:29], s7, v1, v[0:1]
	v_or_b32_e32 v1, 24, v4
	v_mad_u64_u32 v[44:45], s[28:29], s6, v1, v[2:3]
	v_mov_b32_e32 v43, v0
	v_mov_b32_e32 v0, v45
	v_mad_u64_u32 v[0:1], s[28:29], s7, v1, v[0:1]
	s_lshl_b64 s[8:9], s[10:11], 8
	v_or_b32_e32 v1, 8, v4
	s_lshl_b64 s[22:23], s[22:23], 3
	v_mad_u64_u32 v[46:47], s[28:29], s6, v1, v[2:3]
	s_add_u32 s24, s24, s22
	v_mov_b32_e32 v45, v0
	v_mov_b32_e32 v0, v47
	s_addc_u32 s25, s25, s23
	v_mad_u64_u32 v[0:1], s[28:29], s7, v1, v[0:1]
	s_mul_i32 s22, s16, s25
	s_mul_hi_u32 s23, s16, s24
	v_mov_b32_e32 v47, v0
	s_add_i32 s22, s23, s22
	s_mul_i32 s23, s17, s24
	s_mul_i32 s29, s16, s24
	v_lshl_add_u64 v[0:1], s[24:25], 0, v[2:3]
	s_mov_b64 s[24:25], 0x180
	v_lshl_add_u64 v[2:3], v[0:1], 0, s[24:25]
	v_mad_u64_u32 v[48:49], s[24:25], s16, v2, 0
	s_mov_b64 s[24:25], 0x200
	s_nop 0
	v_lshl_add_u64 v[0:1], v[0:1], 0, s[24:25]
	v_mul_lo_u32 v4, s17, v2
	v_mul_lo_u32 v3, s16, v3
	;; [unrolled: 1-line block ×4, first 2 shown]
	v_mad_u64_u32 v[50:51], s[24:25], s16, v0, 0
	v_mov_b64_e32 v[16:17], 0
	s_add_i32 s28, s22, s23
	s_lshl_b64 s[22:23], s[16:17], 8
	v_add3_u32 v49, v49, v3, v4
	v_add3_u32 v51, v51, v1, v2
	v_mov_b64_e32 v[22:23], s[26:27]
	v_mov_b64_e32 v[20:21], v[16:17]
	;; [unrolled: 1-line block ×4, first 2 shown]
	s_waitcnt vmcnt(0)
	v_mov_b64_e32 v[26:27], v[28:29]
	v_mov_b64_e32 v[52:53], v[30:31]
	v_mov_b64_e32 v[54:55], v[32:33]
	v_mov_b64_e32 v[56:57], v[34:35]
	v_mov_b64_e32 v[58:59], v[36:37]
.LBB171_14:                             ; =>This Inner Loop Header: Depth=1
	v_lshl_add_u64 v[0:1], s[18:19], 0, v[48:49]
	v_lshl_add_u64 v[68:69], s[12:13], 0, v[40:41]
	global_load_dwordx2 v[24:25], v[0:1], off
	v_lshl_add_u64 v[70:71], s[12:13], 0, v[46:47]
	v_lshl_add_u64 v[74:75], s[12:13], 0, v[42:43]
	;; [unrolled: 1-line block ×3, first 2 shown]
	global_load_dwordx2 v[66:67], v[68:69], off offset:384
	global_load_dwordx2 v[64:65], v[70:71], off offset:384
	;; [unrolled: 1-line block ×4, first 2 shown]
	ds_read_b128 v[4:7], v80
	ds_read_b128 v[0:3], v80 offset:16
	s_cmp_eq_u32 s30, 1
	s_cbranch_scc1 .LBB171_16
; %bb.15:                               ;   in Loop: Header=BB171_14 Depth=1
	global_load_dwordx2 v[52:53], v[68:69], off offset:512
	global_load_dwordx2 v[54:55], v[70:71], off offset:512
	global_load_dwordx2 v[56:57], v[74:75], off offset:512
	global_load_dwordx2 v[58:59], v[72:73], off offset:512
	v_lshl_add_u64 v[26:27], s[18:19], 0, v[50:51]
	global_load_dwordx2 v[26:27], v[26:27], off
.LBB171_16:                             ;   in Loop: Header=BB171_14 Depth=1
	s_waitcnt lgkmcnt(1)
	v_fma_f64 v[68:69], v[30:31], v[4:5], 0
	s_waitcnt vmcnt(3)
	v_fma_f64 v[4:5], v[66:67], v[4:5], 0
	v_fmac_f64_e32 v[68:69], v[32:33], v[6:7]
	s_waitcnt vmcnt(2)
	v_fmac_f64_e32 v[4:5], v[64:65], v[6:7]
	s_waitcnt lgkmcnt(0)
	v_fmac_f64_e32 v[68:69], v[34:35], v[0:1]
	s_waitcnt vmcnt(1)
	v_fmac_f64_e32 v[4:5], v[62:63], v[0:1]
	v_fmac_f64_e32 v[68:69], v[36:37], v[2:3]
	s_waitcnt vmcnt(0)
	v_fmac_f64_e32 v[4:5], v[60:61], v[2:3]
	s_barrier
	ds_write2_b64 v79, v[68:69], v[4:5] offset1:16
	s_waitcnt lgkmcnt(0)
	s_barrier
	s_and_saveexec_b64 s[24:25], s[4:5]
	s_cbranch_execz .LBB171_18
; %bb.17:                               ;   in Loop: Header=BB171_14 Depth=1
	ds_read2_b64 v[0:3], v81 offset1:32
	ds_read2_b64 v[4:7], v81 offset0:64 offset1:96
	ds_read2_b64 v[68:71], v81 offset0:128 offset1:160
	;; [unrolled: 1-line block ×3, first 2 shown]
	v_lshl_add_u64 v[22:23], v[22:23], 0, s[8:9]
	s_waitcnt lgkmcnt(3)
	v_add_f64 v[0:1], v[0:1], 0
	v_add_f64 v[0:1], v[0:1], v[2:3]
	s_waitcnt lgkmcnt(2)
	v_add_f64 v[0:1], v[0:1], v[4:5]
	v_add_f64 v[0:1], v[0:1], v[6:7]
	;; [unrolled: 3-line block ×4, first 2 shown]
	v_lshl_add_u64 v[2:3], v[38:39], 3, v[22:23]
	v_mul_f64 v[0:1], v[8:9], v[0:1]
	global_atomic_add_f64 v[2:3], v[0:1], off
.LBB171_18:                             ;   in Loop: Header=BB171_14 Depth=1
	s_or_b64 exec, exec, s[24:25]
	s_add_u32 s12, s12, 0x100
	s_addc_u32 s13, s13, 0
	s_add_i32 s30, s30, -1
	s_add_u32 s18, s18, s22
	s_addc_u32 s19, s19, s23
	s_add_u32 s31, s18, s29
	v_fmac_f64_e32 v[16:17], v[28:29], v[30:31]
	v_fmac_f64_e32 v[20:21], v[28:29], v[32:33]
	;; [unrolled: 1-line block ×4, first 2 shown]
	s_addc_u32 s33, s19, s28
	v_fmac_f64_e32 v[16:17], v[24:25], v[66:67]
	v_fmac_f64_e32 v[20:21], v[24:25], v[64:65]
	;; [unrolled: 1-line block ×3, first 2 shown]
	s_cmp_eq_u32 s30, 0
	v_fmac_f64_e32 v[14:15], v[24:25], v[60:61]
	s_cbranch_scc1 .LBB171_21
; %bb.19:                               ;   in Loop: Header=BB171_14 Depth=1
	v_mov_b64_e32 v[28:29], v[26:27]
	v_mov_b64_e32 v[30:31], v[52:53]
	;; [unrolled: 1-line block ×5, first 2 shown]
	s_branch .LBB171_14
.LBB171_20:
	v_mov_b64_e32 v[22:23], s[26:27]
	v_mov_b64_e32 v[18:19], v[14:15]
	;; [unrolled: 1-line block ×5, first 2 shown]
	s_waitcnt vmcnt(0)
	v_mov_b64_e32 v[26:27], v[28:29]
.LBB171_21:
	s_and_b64 vcc, exec, s[20:21]
	s_cbranch_vccz .LBB171_29
; %bb.22:
	s_load_dword s18, s[0:1], 0x78
	s_lshl_b64 s[0:1], s[14:15], 3
	v_mov_b64_e32 v[0:1], 0
	s_add_u32 s0, s31, s0
	s_addc_u32 s1, s33, s1
	s_waitcnt lgkmcnt(0)
	v_cmp_gt_i32_e32 vcc, s18, v10
	v_mov_b64_e32 v[6:7], v[0:1]
	v_mov_b64_e32 v[28:29], v[0:1]
	;; [unrolled: 1-line block ×4, first 2 shown]
	s_and_saveexec_b64 s[8:9], vcc
	s_cbranch_execz .LBB171_24
; %bb.23:
	v_lshl_add_u64 v[2:3], v[12:13], 3, s[12:13]
	v_lshl_add_u64 v[4:5], s[6:7], 3, v[2:3]
	;; [unrolled: 1-line block ×3, first 2 shown]
	global_load_dwordx2 v[6:7], v[2:3], off offset:256
	global_load_dwordx2 v[28:29], v[4:5], off offset:256
	;; [unrolled: 1-line block ×3, first 2 shown]
	v_mad_u64_u32 v[2:3], s[14:15], s6, 24, v[2:3]
	v_mov_b32_e32 v4, v3
	v_mad_u64_u32 v[4:5], s[14:15], s7, 24, v[4:5]
	v_mov_b32_e32 v3, v4
	global_load_dwordx2 v[34:35], v[2:3], off offset:256
	v_mad_u64_u32 v[2:3], s[14:15], v10, s16, 0
	v_mov_b32_e32 v4, v3
	v_mad_u64_u32 v[4:5], s[14:15], v10, s17, v[4:5]
	v_mov_b32_e32 v3, v4
	v_lshl_add_u64 v[2:3], v[2:3], 3, s[0:1]
	global_load_dwordx2 v[26:27], v[2:3], off
.LBB171_24:
	s_or_b64 exec, exec, s[8:9]
	v_or_b32_e32 v36, 16, v10
	v_cmp_gt_i32_e32 vcc, s18, v36
	v_mov_b64_e32 v[2:3], v[0:1]
	v_mov_b64_e32 v[4:5], v[0:1]
	;; [unrolled: 1-line block ×3, first 2 shown]
	s_and_saveexec_b64 s[8:9], vcc
	s_cbranch_execz .LBB171_26
; %bb.25:
	v_lshl_add_u64 v[12:13], v[12:13], 3, s[12:13]
	s_mov_b64 s[12:13], 0x100
	v_lshl_add_u64 v[24:25], v[12:13], 0, s[12:13]
	v_lshl_add_u64 v[32:33], s[6:7], 3, v[24:25]
	;; [unrolled: 1-line block ×3, first 2 shown]
	global_load_dwordx2 v[0:1], v[12:13], off offset:384
	global_load_dwordx2 v[2:3], v[32:33], off offset:128
	;; [unrolled: 1-line block ×3, first 2 shown]
	v_mad_u64_u32 v[12:13], s[12:13], s6, 24, v[24:25]
	v_mov_b32_e32 v24, v13
	v_mad_u64_u32 v[24:25], s[6:7], s7, 24, v[24:25]
	v_mov_b32_e32 v13, v24
	global_load_dwordx2 v[32:33], v[12:13], off offset:128
	v_mad_u64_u32 v[12:13], s[6:7], v36, s16, 0
	v_mov_b32_e32 v24, v13
	v_mad_u64_u32 v[24:25], s[6:7], v36, s17, v[24:25]
	v_mov_b32_e32 v13, v24
	v_lshl_add_u64 v[12:13], v[12:13], 3, s[0:1]
	global_load_dwordx2 v[24:25], v[12:13], off
.LBB171_26:
	s_or_b64 exec, exec, s[8:9]
	v_lshlrev_b32_e32 v12, 3, v78
	ds_read_b128 v[36:39], v12 offset:6144
	ds_read_b128 v[40:43], v12 offset:6160
	s_waitcnt vmcnt(0)
	v_fmac_f64_e32 v[16:17], v[26:27], v[6:7]
	v_fmac_f64_e32 v[20:21], v[26:27], v[28:29]
	;; [unrolled: 1-line block ×3, first 2 shown]
	s_waitcnt lgkmcnt(1)
	v_fma_f64 v[12:13], v[0:1], v[36:37], 0
	v_fma_f64 v[6:7], v[6:7], v[36:37], 0
	v_fmac_f64_e32 v[12:13], v[2:3], v[38:39]
	v_fmac_f64_e32 v[6:7], v[28:29], v[38:39]
	;; [unrolled: 1-line block ×3, first 2 shown]
	s_waitcnt lgkmcnt(0)
	v_fmac_f64_e32 v[12:13], v[4:5], v[40:41]
	v_fmac_f64_e32 v[6:7], v[30:31], v[40:41]
	v_lshl_or_b32 v26, v77, 8, v11
	v_cmp_gt_i32_e32 vcc, s18, v76
	v_fmac_f64_e32 v[12:13], v[32:33], v[42:43]
	v_fmac_f64_e32 v[6:7], v[34:35], v[42:43]
	v_add_u32_e32 v26, 0x1000, v26
	s_and_b64 s[6:7], s[4:5], vcc
	s_barrier
	ds_write2_b64 v26, v[6:7], v[12:13] offset1:16
	s_waitcnt lgkmcnt(0)
	s_barrier
	s_and_saveexec_b64 s[0:1], s[6:7]
	s_cbranch_execz .LBB171_28
; %bb.27:
	v_lshlrev_b32_e32 v6, 3, v76
	v_add_u32_e32 v30, 0x1000, v6
	ds_read2_b64 v[26:29], v30 offset1:32
	ds_read2_b64 v[34:37], v30 offset0:64 offset1:96
	ds_read2_b64 v[38:41], v30 offset0:128 offset1:160
	s_lshl_b64 s[6:7], s[10:11], 8
	v_lshl_add_u64 v[6:7], v[22:23], 0, s[6:7]
	v_mad_u64_u32 v[22:23], s[6:7], v76, s10, 0
	s_waitcnt lgkmcnt(2)
	v_add_f64 v[12:13], v[26:27], 0
	v_add_f64 v[12:13], v[12:13], v[28:29]
	ds_read2_b64 v[26:29], v30 offset0:192 offset1:224
	s_waitcnt lgkmcnt(2)
	v_add_f64 v[12:13], v[12:13], v[34:35]
	v_add_f64 v[12:13], v[12:13], v[36:37]
	s_waitcnt lgkmcnt(1)
	v_add_f64 v[12:13], v[12:13], v[38:39]
	v_add_f64 v[12:13], v[12:13], v[40:41]
	s_waitcnt lgkmcnt(0)
	v_add_f64 v[12:13], v[12:13], v[26:27]
	v_mov_b32_e32 v26, v23
	v_mad_u64_u32 v[26:27], s[6:7], v76, s11, v[26:27]
	v_add_f64 v[12:13], v[12:13], v[28:29]
	v_mov_b32_e32 v23, v26
	v_lshl_add_u64 v[6:7], v[22:23], 3, v[6:7]
	v_mul_f64 v[12:13], v[8:9], v[12:13]
	global_atomic_add_f64 v[6:7], v[12:13], off
.LBB171_28:
	s_or_b64 exec, exec, s[0:1]
	v_fmac_f64_e32 v[16:17], v[24:25], v[0:1]
	v_fmac_f64_e32 v[20:21], v[24:25], v[2:3]
	v_fmac_f64_e32 v[18:19], v[24:25], v[4:5]
	v_fmac_f64_e32 v[14:15], v[24:25], v[32:33]
.LBB171_29:
	v_lshl_or_b32 v0, v77, 9, v11
	ds_write2_b64 v0, v[16:17], v[20:21] offset1:16
	ds_write2_b64 v0, v[18:19], v[14:15] offset0:32 offset1:48
	s_waitcnt lgkmcnt(0)
	s_barrier
	s_and_b64 exec, exec, s[4:5]
	s_cbranch_execz .LBB171_31
; %bb.30:
	v_lshlrev_b32_e32 v14, 4, v76
	v_add_u32_e32 v1, 1, v76
	v_and_or_b32 v1, v1, 15, v14
	v_lshlrev_b32_e32 v2, 3, v1
	v_add_u32_e32 v1, 2, v76
	v_or_b32_e32 v15, v10, v14
	v_and_or_b32 v1, v1, 15, v14
	v_lshlrev_b32_e32 v0, 3, v15
	v_lshlrev_b32_e32 v4, 3, v1
	v_add_u32_e32 v1, 3, v76
	v_and_or_b32 v6, v1, 15, v14
	ds_read_b64 v[0:1], v0
	ds_read_b64 v[2:3], v2
	;; [unrolled: 1-line block ×3, first 2 shown]
	v_lshlrev_b32_e32 v6, 3, v6
	ds_read_b64 v[6:7], v6
	s_waitcnt lgkmcnt(3)
	v_add_f64 v[0:1], v[0:1], 0
	s_waitcnt lgkmcnt(2)
	v_add_f64 v[0:1], v[0:1], v[2:3]
	v_add_u32_e32 v3, 5, v76
	v_and_or_b32 v3, v3, 15, v14
	s_waitcnt lgkmcnt(1)
	v_add_f64 v[0:1], v[0:1], v[4:5]
	v_lshlrev_b32_e32 v4, 3, v3
	v_add_u32_e32 v3, 6, v76
	v_and_or_b32 v3, v3, 15, v14
	v_add_u32_e32 v2, 4, v76
	v_lshlrev_b32_e32 v10, 3, v3
	v_add_u32_e32 v3, 7, v76
	v_and_or_b32 v2, v2, 15, v14
	v_and_or_b32 v3, v3, 15, v14
	v_lshlrev_b32_e32 v2, 3, v2
	v_lshlrev_b32_e32 v12, 3, v3
	ds_read_b64 v[2:3], v2
	ds_read_b64 v[4:5], v4
	;; [unrolled: 1-line block ×4, first 2 shown]
	s_waitcnt lgkmcnt(4)
	v_add_f64 v[0:1], v[0:1], v[6:7]
	s_waitcnt lgkmcnt(3)
	v_add_f64 v[0:1], v[0:1], v[2:3]
	v_add_u32_e32 v3, 9, v76
	v_and_or_b32 v3, v3, 15, v14
	s_waitcnt lgkmcnt(2)
	v_add_f64 v[0:1], v[0:1], v[4:5]
	v_lshlrev_b32_e32 v4, 3, v3
	v_add_u32_e32 v3, 10, v76
	v_xor_b32_e32 v2, 8, v15
	v_and_or_b32 v3, v3, 15, v14
	v_lshlrev_b32_e32 v2, 3, v2
	v_lshlrev_b32_e32 v6, 3, v3
	v_add_u32_e32 v3, 11, v76
	s_waitcnt lgkmcnt(1)
	v_add_f64 v[0:1], v[0:1], v[10:11]
	v_and_or_b32 v10, v3, 15, v14
	ds_read_b64 v[2:3], v2
	ds_read_b64 v[4:5], v4
	;; [unrolled: 1-line block ×3, first 2 shown]
	s_waitcnt lgkmcnt(3)
	v_add_f64 v[0:1], v[0:1], v[12:13]
	v_lshlrev_b32_e32 v10, 3, v10
	s_waitcnt lgkmcnt(2)
	v_add_f64 v[0:1], v[0:1], v[2:3]
	v_add_u32_e32 v3, 13, v76
	v_and_or_b32 v3, v3, 15, v14
	s_waitcnt lgkmcnt(1)
	v_add_f64 v[0:1], v[0:1], v[4:5]
	v_lshlrev_b32_e32 v4, 3, v3
	v_add_u32_e32 v3, 14, v76
	ds_read_b64 v[10:11], v10
	v_and_or_b32 v3, v3, 15, v14
	s_waitcnt lgkmcnt(1)
	v_add_f64 v[0:1], v[0:1], v[6:7]
	v_add_u32_e32 v2, 12, v76
	v_lshlrev_b32_e32 v6, 3, v3
	v_add_u32_e32 v3, -1, v76
	v_and_or_b32 v2, v2, 15, v14
	v_and_or_b32 v3, v3, 15, v14
	v_lshlrev_b32_e32 v2, 3, v2
	v_lshlrev_b32_e32 v12, 3, v3
	ds_read_b64 v[2:3], v2
	ds_read_b64 v[4:5], v4
	;; [unrolled: 1-line block ×4, first 2 shown]
	s_waitcnt lgkmcnt(4)
	v_add_f64 v[0:1], v[0:1], v[10:11]
	s_waitcnt lgkmcnt(3)
	v_add_f64 v[0:1], v[0:1], v[2:3]
	v_mad_u64_u32 v[2:3], s[0:1], v76, s10, 0
	s_waitcnt lgkmcnt(2)
	v_add_f64 v[0:1], v[0:1], v[4:5]
	v_mov_b32_e32 v4, v3
	s_waitcnt lgkmcnt(1)
	v_add_f64 v[0:1], v[0:1], v[6:7]
	v_mad_u64_u32 v[4:5], s[0:1], v76, s11, v[4:5]
	s_waitcnt lgkmcnt(0)
	v_add_f64 v[0:1], v[0:1], v[12:13]
	v_mov_b32_e32 v3, v4
	v_lshl_add_u64 v[2:3], v[2:3], 3, s[2:3]
	v_mul_f64 v[0:1], v[8:9], v[0:1]
	global_atomic_add_f64 v[2:3], v[0:1], off
.LBB171_31:
	s_endpgm
	.section	.rodata,"a",@progbits
	.p2align	6, 0x0
	.amdhsa_kernel _ZL62rocblas_symv_kernel_lower_double_buffered_non_diagonal_genericILi32ELi4ELi4E24rocblas_internal_val_ptrIdEPKPKdPKPdEvbiT2_lT3_lllSA_lllT4_lllii
		.amdhsa_group_segment_fixed_size 6400
		.amdhsa_private_segment_fixed_size 0
		.amdhsa_kernarg_size 384
		.amdhsa_user_sgpr_count 2
		.amdhsa_user_sgpr_dispatch_ptr 0
		.amdhsa_user_sgpr_queue_ptr 0
		.amdhsa_user_sgpr_kernarg_segment_ptr 1
		.amdhsa_user_sgpr_dispatch_id 0
		.amdhsa_user_sgpr_kernarg_preload_length 0
		.amdhsa_user_sgpr_kernarg_preload_offset 0
		.amdhsa_user_sgpr_private_segment_size 0
		.amdhsa_uses_dynamic_stack 0
		.amdhsa_enable_private_segment 0
		.amdhsa_system_sgpr_workgroup_id_x 1
		.amdhsa_system_sgpr_workgroup_id_y 1
		.amdhsa_system_sgpr_workgroup_id_z 1
		.amdhsa_system_sgpr_workgroup_info 0
		.amdhsa_system_vgpr_workitem_id 1
		.amdhsa_next_free_vgpr 82
		.amdhsa_next_free_sgpr 36
		.amdhsa_accum_offset 84
		.amdhsa_reserve_vcc 1
		.amdhsa_float_round_mode_32 0
		.amdhsa_float_round_mode_16_64 0
		.amdhsa_float_denorm_mode_32 3
		.amdhsa_float_denorm_mode_16_64 3
		.amdhsa_dx10_clamp 1
		.amdhsa_ieee_mode 1
		.amdhsa_fp16_overflow 0
		.amdhsa_tg_split 0
		.amdhsa_exception_fp_ieee_invalid_op 0
		.amdhsa_exception_fp_denorm_src 0
		.amdhsa_exception_fp_ieee_div_zero 0
		.amdhsa_exception_fp_ieee_overflow 0
		.amdhsa_exception_fp_ieee_underflow 0
		.amdhsa_exception_fp_ieee_inexact 0
		.amdhsa_exception_int_div_zero 0
	.end_amdhsa_kernel
	.section	.text._ZL62rocblas_symv_kernel_lower_double_buffered_non_diagonal_genericILi32ELi4ELi4E24rocblas_internal_val_ptrIdEPKPKdPKPdEvbiT2_lT3_lllSA_lllT4_lllii,"axG",@progbits,_ZL62rocblas_symv_kernel_lower_double_buffered_non_diagonal_genericILi32ELi4ELi4E24rocblas_internal_val_ptrIdEPKPKdPKPdEvbiT2_lT3_lllSA_lllT4_lllii,comdat
.Lfunc_end171:
	.size	_ZL62rocblas_symv_kernel_lower_double_buffered_non_diagonal_genericILi32ELi4ELi4E24rocblas_internal_val_ptrIdEPKPKdPKPdEvbiT2_lT3_lllSA_lllT4_lllii, .Lfunc_end171-_ZL62rocblas_symv_kernel_lower_double_buffered_non_diagonal_genericILi32ELi4ELi4E24rocblas_internal_val_ptrIdEPKPKdPKPdEvbiT2_lT3_lllSA_lllT4_lllii
                                        ; -- End function
	.section	.AMDGPU.csdata,"",@progbits
; Kernel info:
; codeLenInByte = 3244
; NumSgprs: 42
; NumVgprs: 82
; NumAgprs: 0
; TotalNumVgprs: 82
; ScratchSize: 0
; MemoryBound: 0
; FloatMode: 240
; IeeeMode: 1
; LDSByteSize: 6400 bytes/workgroup (compile time only)
; SGPRBlocks: 5
; VGPRBlocks: 10
; NumSGPRsForWavesPerEU: 42
; NumVGPRsForWavesPerEU: 82
; AccumOffset: 84
; Occupancy: 5
; WaveLimiterHint : 1
; COMPUTE_PGM_RSRC2:SCRATCH_EN: 0
; COMPUTE_PGM_RSRC2:USER_SGPR: 2
; COMPUTE_PGM_RSRC2:TRAP_HANDLER: 0
; COMPUTE_PGM_RSRC2:TGID_X_EN: 1
; COMPUTE_PGM_RSRC2:TGID_Y_EN: 1
; COMPUTE_PGM_RSRC2:TGID_Z_EN: 1
; COMPUTE_PGM_RSRC2:TIDIG_COMP_CNT: 1
; COMPUTE_PGM_RSRC3_GFX90A:ACCUM_OFFSET: 20
; COMPUTE_PGM_RSRC3_GFX90A:TG_SPLIT: 0
	.section	.text._ZL26rocblas_hemvn_kernel_lowerILb0ELi64ELi4ELi33ELi32ELi16ElPKdPKS1_PdEviT6_lT7_lT5_lS6_lS7_lS5_lT8_i,"axG",@progbits,_ZL26rocblas_hemvn_kernel_lowerILb0ELi64ELi4ELi33ELi32ELi16ElPKdPKS1_PdEviT6_lT7_lT5_lS6_lS7_lS5_lT8_i,comdat
	.globl	_ZL26rocblas_hemvn_kernel_lowerILb0ELi64ELi4ELi33ELi32ELi16ElPKdPKS1_PdEviT6_lT7_lT5_lS6_lS7_lS5_lT8_i ; -- Begin function _ZL26rocblas_hemvn_kernel_lowerILb0ELi64ELi4ELi33ELi32ELi16ElPKdPKS1_PdEviT6_lT7_lT5_lS6_lS7_lS5_lT8_i
	.p2align	8
	.type	_ZL26rocblas_hemvn_kernel_lowerILb0ELi64ELi4ELi33ELi32ELi16ElPKdPKS1_PdEviT6_lT7_lT5_lS6_lS7_lS5_lT8_i,@function
_ZL26rocblas_hemvn_kernel_lowerILb0ELi64ELi4ELi33ELi32ELi16ElPKdPKS1_PdEviT6_lT7_lT5_lS6_lS7_lS5_lT8_i: ; @_ZL26rocblas_hemvn_kernel_lowerILb0ELi64ELi4ELi33ELi32ELi16ElPKdPKS1_PdEviT6_lT7_lT5_lS6_lS7_lS5_lT8_i
; %bb.0:
	s_load_dwordx2 s[4:5], s[0:1], 0x84
	s_add_u32 s12, s0, 0x78
	s_mov_b32 s26, s3
	s_addc_u32 s13, s1, 0
	s_waitcnt lgkmcnt(0)
	s_and_b32 s3, s5, 0xffff
	s_lshr_b32 s5, s4, 16
	s_and_b32 s4, s4, 0xffff
	s_mul_i32 s4, s5, s4
	s_mul_i32 s4, s4, s3
	s_cmpk_lg_i32 s4, 0x100
	s_cbranch_scc1 .LBB172_80
; %bb.1:
	s_load_dwordx8 s[4:11], s[0:1], 0x8
	s_load_dwordx4 s[16:19], s[0:1], 0x58
	s_waitcnt lgkmcnt(0)
	s_mul_i32 s3, s26, s7
	s_mul_hi_u32 s7, s26, s6
	s_mul_i32 s6, s26, s6
	s_add_i32 s7, s7, s3
	s_lshl_b64 s[6:7], s[6:7], 3
	s_mul_i32 s14, s26, s19
	s_add_u32 s4, s4, s6
	s_mul_hi_u32 s3, s26, s18
	s_addc_u32 s5, s5, s7
	s_add_i32 s7, s3, s14
	s_mul_i32 s6, s26, s18
	s_lshl_b64 s[6:7], s[6:7], 3
	s_add_u32 s6, s16, s6
	s_addc_u32 s7, s17, s7
	s_load_dwordx2 s[4:5], s[4:5], 0x0
	s_nop 0
	s_load_dwordx2 s[14:15], s[6:7], 0x0
	s_waitcnt lgkmcnt(0)
	v_cmp_eq_f64_e64 s[6:7], s[4:5], 0
	v_cmp_eq_f64_e64 s[14:15], s[14:15], 1.0
	s_and_b64 s[14:15], s[6:7], s[14:15]
	s_and_b64 vcc, exec, s[14:15]
	s_cbranch_vccnz .LBB172_80
; %bb.2:
	s_load_dwordx2 s[24:25], s[0:1], 0x28
	s_mov_b32 s27, 0
	s_mov_b64 s[14:15], 0
	v_cmp_neq_f64_e64 s[16:17], s[4:5], 0
	s_and_b64 vcc, exec, s[6:7]
	s_mov_b64 s[6:7], 0
	s_cbranch_vccnz .LBB172_4
; %bb.3:
	s_lshl_b64 s[4:5], s[26:27], 3
	s_add_u32 s4, s8, s4
	s_addc_u32 s5, s9, s5
	s_load_dwordx2 s[4:5], s[4:5], 0x0
	s_lshl_b64 s[6:7], s[10:11], 3
	s_waitcnt lgkmcnt(0)
	s_add_u32 s6, s4, s6
	s_addc_u32 s7, s5, s7
.LBB172_4:
	s_load_dwordx4 s[8:11], s[0:1], 0x38
	s_load_dwordx2 s[20:21], s[0:1], 0x48
	v_cndmask_b32_e64 v1, 0, 1, s[16:17]
	v_cmp_ne_u32_e64 s[4:5], 1, v1
	s_andn2_b64 vcc, exec, s[16:17]
	s_cbranch_vccnz .LBB172_6
; %bb.5:
	s_lshl_b64 s[14:15], s[26:27], 3
	s_waitcnt lgkmcnt(0)
	s_add_u32 s8, s8, s14
	s_addc_u32 s9, s9, s15
	s_load_dwordx2 s[8:9], s[8:9], 0x0
	s_lshl_b64 s[10:11], s[10:11], 3
	s_waitcnt lgkmcnt(0)
	s_add_u32 s14, s8, s10
	s_addc_u32 s15, s9, s11
.LBB172_6:
	s_and_b64 vcc, exec, s[4:5]
	s_cbranch_vccnz .LBB172_80
; %bb.7:
	s_load_dword s27, s[12:13], 0x0
	s_load_dwordx2 s[34:35], s[0:1], 0x68
	s_load_dword s3, s[0:1], 0x0
	v_and_b32_e32 v26, 0x3ff, v0
	s_lshl_b32 s30, s2, 6
	s_waitcnt lgkmcnt(0)
	s_add_i32 s0, s27, -1
	v_add_u32_e32 v16, s30, v26
	s_ashr_i32 s33, s3, 31
	s_lshr_b32 s1, s33, 26
	s_add_i32 s1, s3, s1
	s_andn2_b32 s1, s1, 63
	s_sub_i32 s1, s3, s1
	s_cmp_eq_u32 s2, s0
	v_ashrrev_i32_e32 v17, 31, v16
	v_bfe_u32 v76, v0, 10, 10
	s_cselect_b32 s28, s1, 0
	v_mul_lo_u32 v2, v17, s20
	v_mul_lo_u32 v3, v16, s21
	v_mad_u64_u32 v[0:1], s[0:1], v16, s20, 0
	v_add3_u32 v1, v1, v3, v2
	v_lshl_add_u64 v[20:21], v[0:1], 3, s[14:15]
	v_cmp_ne_u32_e64 s[0:1], 0, v76
	v_cmp_eq_u32_e64 s[16:17], 0, v76
	s_and_saveexec_b64 s[4:5], s[16:17]
	s_cbranch_execz .LBB172_11
; %bb.8:
	s_cmp_eq_u32 s28, 0
	s_cselect_b64 s[8:9], -1, 0
	v_cmp_gt_i32_e32 vcc, s28, v26
	s_or_b64 s[10:11], s[8:9], vcc
	v_mov_b64_e32 v[0:1], 0
	s_and_saveexec_b64 s[8:9], s[10:11]
	s_cbranch_execz .LBB172_10
; %bb.9:
	flat_load_dwordx2 v[0:1], v[20:21]
.LBB172_10:
	s_or_b64 exec, exec, s[8:9]
	v_lshlrev_b32_e32 v2, 3, v26
	s_waitcnt vmcnt(0) lgkmcnt(0)
	ds_write_b64 v2, v[0:1] offset:9088
.LBB172_11:
	s_or_b64 exec, exec, s[4:5]
	s_ashr_i32 s31, s30, 31
	v_lshl_add_u32 v27, v76, 6, v26
	s_lshl_b64 s[4:5], s[30:31], 3
	v_and_b32_e32 v0, 31, v26
	v_lshrrev_b32_e32 v12, 5, v27
	s_add_u32 s6, s6, s4
	v_mov_b32_e32 v1, 0
	s_addc_u32 s7, s7, s5
	v_mad_u64_u32 v[22:23], s[4:5], v12, s24, v[0:1]
	v_mov_b32_e32 v2, v23
	v_mad_u64_u32 v[2:3], s[4:5], v12, s25, v[2:3]
	s_mul_i32 s4, s30, s25
	s_mul_hi_u32 s5, s30, s24
	s_add_i32 s4, s5, s4
	s_mul_i32 s5, s31, s24
	s_add_i32 s5, s4, s5
	s_mul_i32 s4, s30, s24
	s_lshl_b64 s[36:37], s[4:5], 3
	s_add_u32 s4, s36, s6
	s_addc_u32 s5, s37, s7
	s_cmp_lg_u32 s28, 0
	v_mov_b32_e32 v23, v2
	s_cselect_b64 s[38:39], -1, 0
	s_cmp_eq_u32 s28, 0
	v_lshl_add_u64 v[2:3], v[22:23], 3, s[4:5]
	s_cselect_b64 s[18:19], -1, 0
	s_and_b64 vcc, exec, s[38:39]
	s_cbranch_vccnz .LBB172_13
; %bb.12:
	flat_load_dwordx2 v[4:5], v[2:3]
	v_mul_u32_u24_e32 v1, 33, v12
	s_lshl_b64 s[4:5], s[24:25], 6
	v_add_lshl_u32 v1, v1, v0, 3
	v_lshl_add_u64 v[6:7], v[2:3], 0, s[4:5]
	s_mul_i32 s6, s25, 0xc0
	s_waitcnt vmcnt(0) lgkmcnt(0)
	ds_write_b64 v1, v[4:5]
	flat_load_dwordx2 v[4:5], v[6:7]
	v_lshl_add_u64 v[6:7], v[6:7], 0, s[4:5]
	s_waitcnt vmcnt(0) lgkmcnt(0)
	ds_write_b64 v1, v[4:5] offset:2112
	flat_load_dwordx2 v[4:5], v[6:7]
	v_mov_b32_e32 v6, 0xc0
	v_mad_u64_u32 v[6:7], s[4:5], s24, v6, v[2:3]
	v_add_u32_e32 v7, s6, v7
	s_waitcnt vmcnt(0) lgkmcnt(0)
	ds_write_b64 v1, v[4:5] offset:4224
	flat_load_dwordx2 v[4:5], v[6:7]
	s_waitcnt vmcnt(0) lgkmcnt(0)
	ds_write_b64 v1, v[4:5] offset:6336
	s_cbranch_execz .LBB172_14
	s_branch .LBB172_23
.LBB172_13:
.LBB172_14:
	v_lshlrev_b32_e32 v4, 3, v0
	v_sub_co_u32_e32 v6, vcc, v2, v4
	s_ashr_i32 s29, s28, 31
	s_nop 0
	v_subbrev_co_u32_e32 v7, vcc, 0, v3, vcc
	v_lshl_add_u64 v[6:7], s[28:29], 3, v[6:7]
	v_lshl_add_u64 v[6:7], v[6:7], 0, -8
	v_cmp_gt_i32_e32 vcc, s28, v0
	v_mov_b64_e32 v[8:9], 0
	v_cmp_gt_i32_e64 s[4:5], s28, v12
	v_cndmask_b32_e32 v7, v7, v3, vcc
	v_cndmask_b32_e32 v6, v6, v2, vcc
	v_mov_b64_e32 v[10:11], v[8:9]
	s_and_saveexec_b64 s[6:7], s[4:5]
	s_cbranch_execz .LBB172_16
; %bb.15:
	flat_load_dwordx2 v[10:11], v[6:7]
.LBB172_16:
	s_or_b64 exec, exec, s[6:7]
	v_mul_u32_u24_e32 v1, 33, v12
	v_add_u32_e32 v5, 8, v12
	v_add_lshl_u32 v1, v1, v0, 3
	v_cmp_gt_i32_e64 s[4:5], s28, v5
	s_waitcnt vmcnt(0) lgkmcnt(0)
	ds_write_b64 v1, v[10:11]
	s_and_saveexec_b64 s[6:7], s[4:5]
	s_cbranch_execz .LBB172_18
; %bb.17:
	s_lshl_b64 s[4:5], s[24:25], 6
	v_lshl_add_u64 v[8:9], v[6:7], 0, s[4:5]
	flat_load_dwordx2 v[8:9], v[8:9]
.LBB172_18:
	s_or_b64 exec, exec, s[6:7]
	s_waitcnt vmcnt(0) lgkmcnt(0)
	ds_write_b64 v1, v[8:9] offset:2112
	v_add_u32_e32 v5, 16, v12
	v_mov_b64_e32 v[8:9], 0
	v_cmp_gt_i32_e64 s[4:5], s28, v5
	v_mov_b64_e32 v[10:11], v[8:9]
	s_and_saveexec_b64 s[6:7], s[4:5]
	s_cbranch_execz .LBB172_20
; %bb.19:
	s_lshl_b64 s[4:5], s[24:25], 7
	v_lshl_add_u64 v[10:11], v[6:7], 0, s[4:5]
	flat_load_dwordx2 v[10:11], v[10:11]
.LBB172_20:
	s_or_b64 exec, exec, s[6:7]
	v_add_u32_e32 v5, 24, v12
	v_cmp_gt_i32_e64 s[4:5], s28, v5
	s_waitcnt vmcnt(0) lgkmcnt(0)
	ds_write_b64 v1, v[10:11] offset:4224
	s_and_saveexec_b64 s[6:7], s[4:5]
	s_cbranch_execz .LBB172_22
; %bb.21:
	v_mov_b32_e32 v5, 0xc0
	v_mad_u64_u32 v[8:9], s[4:5], s24, v5, v[6:7]
	s_mul_i32 s4, s25, 0xc0
	s_nop 0
	v_add_u32_e32 v9, s4, v9
	flat_load_dwordx2 v[8:9], v[8:9]
.LBB172_22:
	s_or_b64 exec, exec, s[6:7]
	v_mov_b32_e32 v5, 0
	v_lshl_add_u64 v[4:5], v[6:7], 0, v[4:5]
	s_lshl_b64 s[4:5], s[28:29], 3
	s_waitcnt vmcnt(0) lgkmcnt(0)
	ds_write_b64 v1, v[8:9] offset:6336
	v_mov_b32_e32 v1, s5
	v_subrev_co_u32_e64 v4, s[4:5], s4, v4
	s_nop 1
	v_subb_co_u32_e64 v5, s[4:5], v5, v1, s[4:5]
	v_lshl_add_u64 v[4:5], v[4:5], 0, 8
	v_cndmask_b32_e32 v3, v5, v3, vcc
	v_cndmask_b32_e32 v2, v4, v2, vcc
.LBB172_23:
	v_lshlrev_b32_e32 v1, 2, v12
	v_mul_u32_u24_e32 v28, 33, v0
	v_cmp_lt_u32_e64 s[6:7], v1, v0
	v_add_lshl_u32 v30, v1, v28, 3
	s_waitcnt lgkmcnt(0)
	s_barrier
	s_and_saveexec_b64 s[4:5], s[6:7]
	s_cbranch_execz .LBB172_25
; %bb.24:
	v_mul_u32_u24_e32 v4, 0x84, v12
	v_add_lshl_u32 v4, v4, v0, 3
	ds_read_b64 v[4:5], v4
	s_waitcnt lgkmcnt(0)
	ds_write_b64 v30, v[4:5]
.LBB172_25:
	s_or_b64 exec, exec, s[4:5]
	v_or_b32_e32 v4, 1, v1
	v_cmp_lt_u32_e64 s[8:9], v4, v0
	s_and_saveexec_b64 s[4:5], s[8:9]
	s_cbranch_execz .LBB172_27
; %bb.26:
	v_mul_u32_u24_e32 v4, 33, v4
	v_add_lshl_u32 v4, v4, v0, 3
	ds_read_b64 v[4:5], v4
	s_waitcnt lgkmcnt(0)
	ds_write_b64 v30, v[4:5] offset:8
.LBB172_27:
	s_or_b64 exec, exec, s[4:5]
	v_or_b32_e32 v4, 2, v1
	v_cmp_lt_u32_e64 s[10:11], v4, v0
	s_and_saveexec_b64 s[4:5], s[10:11]
	s_cbranch_execz .LBB172_29
; %bb.28:
	v_mul_u32_u24_e32 v4, 33, v4
	v_add_lshl_u32 v4, v4, v0, 3
	ds_read_b64 v[4:5], v4
	s_waitcnt lgkmcnt(0)
	ds_write_b64 v30, v[4:5] offset:16
.LBB172_29:
	s_or_b64 exec, exec, s[4:5]
	v_or_b32_e32 v4, 3, v1
	v_cmp_lt_u32_e64 s[12:13], v4, v0
	v_mad_u32_u24 v4, v4, 33, v0
	v_lshlrev_b32_e32 v10, 3, v4
	s_and_saveexec_b64 s[4:5], s[12:13]
	s_cbranch_execz .LBB172_31
; %bb.30:
	ds_read_b64 v[4:5], v10
	s_waitcnt lgkmcnt(0)
	ds_write_b64 v30, v[4:5] offset:24
.LBB172_31:
	s_or_b64 exec, exec, s[4:5]
	v_mul_u32_u24_e32 v4, 0x84, v12
	v_add_lshl_u32 v11, v4, v0, 3
	s_waitcnt lgkmcnt(0)
	s_barrier
	v_lshlrev_b32_e32 v1, 3, v1
	ds_read_b64 v[8:9], v11
	ds_read_b128 v[4:7], v1 offset:9088
	v_add_u32_e32 v13, 0xfffffdf0, v10
	ds_read2_b64 v[32:35], v13 offset1:33
	ds_read_b128 v[36:39], v1 offset:9104
	ds_read_b64 v[14:15], v10
	v_mov_b64_e32 v[18:19], 0
	v_add_lshl_u32 v29, v12, v28, 3
	s_waitcnt lgkmcnt(3)
	v_fma_f64 v[4:5], v[8:9], v[4:5], 0
	s_waitcnt lgkmcnt(2)
	v_fmac_f64_e32 v[4:5], v[32:33], v[6:7]
	s_waitcnt lgkmcnt(1)
	v_fmac_f64_e32 v[4:5], v[34:35], v[36:37]
	;; [unrolled: 2-line block ×3, first 2 shown]
	v_cmp_gt_u32_e64 s[4:5], 32, v27
	s_barrier
	ds_write_b64 v29, v[4:5]
	s_waitcnt lgkmcnt(0)
	s_barrier
	s_and_saveexec_b64 s[14:15], s[4:5]
	s_cbranch_execz .LBB172_33
; %bb.32:
	v_lshlrev_b32_e32 v14, 3, v28
	ds_read2_b64 v[4:7], v14 offset1:1
	ds_read2_b64 v[32:35], v14 offset0:2 offset1:3
	ds_read2_b64 v[36:39], v14 offset0:4 offset1:5
	s_waitcnt lgkmcnt(2)
	v_add_f64 v[8:9], v[4:5], v[6:7]
	ds_read2_b64 v[4:7], v14 offset0:6 offset1:7
	s_waitcnt lgkmcnt(2)
	v_add_f64 v[8:9], v[8:9], v[32:33]
	v_add_f64 v[8:9], v[8:9], v[34:35]
	s_waitcnt lgkmcnt(1)
	v_add_f64 v[8:9], v[8:9], v[36:37]
	v_add_f64 v[8:9], v[8:9], v[38:39]
	;; [unrolled: 3-line block ×3, first 2 shown]
.LBB172_33:
	s_or_b64 exec, exec, s[14:15]
	s_lshl_b64 s[22:23], s[24:25], 8
	v_lshl_add_u64 v[4:5], v[2:3], 0, s[22:23]
	s_mov_b64 s[40:41], 0x100
	v_cndmask_b32_e64 v2, 0, 1, s[18:19]
	v_cmp_ne_u32_e64 s[14:15], 1, v2
	s_andn2_b64 vcc, exec, s[18:19]
	v_lshl_add_u64 v[2:3], v[4:5], 0, s[40:41]
	s_barrier
	s_cbranch_vccnz .LBB172_35
; %bb.34:
	flat_load_dwordx2 v[6:7], v[4:5] offset:256
	v_mul_u32_u24_e32 v8, 33, v12
	s_lshl_b64 s[18:19], s[24:25], 6
	v_add_lshl_u32 v14, v8, v0, 3
	v_lshl_add_u64 v[8:9], v[4:5], 0, s[18:19]
	s_mul_i32 s29, s25, 0xc0
	s_waitcnt vmcnt(0) lgkmcnt(0)
	ds_write_b64 v14, v[6:7]
	flat_load_dwordx2 v[6:7], v[8:9] offset:256
	v_lshl_add_u64 v[8:9], v[8:9], 0, s[18:19]
	s_waitcnt vmcnt(0) lgkmcnt(0)
	ds_write_b64 v14, v[6:7] offset:2112
	flat_load_dwordx2 v[6:7], v[8:9] offset:256
	v_mov_b32_e32 v8, 0xc0
	v_mad_u64_u32 v[4:5], s[18:19], s24, v8, v[4:5]
	v_add_u32_e32 v5, s29, v5
	s_waitcnt vmcnt(0) lgkmcnt(0)
	ds_write_b64 v14, v[6:7] offset:4224
	flat_load_dwordx2 v[4:5], v[4:5] offset:256
	s_waitcnt vmcnt(0) lgkmcnt(0)
	ds_write_b64 v14, v[4:5] offset:6336
	s_cbranch_execz .LBB172_36
	s_branch .LBB172_45
.LBB172_35:
.LBB172_36:
	v_or_b32_e32 v6, 32, v0
	v_lshlrev_b32_e32 v4, 3, v6
	v_sub_co_u32_e32 v4, vcc, v2, v4
	s_ashr_i32 s29, s28, 31
	s_nop 0
	v_subbrev_co_u32_e32 v5, vcc, 0, v3, vcc
	v_lshl_add_u64 v[4:5], s[28:29], 3, v[4:5]
	v_lshl_add_u64 v[4:5], v[4:5], 0, -8
	v_cmp_gt_i32_e32 vcc, s28, v6
	s_sub_i32 s42, s28, 32
	v_mov_b64_e32 v[6:7], 0
	v_cndmask_b32_e32 v5, v5, v3, vcc
	v_cndmask_b32_e32 v4, v4, v2, vcc
	v_cmp_gt_i32_e64 s[18:19], s42, v12
	v_mov_b64_e32 v[8:9], v[6:7]
	s_and_saveexec_b64 s[40:41], s[18:19]
	s_cbranch_execz .LBB172_38
; %bb.37:
	flat_load_dwordx2 v[8:9], v[4:5]
.LBB172_38:
	s_or_b64 exec, exec, s[40:41]
	v_mul_u32_u24_e32 v14, 33, v12
	v_add_lshl_u32 v14, v14, v0, 3
	s_waitcnt vmcnt(0) lgkmcnt(0)
	ds_write_b64 v14, v[8:9]
	v_add_u32_e32 v8, 8, v12
	v_cmp_gt_i32_e64 s[18:19], s42, v8
	s_and_saveexec_b64 s[40:41], s[18:19]
	s_cbranch_execz .LBB172_40
; %bb.39:
	s_lshl_b64 s[18:19], s[24:25], 6
	v_lshl_add_u64 v[6:7], v[4:5], 0, s[18:19]
	flat_load_dwordx2 v[6:7], v[6:7]
.LBB172_40:
	s_or_b64 exec, exec, s[40:41]
	s_waitcnt vmcnt(0) lgkmcnt(0)
	ds_write_b64 v14, v[6:7] offset:2112
	v_add_u32_e32 v6, 16, v12
	v_cmp_gt_i32_e64 s[18:19], s42, v6
	v_mov_b64_e32 v[6:7], 0
	v_mov_b64_e32 v[8:9], v[6:7]
	s_and_saveexec_b64 s[40:41], s[18:19]
	s_cbranch_execz .LBB172_42
; %bb.41:
	s_lshl_b64 s[18:19], s[24:25], 7
	v_lshl_add_u64 v[8:9], v[4:5], 0, s[18:19]
	flat_load_dwordx2 v[8:9], v[8:9]
.LBB172_42:
	s_or_b64 exec, exec, s[40:41]
	s_waitcnt vmcnt(0) lgkmcnt(0)
	ds_write_b64 v14, v[8:9] offset:4224
	v_add_u32_e32 v8, 24, v12
	v_cmp_gt_i32_e64 s[18:19], s42, v8
	s_and_saveexec_b64 s[40:41], s[18:19]
	s_cbranch_execz .LBB172_44
; %bb.43:
	v_mov_b32_e32 v6, 0xc0
	v_mad_u64_u32 v[6:7], s[18:19], s24, v6, v[4:5]
	s_mul_i32 s18, s25, 0xc0
	s_nop 0
	v_add_u32_e32 v7, s18, v7
	flat_load_dwordx2 v[6:7], v[6:7]
.LBB172_44:
	s_or_b64 exec, exec, s[40:41]
	s_waitcnt vmcnt(0) lgkmcnt(0)
	ds_write_b64 v14, v[6:7] offset:6336
	v_lshlrev_b32_e32 v6, 3, v0
	v_mov_b32_e32 v7, 0
	v_lshl_add_u64 v[4:5], v[4:5], 0, v[6:7]
	s_lshl_b64 s[18:19], s[28:29], 3
	v_mov_b32_e32 v6, s19
	v_subrev_co_u32_e64 v4, s[18:19], s18, v4
	s_nop 1
	v_subb_co_u32_e64 v5, s[18:19], v5, v6, s[18:19]
	s_mov_b64 s[18:19], 0x108
	s_nop 0
	v_lshl_add_u64 v[4:5], v[4:5], 0, s[18:19]
	v_cndmask_b32_e32 v3, v5, v3, vcc
	v_cndmask_b32_e32 v2, v4, v2, vcc
.LBB172_45:
	v_add_u32_e32 v1, 0x2380, v1
	s_lshl_b64 s[18:19], s[24:25], 5
	s_waitcnt lgkmcnt(0)
	s_barrier
	s_and_saveexec_b64 s[40:41], s[6:7]
	s_cbranch_execnz .LBB172_54
; %bb.46:
	s_or_b64 exec, exec, s[40:41]
	s_and_saveexec_b64 s[6:7], s[8:9]
	s_cbranch_execnz .LBB172_55
.LBB172_47:
	s_or_b64 exec, exec, s[6:7]
	s_and_saveexec_b64 s[6:7], s[10:11]
	s_cbranch_execnz .LBB172_56
.LBB172_48:
	s_or_b64 exec, exec, s[6:7]
	s_and_saveexec_b64 s[6:7], s[12:13]
	s_cbranch_execz .LBB172_50
.LBB172_49:
	ds_read_b64 v[4:5], v10
	s_waitcnt lgkmcnt(0)
	ds_write_b64 v30, v[4:5] offset:24
.LBB172_50:
	s_or_b64 exec, exec, s[6:7]
	s_waitcnt lgkmcnt(0)
	s_barrier
	ds_read_b64 v[8:9], v11
	ds_read_b128 v[4:7], v1 offset:256
	ds_read2_b64 v[32:35], v13 offset1:33
	ds_read_b128 v[36:39], v1 offset:272
	ds_read_b64 v[10:11], v10
	v_cmp_eq_u32_e64 s[6:7], 1, v12
	s_waitcnt lgkmcnt(3)
	v_fma_f64 v[4:5], v[8:9], v[4:5], 0
	s_waitcnt lgkmcnt(2)
	v_fmac_f64_e32 v[4:5], v[32:33], v[6:7]
	s_waitcnt lgkmcnt(1)
	v_fmac_f64_e32 v[4:5], v[34:35], v[36:37]
	;; [unrolled: 2-line block ×3, first 2 shown]
	s_barrier
	ds_write_b64 v29, v[4:5]
	s_waitcnt lgkmcnt(0)
	s_barrier
	s_and_saveexec_b64 s[8:9], s[6:7]
	s_cbranch_execz .LBB172_52
; %bb.51:
	v_lshlrev_b32_e32 v13, 3, v28
	ds_read2_b64 v[4:7], v13 offset1:1
	ds_read2_b64 v[8:11], v13 offset0:2 offset1:3
	ds_read2_b64 v[32:35], v13 offset0:4 offset1:5
	s_waitcnt lgkmcnt(2)
	v_add_f64 v[14:15], v[4:5], v[6:7]
	ds_read2_b64 v[4:7], v13 offset0:6 offset1:7
	s_waitcnt lgkmcnt(2)
	v_add_f64 v[8:9], v[14:15], v[8:9]
	v_add_f64 v[8:9], v[8:9], v[10:11]
	s_waitcnt lgkmcnt(1)
	v_add_f64 v[8:9], v[8:9], v[32:33]
	v_add_f64 v[8:9], v[8:9], v[34:35]
	;; [unrolled: 3-line block ×3, first 2 shown]
.LBB172_52:
	s_or_b64 exec, exec, s[8:9]
	s_lshl_b64 s[8:9], s[18:19], 3
	v_mov_b32_e32 v4, s9
	v_subrev_co_u32_e64 v24, s[8:9], s8, v2
	s_and_b64 vcc, exec, s[14:15]
	s_nop 0
	v_subb_co_u32_e64 v25, s[8:9], v3, v4, s[8:9]
	s_barrier
	s_cbranch_vccnz .LBB172_57
; %bb.53:
	flat_load_dwordx2 v[2:3], v[24:25]
	v_mad_u32_u24 v8, v12, 33, v0
	s_lshl_b64 s[8:9], s[24:25], 6
	v_lshlrev_b32_e32 v14, 3, v8
	v_lshl_add_u64 v[4:5], v[24:25], 0, s[8:9]
	s_mul_i32 s10, s25, 0xc0
	v_add_u32_e32 v9, 8, v12
	v_add_u32_e32 v10, 16, v12
	;; [unrolled: 1-line block ×6, first 2 shown]
	s_waitcnt vmcnt(0) lgkmcnt(0)
	ds_write_b64 v14, v[2:3]
	flat_load_dwordx2 v[2:3], v[4:5]
	v_lshl_add_u64 v[4:5], v[4:5], 0, s[8:9]
	s_waitcnt vmcnt(0) lgkmcnt(0)
	ds_write_b64 v14, v[2:3] offset:2112
	flat_load_dwordx2 v[2:3], v[4:5]
	v_mov_b32_e32 v4, 0xc0
	v_mad_u64_u32 v[4:5], s[8:9], s24, v4, v[24:25]
	v_add_u32_e32 v5, s10, v5
	s_waitcnt vmcnt(0) lgkmcnt(0)
	ds_write_b64 v14, v[2:3] offset:4224
	flat_load_dwordx2 v[2:3], v[4:5]
	s_waitcnt vmcnt(0) lgkmcnt(0)
	ds_write_b64 v14, v[2:3] offset:6336
	s_cbranch_execz .LBB172_58
	s_branch .LBB172_67
.LBB172_54:
	ds_read_b64 v[4:5], v11
	s_waitcnt lgkmcnt(0)
	ds_write_b64 v30, v[4:5]
	s_or_b64 exec, exec, s[40:41]
	s_and_saveexec_b64 s[6:7], s[8:9]
	s_cbranch_execz .LBB172_47
.LBB172_55:
	ds_read_b64 v[4:5], v13
	s_waitcnt lgkmcnt(0)
	ds_write_b64 v30, v[4:5] offset:8
	s_or_b64 exec, exec, s[6:7]
	s_and_saveexec_b64 s[6:7], s[10:11]
	s_cbranch_execz .LBB172_48
.LBB172_56:
	ds_read_b64 v[4:5], v13 offset:264
	s_waitcnt lgkmcnt(0)
	ds_write_b64 v30, v[4:5] offset:16
	s_or_b64 exec, exec, s[6:7]
	s_and_saveexec_b64 s[6:7], s[12:13]
	s_cbranch_execnz .LBB172_49
	s_branch .LBB172_50
.LBB172_57:
                                        ; implicit-def: $vgpr8
                                        ; implicit-def: $vgpr9
                                        ; implicit-def: $vgpr13
                                        ; implicit-def: $vgpr10
                                        ; implicit-def: $vgpr7
                                        ; implicit-def: $vgpr6
                                        ; implicit-def: $vgpr11
.LBB172_58:
	v_or_b32_e32 v4, 32, v0
	v_lshlrev_b32_e32 v2, 3, v4
	v_sub_co_u32_e32 v2, vcc, v24, v2
	s_ashr_i32 s29, s28, 31
	s_nop 0
	v_subbrev_co_u32_e32 v3, vcc, 0, v25, vcc
	v_lshl_add_u64 v[2:3], s[28:29], 3, v[2:3]
	v_lshl_add_u64 v[2:3], v[2:3], 0, -8
	v_cmp_gt_i32_e32 vcc, s28, v4
	v_mov_b64_e32 v[4:5], 0
	v_cmp_gt_i32_e64 s[8:9], s28, v12
	v_cndmask_b32_e32 v3, v3, v25, vcc
	v_cndmask_b32_e32 v2, v2, v24, vcc
	v_mov_b64_e32 v[6:7], v[4:5]
	s_and_saveexec_b64 s[10:11], s[8:9]
	s_cbranch_execz .LBB172_60
; %bb.59:
	flat_load_dwordx2 v[6:7], v[2:3]
.LBB172_60:
	s_or_b64 exec, exec, s[10:11]
	v_mad_u32_u24 v8, v12, 33, v0
	v_add_u32_e32 v9, 8, v12
	v_lshlrev_b32_e32 v14, 3, v8
	v_cmp_gt_i32_e64 s[8:9], s28, v9
	s_waitcnt vmcnt(0) lgkmcnt(0)
	ds_write_b64 v14, v[6:7]
	s_and_saveexec_b64 s[10:11], s[8:9]
	s_cbranch_execz .LBB172_62
; %bb.61:
	s_lshl_b64 s[8:9], s[24:25], 6
	v_lshl_add_u64 v[4:5], v[2:3], 0, s[8:9]
	flat_load_dwordx2 v[4:5], v[4:5]
.LBB172_62:
	s_or_b64 exec, exec, s[10:11]
	s_waitcnt vmcnt(0) lgkmcnt(0)
	ds_write_b64 v14, v[4:5] offset:2112
	v_add_u32_e32 v10, 16, v12
	v_mov_b64_e32 v[4:5], 0
	v_cmp_gt_i32_e64 s[8:9], s28, v10
	v_mov_b64_e32 v[6:7], v[4:5]
	s_and_saveexec_b64 s[10:11], s[8:9]
	s_cbranch_execz .LBB172_64
; %bb.63:
	s_lshl_b64 s[8:9], s[24:25], 7
	v_lshl_add_u64 v[6:7], v[2:3], 0, s[8:9]
	flat_load_dwordx2 v[6:7], v[6:7]
.LBB172_64:
	s_or_b64 exec, exec, s[10:11]
	s_waitcnt vmcnt(0) lgkmcnt(0)
	ds_write_b64 v14, v[6:7] offset:4224
	v_add_u32_e32 v6, 24, v12
	v_cmp_gt_i32_e64 s[8:9], s28, v6
	s_and_saveexec_b64 s[10:11], s[8:9]
	s_cbranch_execz .LBB172_66
; %bb.65:
	v_mov_b32_e32 v4, 0xc0
	v_mad_u64_u32 v[4:5], s[8:9], s24, v4, v[2:3]
	s_mul_i32 s8, s25, 0xc0
	s_nop 0
	v_add_u32_e32 v5, s8, v5
	flat_load_dwordx2 v[4:5], v[4:5]
.LBB172_66:
	s_or_b64 exec, exec, s[10:11]
	s_waitcnt vmcnt(0) lgkmcnt(0)
	ds_write_b64 v14, v[4:5] offset:6336
	v_lshlrev_b32_e32 v4, 3, v0
	v_mov_b32_e32 v5, 0
	v_lshl_add_u64 v[2:3], v[2:3], 0, v[4:5]
	s_lshl_b64 s[8:9], s[28:29], 3
	v_mov_b32_e32 v0, s9
	v_subrev_co_u32_e64 v2, s[8:9], s8, v2
	v_add_u32_e32 v13, 0x108, v8
	s_nop 0
	v_subb_co_u32_e64 v3, s[8:9], v3, v0, s[8:9]
	s_mov_b64 s[8:9], 0x108
	s_nop 0
	v_lshl_add_u64 v[2:3], v[2:3], 0, s[8:9]
	v_add_u32_e32 v7, 0x210, v8
	v_add_u32_e32 v11, 0x318, v8
	v_cndmask_b32_e32 v25, v3, v25, vcc
	v_cndmask_b32_e32 v24, v2, v24, vcc
.LBB172_67:
	v_lshlrev_b32_e32 v0, 3, v8
	s_waitcnt lgkmcnt(0)
	s_barrier
	v_lshlrev_b32_e32 v2, 3, v12
	v_lshlrev_b32_e32 v3, 3, v13
	;; [unrolled: 1-line block ×3, first 2 shown]
	ds_read_b64 v[32:33], v0
	ds_read_b64 v[34:35], v2 offset:9088
	ds_read_b64 v[36:37], v3
	ds_read_b64 v[38:39], v4 offset:9088
	v_lshlrev_b32_e32 v0, 3, v7
	v_lshlrev_b32_e32 v2, 3, v10
	;; [unrolled: 1-line block ×4, first 2 shown]
	ds_read_b64 v[40:41], v0
	ds_read_b64 v[42:43], v2 offset:9088
	ds_read_b64 v[44:45], v3
	ds_read_b64 v[46:47], v4 offset:9088
	ds_read_b128 v[8:11], v1 offset:256
	ds_read_b128 v[0:3], v1 offset:272
	ds_read2_b64 v[12:15], v30 offset1:1
	ds_read2_b64 v[4:7], v30 offset0:2 offset1:3
	s_waitcnt lgkmcnt(10)
	v_fma_f64 v[30:31], v[32:33], v[34:35], 0
	s_waitcnt lgkmcnt(8)
	v_fmac_f64_e32 v[30:31], v[36:37], v[38:39]
	s_waitcnt lgkmcnt(6)
	v_fmac_f64_e32 v[30:31], v[40:41], v[42:43]
	;; [unrolled: 2-line block ×3, first 2 shown]
	s_waitcnt lgkmcnt(0)
	s_barrier
	ds_write_b64 v29, v[30:31]
	s_waitcnt lgkmcnt(0)
	s_barrier
	s_and_saveexec_b64 s[8:9], s[6:7]
	s_cbranch_execz .LBB172_69
; %bb.68:
	v_lshlrev_b32_e32 v42, 3, v28
	ds_read2_b64 v[30:33], v42 offset1:1
	ds_read2_b64 v[34:37], v42 offset0:2 offset1:3
	ds_read2_b64 v[38:41], v42 offset0:4 offset1:5
	s_waitcnt lgkmcnt(2)
	v_add_f64 v[18:19], v[18:19], v[30:31]
	v_add_f64 v[18:19], v[18:19], v[32:33]
	ds_read2_b64 v[30:33], v42 offset0:6 offset1:7
	s_waitcnt lgkmcnt(2)
	v_add_f64 v[18:19], v[18:19], v[34:35]
	v_add_f64 v[18:19], v[18:19], v[36:37]
	s_waitcnt lgkmcnt(1)
	v_add_f64 v[18:19], v[18:19], v[38:39]
	v_add_f64 v[18:19], v[18:19], v[40:41]
	;; [unrolled: 3-line block ×3, first 2 shown]
.LBB172_69:
	s_or_b64 exec, exec, s[8:9]
	v_fma_f64 v[8:9], v[12:13], v[8:9], 0
	v_fmac_f64_e32 v[8:9], v[14:15], v[10:11]
	v_fmac_f64_e32 v[8:9], v[4:5], v[0:1]
	;; [unrolled: 1-line block ×3, first 2 shown]
	s_barrier
	ds_write_b64 v29, v[8:9]
	s_waitcnt lgkmcnt(0)
	s_barrier
	s_and_saveexec_b64 s[6:7], s[4:5]
	s_cbranch_execz .LBB172_71
; %bb.70:
	v_lshlrev_b32_e32 v14, 3, v28
	ds_read2_b64 v[0:3], v14 offset1:1
	ds_read2_b64 v[4:7], v14 offset0:2 offset1:3
	ds_read2_b64 v[8:11], v14 offset0:4 offset1:5
	s_waitcnt lgkmcnt(2)
	v_add_f64 v[0:1], v[18:19], v[0:1]
	v_add_f64 v[12:13], v[0:1], v[2:3]
	ds_read2_b64 v[0:3], v14 offset0:6 offset1:7
	s_waitcnt lgkmcnt(2)
	v_add_f64 v[4:5], v[12:13], v[4:5]
	v_add_f64 v[4:5], v[4:5], v[6:7]
	s_waitcnt lgkmcnt(1)
	v_add_f64 v[4:5], v[4:5], v[8:9]
	v_add_f64 v[4:5], v[4:5], v[10:11]
	;; [unrolled: 3-line block ×3, first 2 shown]
.LBB172_71:
	s_or_b64 exec, exec, s[6:7]
	s_mul_hi_u32 s4, s3, s26
	s_mul_i32 s33, s33, s26
	s_add_i32 s4, s4, s33
	s_mul_i32 s6, s3, s26
	s_mul_i32 s4, s4, s27
	s_mul_hi_u32 s5, s6, s27
	s_add_i32 s5, s5, s4
	s_mul_i32 s4, s6, s27
	s_lshl_b64 s[4:5], s[4:5], 3
	s_add_u32 s6, s34, s4
	s_mul_i32 s4, s2, s3
	s_addc_u32 s7, s35, s5
	s_ashr_i32 s5, s4, 31
	s_lshl_b64 s[4:5], s[4:5], 3
	s_add_u32 s6, s6, s4
	v_cmp_le_i32_e32 vcc, s28, v26
	s_addc_u32 s7, s7, s5
	s_and_b64 vcc, s[38:39], vcc
	s_cmp_lt_i32 s2, 1
	v_lshlrev_b32_e32 v0, 3, v26
	s_barrier
	s_cbranch_scc1 .LBB172_78
; %bb.72:
	s_mul_i32 s3, s30, s21
	s_mul_hi_u32 s4, s30, s20
	s_add_i32 s3, s4, s3
	s_mul_i32 s4, s31, s20
	s_add_i32 s5, s3, s4
	s_mul_i32 s4, s30, s20
	s_lshl_b64 s[4:5], s[4:5], 3
	v_mov_b32_e32 v1, s5
	v_subrev_co_u32_e64 v2, s[4:5], s4, v20
	v_mov_b32_e32 v4, s37
	s_nop 0
	v_subb_co_u32_e64 v3, s[4:5], v21, v1, s[4:5]
	v_subrev_co_u32_e64 v6, s[4:5], s36, v24
	v_lshlrev_b32_e32 v1, 2, v76
	s_nop 0
	v_subb_co_u32_e64 v7, s[4:5], v25, v4, s[4:5]
	v_lshlrev_b64 v[4:5], 3, v[22:23]
	v_sub_co_u32_e64 v4, s[4:5], v6, v4
	s_ashr_i32 s29, s28, 31
	s_nop 0
	v_subb_co_u32_e64 v5, s[4:5], v7, v5, s[4:5]
	v_mad_u64_u32 v[6:7], s[4:5], v1, s24, 0
	v_mov_b32_e32 v8, v7
	v_mad_u64_u32 v[8:9], s[4:5], v1, s25, v[8:9]
	v_mov_b32_e32 v7, v8
	s_movk_i32 s4, 0xff00
	v_lshl_add_u64 v[4:5], v[6:7], 3, v[4:5]
	s_mov_b32 s5, -1
	v_lshl_add_u64 v[6:7], v[4:5], 0, s[4:5]
	v_lshl_add_u64 v[4:5], s[28:29], 3, v[6:7]
	v_lshl_add_u64 v[8:9], v[4:5], 0, -8
	v_mov_b32_e32 v5, 0
	v_mov_b32_e32 v1, v5
	v_lshl_add_u64 v[6:7], v[6:7], 0, v[0:1]
	v_and_b32_e32 v4, 48, v26
	v_and_b32_e32 v10, 15, v26
	v_cndmask_b32_e32 v6, v6, v8, vcc
	v_lshlrev_b32_e32 v8, 3, v4
	s_movk_i32 s3, 0x218
	v_lshrrev_b32_e32 v11, 4, v27
	v_mad_u32_u24 v78, v10, s3, v8
	v_or_b32_e32 v8, 0x78, v0
	v_mad_u32_u24 v79, v10, s3, v8
	v_lshlrev_b32_e32 v8, 5, v11
	v_mad_u32_u24 v80, v10, s3, v8
	v_mov_b32_e32 v8, 0x2180
	v_lshl_add_u32 v81, v76, 5, v8
	v_lshlrev_b32_e32 v8, 3, v11
	v_mad_u32_u24 v83, v10, s3, v8
	s_mul_i32 s3, s25, 24
	s_mul_hi_u32 s14, s24, 24
	s_add_i32 s15, s14, s3
	s_mul_i32 s3, s25, 0x90
	s_mul_hi_u32 s26, s24, 0x90
	s_add_i32 s27, s26, s3
	;; [unrolled: 3-line block ×8, first 2 shown]
	s_mul_i32 s3, s25, 0x188
	s_mul_hi_u32 s33, s24, 0x188
	s_movk_i32 s8, 0x860
	s_add_i32 s43, s33, s3
	s_mul_i32 s3, s25, 0x108
	s_mul_hi_u32 s33, s24, 0x108
	v_mad_u32_u24 v82, v76, s8, v0
	s_lshl_b64 s[8:9], s[24:25], 3
	s_lshl_b64 s[10:11], s[24:25], 4
	;; [unrolled: 1-line block ×4, first 2 shown]
	s_add_i32 s45, s33, s3
	s_mul_i32 s3, s25, 0x88
	s_mul_hi_u32 s25, s24, 0x88
	v_cndmask_b32_e32 v7, v7, v9, vcc
	v_add_u32_e32 v1, 0x2180, v0
	v_add_u32_e32 v77, 0x2380, v0
	v_cmp_gt_u32_e64 s[4:5], 64, v27
	s_mul_i32 s14, s24, 24
	s_mul_i32 s26, s24, 0x90
	;; [unrolled: 1-line block ×10, first 2 shown]
	s_add_i32 s25, s25, s3
	s_mulk_i32 s24, 0x88
	v_or_b32_e32 v84, v4, v10
	s_mov_b32 s3, 0
	s_branch .LBB172_74
.LBB172_73:                             ;   in Loop: Header=BB172_74 Depth=1
	s_or_b64 exec, exec, s[46:47]
	v_fmac_f64_e32 v[18:19], v[8:9], v[20:21]
	v_fmac_f64_e32 v[18:19], v[12:13], v[22:23]
	;; [unrolled: 1-line block ×15, first 2 shown]
	s_add_i32 s3, s3, 64
	s_add_i32 s2, s2, -1
	v_fmac_f64_e32 v[18:19], v[60:61], v[74:75]
	s_cmp_eq_u32 s2, 0
	v_lshl_add_u64 v[6:7], v[6:7], 0, s[12:13]
	s_barrier
	s_cbranch_scc1 .LBB172_78
.LBB172_74:                             ; =>This Inner Loop Header: Depth=1
	s_and_saveexec_b64 s[46:47], s[16:17]
	s_cbranch_execz .LBB172_76
; %bb.75:                               ;   in Loop: Header=BB172_74 Depth=1
	s_mul_i32 s33, s3, s21
	s_mul_hi_u32 s48, s3, s20
	s_add_i32 s49, s48, s33
	s_mul_i32 s48, s3, s20
	v_lshl_add_u64 v[8:9], s[48:49], 3, v[2:3]
	flat_load_dwordx2 v[8:9], v[8:9]
	s_waitcnt vmcnt(0) lgkmcnt(0)
	ds_write_b64 v1, v[8:9]
.LBB172_76:                             ;   in Loop: Header=BB172_74 Depth=1
	s_or_b64 exec, exec, s[46:47]
	s_waitcnt lgkmcnt(0)
	s_barrier
	flat_load_dwordx2 v[8:9], v[6:7]
	v_lshl_add_u64 v[14:15], v[6:7], 0, s[8:9]
	v_lshl_add_u64 v[20:21], v[6:7], 0, s[10:11]
	flat_load_dwordx2 v[12:13], v[14:15]
	flat_load_dwordx2 v[10:11], v[20:21]
	v_lshl_add_u64 v[14:15], v[6:7], 0, s[14:15]
	flat_load_dwordx2 v[14:15], v[14:15]
	ds_read_b64 v[22:23], v77
	ds_read_b64 v[20:21], v81
	v_lshl_add_u64 v[36:37], v[6:7], 0, s[18:19]
	v_lshl_add_u64 v[38:39], v[6:7], 0, s[24:25]
	;; [unrolled: 1-line block ×12, first 2 shown]
	s_waitcnt vmcnt(0) lgkmcnt(0)
	v_mul_f64 v[24:25], v[8:9], v[22:23]
	ds_write_b64 v82, v[24:25]
	v_mul_f64 v[24:25], v[12:13], v[22:23]
	v_mul_f64 v[26:27], v[10:11], v[22:23]
	v_mul_f64 v[28:29], v[14:15], v[22:23]
	ds_read_b64 v[22:23], v81 offset:8
	ds_write_b64 v82, v[24:25] offset:536
	ds_read_b64 v[24:25], v81 offset:16
	ds_write_b64 v82, v[26:27] offset:1072
	;; [unrolled: 2-line block ×3, first 2 shown]
	s_waitcnt lgkmcnt(0)
	s_barrier
	ds_read2_b64 v[68:71], v80 offset1:1
	ds_read2_b64 v[72:75], v80 offset0:2 offset1:3
	s_waitcnt lgkmcnt(0)
	s_barrier
	flat_load_dwordx2 v[34:35], v[36:37]
	flat_load_dwordx2 v[32:33], v[38:39]
	;; [unrolled: 1-line block ×4, first 2 shown]
	ds_read_b64 v[38:39], v77
	ds_read_b64 v[36:37], v81 offset:128
	v_add_f64 v[68:69], v[68:69], 0
	v_add_f64 v[68:69], v[68:69], v[70:71]
	v_add_f64 v[68:69], v[68:69], v[72:73]
	s_waitcnt vmcnt(0) lgkmcnt(0)
	v_mul_f64 v[40:41], v[34:35], v[38:39]
	v_mul_f64 v[42:43], v[32:33], v[38:39]
	ds_write_b64 v82, v[40:41]
	v_mul_f64 v[44:45], v[30:31], v[38:39]
	v_mul_f64 v[46:47], v[28:29], v[38:39]
	ds_read_b64 v[38:39], v81 offset:136
	ds_write_b64 v82, v[42:43] offset:536
	ds_read_b64 v[40:41], v81 offset:144
	ds_write_b64 v82, v[44:45] offset:1072
	;; [unrolled: 2-line block ×3, first 2 shown]
	s_waitcnt lgkmcnt(0)
	s_barrier
	ds_read2_b64 v[86:89], v80 offset1:1
	ds_read2_b64 v[90:93], v80 offset0:2 offset1:3
	s_waitcnt lgkmcnt(0)
	s_barrier
	flat_load_dwordx2 v[50:51], v[52:53]
	flat_load_dwordx2 v[48:49], v[54:55]
	;; [unrolled: 1-line block ×4, first 2 shown]
	ds_read_b64 v[54:55], v77
	ds_read_b64 v[52:53], v81 offset:256
	s_waitcnt vmcnt(0) lgkmcnt(0)
	v_mul_f64 v[56:57], v[50:51], v[54:55]
	v_mul_f64 v[58:59], v[48:49], v[54:55]
	ds_write_b64 v82, v[56:57]
	v_mul_f64 v[60:61], v[46:47], v[54:55]
	v_mul_f64 v[62:63], v[44:45], v[54:55]
	ds_read_b64 v[54:55], v81 offset:264
	ds_write_b64 v82, v[58:59] offset:536
	ds_read_b64 v[56:57], v81 offset:272
	ds_write_b64 v82, v[60:61] offset:1072
	;; [unrolled: 2-line block ×3, first 2 shown]
	s_waitcnt lgkmcnt(0)
	s_barrier
	ds_read2_b64 v[94:97], v80 offset1:1
	ds_read2_b64 v[98:101], v80 offset0:2 offset1:3
	s_waitcnt lgkmcnt(0)
	s_barrier
	flat_load_dwordx2 v[66:67], v[102:103]
	flat_load_dwordx2 v[64:65], v[104:105]
	;; [unrolled: 1-line block ×4, first 2 shown]
	v_add_f64 v[102:103], v[68:69], v[74:75]
	v_add_f64 v[68:69], v[86:87], 0
	;; [unrolled: 1-line block ×5, first 2 shown]
	ds_read_b64 v[70:71], v77
	ds_read_b64 v[68:69], v81 offset:384
	v_add_f64 v[72:73], v[94:95], 0
	v_add_f64 v[72:73], v[72:73], v[96:97]
	;; [unrolled: 1-line block ×4, first 2 shown]
	s_waitcnt vmcnt(0) lgkmcnt(0)
	v_mul_f64 v[72:73], v[66:67], v[70:71]
	v_mul_f64 v[74:75], v[64:65], v[70:71]
	ds_write_b64 v82, v[72:73]
	v_mul_f64 v[86:87], v[62:63], v[70:71]
	v_mul_f64 v[88:89], v[60:61], v[70:71]
	ds_read_b64 v[70:71], v81 offset:392
	ds_write_b64 v82, v[74:75] offset:536
	ds_read_b64 v[72:73], v81 offset:400
	ds_write_b64 v82, v[86:87] offset:1072
	;; [unrolled: 2-line block ×3, first 2 shown]
	s_waitcnt lgkmcnt(0)
	s_barrier
	ds_read2_b64 v[86:89], v80 offset1:1
	ds_read2_b64 v[90:93], v80 offset0:2 offset1:3
	s_waitcnt lgkmcnt(0)
	s_barrier
	v_add_f64 v[86:87], v[86:87], 0
	v_add_f64 v[86:87], v[86:87], v[88:89]
	v_add_f64 v[86:87], v[86:87], v[90:91]
	v_add_f64 v[86:87], v[86:87], v[92:93]
	ds_write2_b64 v83, v[102:103], v[104:105] offset1:16
	ds_write2_b64 v83, v[94:95], v[86:87] offset0:32 offset1:48
	s_waitcnt lgkmcnt(0)
	s_barrier
	s_and_saveexec_b64 s[46:47], s[4:5]
	s_cbranch_execz .LBB172_73
; %bb.77:                               ;   in Loop: Header=BB172_74 Depth=1
	ds_read2_b64 v[86:89], v78 offset1:1
	ds_read2_b64 v[90:93], v78 offset0:2 offset1:3
	ds_read2_b64 v[94:97], v78 offset0:4 offset1:5
	;; [unrolled: 1-line block ×3, first 2 shown]
	v_add_u32_e32 v4, s3, v84
	s_waitcnt lgkmcnt(3)
	v_add_f64 v[86:87], v[86:87], v[88:89]
	s_waitcnt lgkmcnt(2)
	v_add_f64 v[86:87], v[86:87], v[90:91]
	v_add_f64 v[86:87], v[86:87], v[92:93]
	s_waitcnt lgkmcnt(1)
	v_add_f64 v[90:91], v[86:87], v[94:95]
	ds_read2_b64 v[86:89], v78 offset0:8 offset1:9
	v_add_f64 v[90:91], v[90:91], v[96:97]
	s_waitcnt lgkmcnt(1)
	v_add_f64 v[94:95], v[90:91], v[98:99]
	ds_read2_b64 v[90:93], v78 offset0:10 offset1:11
	v_add_f64 v[94:95], v[94:95], v[100:101]
	s_waitcnt lgkmcnt(1)
	v_add_f64 v[86:87], v[94:95], v[86:87]
	v_add_f64 v[94:95], v[86:87], v[88:89]
	ds_read2_b64 v[86:89], v78 offset0:12 offset1:13
	s_waitcnt lgkmcnt(1)
	v_add_f64 v[90:91], v[94:95], v[90:91]
	ds_read_b64 v[94:95], v78 offset:112
	ds_read_b64 v[96:97], v79
	v_add_f64 v[90:91], v[90:91], v[92:93]
	s_waitcnt lgkmcnt(2)
	v_add_f64 v[86:87], v[90:91], v[86:87]
	v_add_f64 v[86:87], v[86:87], v[88:89]
	s_waitcnt lgkmcnt(1)
	v_add_f64 v[86:87], v[86:87], v[94:95]
	s_waitcnt lgkmcnt(0)
	v_add_f64 v[86:87], v[86:87], v[96:97]
	v_lshl_add_u64 v[88:89], v[4:5], 3, s[6:7]
	global_store_dwordx2 v[88:89], v[86:87], off
	s_branch .LBB172_73
.LBB172_78:
	s_movk_i32 s2, 0x218
	s_or_b64 s[0:1], s[0:1], vcc
	v_mad_u32_u24 v1, v76, s2, v0
	s_xor_b64 s[0:1], s[0:1], -1
	ds_write_b64 v1, v[18:19]
	s_waitcnt lgkmcnt(0)
	s_barrier
	s_and_saveexec_b64 s[2:3], s[0:1]
	s_cbranch_execz .LBB172_80
; %bb.79:
	ds_read2_b64 v[2:5], v0 offset1:67
	ds_read2_b64 v[6:9], v0 offset0:134 offset1:201
	s_waitcnt lgkmcnt(1)
	v_add_f64 v[0:1], v[2:3], v[4:5]
	s_waitcnt lgkmcnt(0)
	v_add_f64 v[0:1], v[0:1], v[6:7]
	v_add_f64 v[0:1], v[0:1], v[8:9]
	v_lshl_add_u64 v[2:3], v[16:17], 3, s[6:7]
	global_store_dwordx2 v[2:3], v[0:1], off
.LBB172_80:
	s_endpgm
	.section	.rodata,"a",@progbits
	.p2align	6, 0x0
	.amdhsa_kernel _ZL26rocblas_hemvn_kernel_lowerILb0ELi64ELi4ELi33ELi32ELi16ElPKdPKS1_PdEviT6_lT7_lT5_lS6_lS7_lS5_lT8_i
		.amdhsa_group_segment_fixed_size 9600
		.amdhsa_private_segment_fixed_size 0
		.amdhsa_kernarg_size 376
		.amdhsa_user_sgpr_count 2
		.amdhsa_user_sgpr_dispatch_ptr 0
		.amdhsa_user_sgpr_queue_ptr 0
		.amdhsa_user_sgpr_kernarg_segment_ptr 1
		.amdhsa_user_sgpr_dispatch_id 0
		.amdhsa_user_sgpr_kernarg_preload_length 0
		.amdhsa_user_sgpr_kernarg_preload_offset 0
		.amdhsa_user_sgpr_private_segment_size 0
		.amdhsa_uses_dynamic_stack 0
		.amdhsa_enable_private_segment 0
		.amdhsa_system_sgpr_workgroup_id_x 1
		.amdhsa_system_sgpr_workgroup_id_y 0
		.amdhsa_system_sgpr_workgroup_id_z 1
		.amdhsa_system_sgpr_workgroup_info 0
		.amdhsa_system_vgpr_workitem_id 1
		.amdhsa_next_free_vgpr 110
		.amdhsa_next_free_sgpr 50
		.amdhsa_accum_offset 112
		.amdhsa_reserve_vcc 1
		.amdhsa_float_round_mode_32 0
		.amdhsa_float_round_mode_16_64 0
		.amdhsa_float_denorm_mode_32 3
		.amdhsa_float_denorm_mode_16_64 3
		.amdhsa_dx10_clamp 1
		.amdhsa_ieee_mode 1
		.amdhsa_fp16_overflow 0
		.amdhsa_tg_split 0
		.amdhsa_exception_fp_ieee_invalid_op 0
		.amdhsa_exception_fp_denorm_src 0
		.amdhsa_exception_fp_ieee_div_zero 0
		.amdhsa_exception_fp_ieee_overflow 0
		.amdhsa_exception_fp_ieee_underflow 0
		.amdhsa_exception_fp_ieee_inexact 0
		.amdhsa_exception_int_div_zero 0
	.end_amdhsa_kernel
	.section	.text._ZL26rocblas_hemvn_kernel_lowerILb0ELi64ELi4ELi33ELi32ELi16ElPKdPKS1_PdEviT6_lT7_lT5_lS6_lS7_lS5_lT8_i,"axG",@progbits,_ZL26rocblas_hemvn_kernel_lowerILb0ELi64ELi4ELi33ELi32ELi16ElPKdPKS1_PdEviT6_lT7_lT5_lS6_lS7_lS5_lT8_i,comdat
.Lfunc_end172:
	.size	_ZL26rocblas_hemvn_kernel_lowerILb0ELi64ELi4ELi33ELi32ELi16ElPKdPKS1_PdEviT6_lT7_lT5_lS6_lS7_lS5_lT8_i, .Lfunc_end172-_ZL26rocblas_hemvn_kernel_lowerILb0ELi64ELi4ELi33ELi32ELi16ElPKdPKS1_PdEviT6_lT7_lT5_lS6_lS7_lS5_lT8_i
                                        ; -- End function
	.section	.AMDGPU.csdata,"",@progbits
; Kernel info:
; codeLenInByte = 6068
; NumSgprs: 56
; NumVgprs: 110
; NumAgprs: 0
; TotalNumVgprs: 110
; ScratchSize: 0
; MemoryBound: 0
; FloatMode: 240
; IeeeMode: 1
; LDSByteSize: 9600 bytes/workgroup (compile time only)
; SGPRBlocks: 6
; VGPRBlocks: 13
; NumSGPRsForWavesPerEU: 56
; NumVGPRsForWavesPerEU: 110
; AccumOffset: 112
; Occupancy: 4
; WaveLimiterHint : 1
; COMPUTE_PGM_RSRC2:SCRATCH_EN: 0
; COMPUTE_PGM_RSRC2:USER_SGPR: 2
; COMPUTE_PGM_RSRC2:TRAP_HANDLER: 0
; COMPUTE_PGM_RSRC2:TGID_X_EN: 1
; COMPUTE_PGM_RSRC2:TGID_Y_EN: 0
; COMPUTE_PGM_RSRC2:TGID_Z_EN: 1
; COMPUTE_PGM_RSRC2:TIDIG_COMP_CNT: 1
; COMPUTE_PGM_RSRC3_GFX90A:ACCUM_OFFSET: 27
; COMPUTE_PGM_RSRC3_GFX90A:TG_SPLIT: 0
	.section	.text._ZL36rocblas_hemvn_kernel_lower_block_sumILi64ElPKdPKPddEviT1_lS5_lT2_lT0_lPT3_i,"axG",@progbits,_ZL36rocblas_hemvn_kernel_lower_block_sumILi64ElPKdPKPddEviT1_lS5_lT2_lT0_lPT3_i,comdat
	.globl	_ZL36rocblas_hemvn_kernel_lower_block_sumILi64ElPKdPKPddEviT1_lS5_lT2_lT0_lPT3_i ; -- Begin function _ZL36rocblas_hemvn_kernel_lower_block_sumILi64ElPKdPKPddEviT1_lS5_lT2_lT0_lPT3_i
	.p2align	8
	.type	_ZL36rocblas_hemvn_kernel_lower_block_sumILi64ElPKdPKPddEviT1_lS5_lT2_lT0_lPT3_i,@function
_ZL36rocblas_hemvn_kernel_lower_block_sumILi64ElPKdPKPddEviT1_lS5_lT2_lT0_lPT3_i: ; @_ZL36rocblas_hemvn_kernel_lower_block_sumILi64ElPKdPKPddEviT1_lS5_lT2_lT0_lPT3_i
; %bb.0:
	s_load_dwordx8 s[8:15], s[0:1], 0x8
	s_mov_b32 s16, s3
	s_waitcnt lgkmcnt(0)
	s_mul_i32 s3, s3, s11
	s_mul_hi_u32 s4, s16, s10
	s_add_i32 s5, s4, s3
	s_mul_i32 s4, s16, s10
	s_lshl_b64 s[4:5], s[4:5], 3
	s_add_u32 s4, s8, s4
	s_addc_u32 s5, s9, s5
	s_load_dwordx2 s[8:9], s[4:5], 0x0
	s_mul_i32 s3, s16, s15
	s_mul_hi_u32 s4, s16, s14
	s_add_i32 s5, s4, s3
	s_mul_i32 s4, s16, s14
	s_lshl_b64 s[4:5], s[4:5], 3
	s_add_u32 s4, s12, s4
	s_addc_u32 s5, s13, s5
	s_load_dwordx2 s[12:13], s[4:5], 0x0
	s_waitcnt lgkmcnt(0)
	v_cmp_eq_f64_e64 s[4:5], s[8:9], 0
	v_cmp_eq_f64_e64 s[6:7], s[12:13], 1.0
	s_and_b64 s[4:5], s[4:5], s[6:7]
	s_and_b64 vcc, exec, s[4:5]
	s_cbranch_vccnz .LBB173_19
; %bb.1:
	s_load_dwordx2 s[10:11], s[0:1], 0x28
	s_mov_b32 s17, 0
	s_lshl_b64 s[14:15], s[16:17], 3
	s_load_dword s18, s[0:1], 0x0
	s_load_dwordx4 s[4:7], s[0:1], 0x30
	v_lshl_or_b32 v6, s2, 6, v0
	s_waitcnt lgkmcnt(0)
	s_add_u32 s10, s10, s14
	s_addc_u32 s11, s11, s15
	s_load_dwordx2 s[10:11], s[10:11], 0x0
	s_lshl_b64 s[4:5], s[4:5], 3
	v_cmp_neq_f64_e64 s[20:21], s[8:9], 0
	s_mov_b64 s[14:15], 0
	s_waitcnt lgkmcnt(0)
	s_add_u32 s10, s10, s4
	s_addc_u32 s11, s11, s5
	s_and_b64 vcc, exec, s[20:21]
	v_cmp_gt_i32_e64 s[4:5], s18, v6
	s_cbranch_vccnz .LBB173_6
; %bb.2:
	s_mov_b64 s[20:21], 0
                                        ; implicit-def: $vgpr0_vgpr1
                                        ; implicit-def: $vgpr2_vgpr3
	s_and_saveexec_b64 s[22:23], s[4:5]
	s_cbranch_execz .LBB173_7
; %bb.3:
	v_ashrrev_i32_e32 v2, 31, v6
	v_cmp_eq_f64_e64 s[4:5], s[12:13], 0
	v_mul_lo_u32 v4, v6, s7
	v_mul_lo_u32 v5, v2, s6
	v_mad_u64_u32 v[2:3], s[14:15], v6, s6, 0
	v_mov_b64_e32 v[0:1], 0
	v_add3_u32 v3, v3, v4, v5
	s_and_b64 vcc, exec, s[4:5]
	s_cbranch_vccnz .LBB173_5
; %bb.4:
	v_lshl_add_u64 v[0:1], v[2:3], 3, s[10:11]
	global_load_dwordx2 v[0:1], v[0:1], off
	s_waitcnt vmcnt(0)
	v_mul_f64 v[0:1], s[12:13], v[0:1]
.LBB173_5:
	s_mov_b64 s[14:15], exec
	s_or_b64 exec, exec, s[22:23]
	s_and_b64 vcc, exec, s[20:21]
	s_cbranch_vccnz .LBB173_8
	s_branch .LBB173_17
.LBB173_6:
                                        ; implicit-def: $vgpr0_vgpr1
                                        ; implicit-def: $vgpr2_vgpr3
	s_cbranch_execnz .LBB173_8
	s_branch .LBB173_17
.LBB173_7:
	s_or_b64 exec, exec, s[22:23]
	s_and_b64 vcc, exec, s[20:21]
	s_cbranch_vccz .LBB173_17
.LBB173_8:
	v_cmp_gt_i32_e32 vcc, s18, v6
                                        ; implicit-def: $vgpr0_vgpr1
                                        ; implicit-def: $vgpr2_vgpr3
	s_and_saveexec_b64 s[4:5], vcc
	s_cbranch_execz .LBB173_16
; %bb.9:
	s_load_dword s3, s[0:1], 0x58
	v_mov_b64_e32 v[4:5], 0
	s_waitcnt lgkmcnt(0)
	s_cmp_ge_i32 s2, s3
	s_cbranch_scc1 .LBB173_12
; %bb.10:
	s_ashr_i32 s19, s18, 31
	s_mul_i32 s17, s2, s18
	s_load_dwordx2 s[0:1], s[0:1], 0x48
	v_add_u32_e32 v0, s17, v6
	s_mul_hi_u32 s17, s18, s16
	s_mul_i32 s20, s19, s16
	s_add_i32 s17, s17, s20
	s_mul_i32 s16, s18, s16
	s_mul_i32 s17, s17, s3
	s_mul_hi_u32 s20, s16, s3
	s_add_i32 s17, s20, s17
	s_mul_i32 s16, s16, s3
	s_lshl_b64 s[16:17], s[16:17], 3
	s_waitcnt lgkmcnt(0)
	s_add_u32 s0, s0, s16
	v_ashrrev_i32_e32 v1, 31, v0
	s_addc_u32 s1, s1, s17
	v_lshl_add_u64 v[0:1], v[0:1], 3, s[0:1]
	s_lshl_b64 s[0:1], s[18:19], 3
	v_mov_b64_e32 v[4:5], 0
.LBB173_11:                             ; =>This Inner Loop Header: Depth=1
	global_load_dwordx2 v[2:3], v[0:1], off
	s_add_i32 s2, s2, 1
	v_lshl_add_u64 v[0:1], v[0:1], 0, s[0:1]
	s_cmp_ge_i32 s2, s3
	s_waitcnt vmcnt(0)
	v_add_f64 v[4:5], v[4:5], v[2:3]
	s_cbranch_scc0 .LBB173_11
.LBB173_12:
	v_cmp_eq_f64_e64 s[2:3], s[12:13], 0
	v_ashrrev_i32_e32 v0, 31, v6
	s_mov_b64 s[0:1], 0
	s_and_b64 vcc, exec, s[2:3]
	v_mul_lo_u32 v7, v6, s7
	v_mul_lo_u32 v8, v0, s6
	s_cbranch_vccz .LBB173_20
; %bb.13:
	v_mad_u64_u32 v[2:3], s[2:3], v6, s6, 0
	v_mul_f64 v[0:1], s[8:9], v[4:5]
	v_add3_u32 v3, v3, v7, v8
	s_andn2_b64 vcc, exec, s[0:1]
	s_cbranch_vccnz .LBB173_15
.LBB173_14:
	v_mad_u64_u32 v[2:3], s[0:1], v6, s6, 0
	v_add3_u32 v3, v3, v7, v8
	v_lshl_add_u64 v[0:1], v[2:3], 3, s[10:11]
	global_load_dwordx2 v[0:1], v[0:1], off
	s_waitcnt vmcnt(0)
	v_mul_f64 v[0:1], s[12:13], v[0:1]
	v_fmac_f64_e32 v[0:1], s[8:9], v[4:5]
.LBB173_15:
	s_or_b64 s[14:15], s[14:15], exec
.LBB173_16:
	s_or_b64 exec, exec, s[4:5]
.LBB173_17:
	s_and_saveexec_b64 s[0:1], s[14:15]
	s_cbranch_execz .LBB173_19
; %bb.18:
	v_lshl_add_u64 v[2:3], v[2:3], 3, s[10:11]
	global_store_dwordx2 v[2:3], v[0:1], off
.LBB173_19:
	s_endpgm
.LBB173_20:
                                        ; implicit-def: $vgpr0_vgpr1
                                        ; implicit-def: $vgpr2_vgpr3
	s_branch .LBB173_14
	.section	.rodata,"a",@progbits
	.p2align	6, 0x0
	.amdhsa_kernel _ZL36rocblas_hemvn_kernel_lower_block_sumILi64ElPKdPKPddEviT1_lS5_lT2_lT0_lPT3_i
		.amdhsa_group_segment_fixed_size 0
		.amdhsa_private_segment_fixed_size 0
		.amdhsa_kernarg_size 344
		.amdhsa_user_sgpr_count 2
		.amdhsa_user_sgpr_dispatch_ptr 0
		.amdhsa_user_sgpr_queue_ptr 0
		.amdhsa_user_sgpr_kernarg_segment_ptr 1
		.amdhsa_user_sgpr_dispatch_id 0
		.amdhsa_user_sgpr_kernarg_preload_length 0
		.amdhsa_user_sgpr_kernarg_preload_offset 0
		.amdhsa_user_sgpr_private_segment_size 0
		.amdhsa_uses_dynamic_stack 0
		.amdhsa_enable_private_segment 0
		.amdhsa_system_sgpr_workgroup_id_x 1
		.amdhsa_system_sgpr_workgroup_id_y 0
		.amdhsa_system_sgpr_workgroup_id_z 1
		.amdhsa_system_sgpr_workgroup_info 0
		.amdhsa_system_vgpr_workitem_id 0
		.amdhsa_next_free_vgpr 9
		.amdhsa_next_free_sgpr 24
		.amdhsa_accum_offset 12
		.amdhsa_reserve_vcc 1
		.amdhsa_float_round_mode_32 0
		.amdhsa_float_round_mode_16_64 0
		.amdhsa_float_denorm_mode_32 3
		.amdhsa_float_denorm_mode_16_64 3
		.amdhsa_dx10_clamp 1
		.amdhsa_ieee_mode 1
		.amdhsa_fp16_overflow 0
		.amdhsa_tg_split 0
		.amdhsa_exception_fp_ieee_invalid_op 0
		.amdhsa_exception_fp_denorm_src 0
		.amdhsa_exception_fp_ieee_div_zero 0
		.amdhsa_exception_fp_ieee_overflow 0
		.amdhsa_exception_fp_ieee_underflow 0
		.amdhsa_exception_fp_ieee_inexact 0
		.amdhsa_exception_int_div_zero 0
	.end_amdhsa_kernel
	.section	.text._ZL36rocblas_hemvn_kernel_lower_block_sumILi64ElPKdPKPddEviT1_lS5_lT2_lT0_lPT3_i,"axG",@progbits,_ZL36rocblas_hemvn_kernel_lower_block_sumILi64ElPKdPKPddEviT1_lS5_lT2_lT0_lPT3_i,comdat
.Lfunc_end173:
	.size	_ZL36rocblas_hemvn_kernel_lower_block_sumILi64ElPKdPKPddEviT1_lS5_lT2_lT0_lPT3_i, .Lfunc_end173-_ZL36rocblas_hemvn_kernel_lower_block_sumILi64ElPKdPKPddEviT1_lS5_lT2_lT0_lPT3_i
                                        ; -- End function
	.section	.AMDGPU.csdata,"",@progbits
; Kernel info:
; codeLenInByte = 684
; NumSgprs: 30
; NumVgprs: 9
; NumAgprs: 0
; TotalNumVgprs: 9
; ScratchSize: 0
; MemoryBound: 0
; FloatMode: 240
; IeeeMode: 1
; LDSByteSize: 0 bytes/workgroup (compile time only)
; SGPRBlocks: 3
; VGPRBlocks: 1
; NumSGPRsForWavesPerEU: 30
; NumVGPRsForWavesPerEU: 9
; AccumOffset: 12
; Occupancy: 8
; WaveLimiterHint : 1
; COMPUTE_PGM_RSRC2:SCRATCH_EN: 0
; COMPUTE_PGM_RSRC2:USER_SGPR: 2
; COMPUTE_PGM_RSRC2:TRAP_HANDLER: 0
; COMPUTE_PGM_RSRC2:TGID_X_EN: 1
; COMPUTE_PGM_RSRC2:TGID_Y_EN: 0
; COMPUTE_PGM_RSRC2:TGID_Z_EN: 1
; COMPUTE_PGM_RSRC2:TIDIG_COMP_CNT: 0
; COMPUTE_PGM_RSRC3_GFX90A:ACCUM_OFFSET: 2
; COMPUTE_PGM_RSRC3_GFX90A:TG_SPLIT: 0
	.section	.text._ZL26rocblas_hemvn_kernel_lowerILb0ELi64ELi4ELi33ELi32ELi16EiPKdPKS1_PdEviT6_lT7_lT5_lS6_lS7_lS5_lT8_i,"axG",@progbits,_ZL26rocblas_hemvn_kernel_lowerILb0ELi64ELi4ELi33ELi32ELi16EiPKdPKS1_PdEviT6_lT7_lT5_lS6_lS7_lS5_lT8_i,comdat
	.globl	_ZL26rocblas_hemvn_kernel_lowerILb0ELi64ELi4ELi33ELi32ELi16EiPKdPKS1_PdEviT6_lT7_lT5_lS6_lS7_lS5_lT8_i ; -- Begin function _ZL26rocblas_hemvn_kernel_lowerILb0ELi64ELi4ELi33ELi32ELi16EiPKdPKS1_PdEviT6_lT7_lT5_lS6_lS7_lS5_lT8_i
	.p2align	8
	.type	_ZL26rocblas_hemvn_kernel_lowerILb0ELi64ELi4ELi33ELi32ELi16EiPKdPKS1_PdEviT6_lT7_lT5_lS6_lS7_lS5_lT8_i,@function
_ZL26rocblas_hemvn_kernel_lowerILb0ELi64ELi4ELi33ELi32ELi16EiPKdPKS1_PdEviT6_lT7_lT5_lS6_lS7_lS5_lT8_i: ; @_ZL26rocblas_hemvn_kernel_lowerILb0ELi64ELi4ELi33ELi32ELi16EiPKdPKS1_PdEviT6_lT7_lT5_lS6_lS7_lS5_lT8_i
; %bb.0:
	s_load_dwordx2 s[4:5], s[0:1], 0x84
	s_add_u32 s12, s0, 0x78
	s_mov_b32 s20, s3
	s_addc_u32 s13, s1, 0
	s_waitcnt lgkmcnt(0)
	s_and_b32 s3, s5, 0xffff
	s_lshr_b32 s5, s4, 16
	s_and_b32 s4, s4, 0xffff
	s_mul_i32 s4, s5, s4
	s_mul_i32 s4, s4, s3
	s_cmpk_lg_i32 s4, 0x100
	s_cbranch_scc1 .LBB174_80
; %bb.1:
	s_load_dwordx8 s[4:11], s[0:1], 0x8
	s_load_dwordx4 s[16:19], s[0:1], 0x58
	s_waitcnt lgkmcnt(0)
	s_mul_i32 s3, s20, s7
	s_mul_hi_u32 s7, s20, s6
	s_mul_i32 s6, s20, s6
	s_add_i32 s7, s7, s3
	s_lshl_b64 s[6:7], s[6:7], 3
	s_mul_i32 s14, s20, s19
	s_add_u32 s4, s4, s6
	s_mul_hi_u32 s3, s20, s18
	s_addc_u32 s5, s5, s7
	s_add_i32 s7, s3, s14
	s_mul_i32 s6, s20, s18
	s_lshl_b64 s[6:7], s[6:7], 3
	s_add_u32 s6, s16, s6
	s_addc_u32 s7, s17, s7
	s_load_dwordx2 s[4:5], s[4:5], 0x0
	s_nop 0
	s_load_dwordx2 s[14:15], s[6:7], 0x0
	s_waitcnt lgkmcnt(0)
	v_cmp_eq_f64_e64 s[6:7], s[4:5], 0
	v_cmp_eq_f64_e64 s[14:15], s[14:15], 1.0
	s_and_b64 s[14:15], s[6:7], s[14:15]
	s_and_b64 vcc, exec, s[14:15]
	s_cbranch_vccnz .LBB174_80
; %bb.2:
	s_mov_b32 s21, 0
	s_mov_b64 s[14:15], 0
	v_cmp_neq_f64_e64 s[16:17], s[4:5], 0
	s_and_b64 vcc, exec, s[6:7]
	s_mov_b64 s[6:7], 0
	s_cbranch_vccnz .LBB174_4
; %bb.3:
	s_lshl_b64 s[4:5], s[20:21], 3
	s_add_u32 s4, s8, s4
	s_addc_u32 s5, s9, s5
	s_load_dwordx2 s[4:5], s[4:5], 0x0
	s_lshl_b64 s[6:7], s[10:11], 3
	s_waitcnt lgkmcnt(0)
	s_add_u32 s6, s4, s6
	s_addc_u32 s7, s5, s7
.LBB174_4:
	v_cndmask_b32_e64 v1, 0, 1, s[16:17]
	v_cmp_ne_u32_e64 s[4:5], 1, v1
	s_andn2_b64 vcc, exec, s[16:17]
	s_cbranch_vccnz .LBB174_6
; %bb.5:
	s_load_dwordx4 s[8:11], s[0:1], 0x38
	s_lshl_b64 s[14:15], s[20:21], 3
	s_waitcnt lgkmcnt(0)
	s_add_u32 s8, s8, s14
	s_addc_u32 s9, s9, s15
	s_load_dwordx2 s[8:9], s[8:9], 0x0
	s_lshl_b64 s[10:11], s[10:11], 3
	s_waitcnt lgkmcnt(0)
	s_add_u32 s14, s8, s10
	s_addc_u32 s15, s9, s11
.LBB174_6:
	s_and_b64 vcc, exec, s[4:5]
	s_cbranch_vccnz .LBB174_80
; %bb.7:
	s_load_dword s33, s[12:13], 0x0
	s_load_dword s21, s[0:1], 0x0
	s_load_dwordx2 s[28:29], s[0:1], 0x68
	s_load_dword s3, s[0:1], 0x48
	v_and_b32_e32 v26, 0x3ff, v0
	s_lshl_b32 s26, s2, 6
	s_waitcnt lgkmcnt(0)
	s_ashr_i32 s40, s21, 31
	s_lshr_b32 s5, s40, 26
	s_add_i32 s5, s21, s5
	s_andn2_b32 s5, s5, 63
	v_add_u32_e32 v16, s26, v26
	v_bfe_u32 v17, v0, 10, 10
	s_add_i32 s4, s33, -1
	s_sub_i32 s5, s21, s5
	v_mul_lo_u32 v0, v16, s3
	s_cmp_eq_u32 s2, s4
	v_ashrrev_i32_e32 v1, 31, v0
	s_cselect_b32 s24, s5, 0
	v_lshl_add_u64 v[20:21], v[0:1], 3, s[14:15]
	v_cmp_ne_u32_e64 s[16:17], 0, v17
	v_cmp_eq_u32_e64 s[18:19], 0, v17
	s_and_saveexec_b64 s[4:5], s[18:19]
	s_cbranch_execz .LBB174_11
; %bb.8:
	s_cmp_eq_u32 s24, 0
	s_cselect_b64 s[8:9], -1, 0
	v_cmp_gt_i32_e32 vcc, s24, v26
	s_or_b64 s[10:11], s[8:9], vcc
	v_mov_b64_e32 v[0:1], 0
	s_and_saveexec_b64 s[8:9], s[10:11]
	s_cbranch_execz .LBB174_10
; %bb.9:
	flat_load_dwordx2 v[0:1], v[20:21]
.LBB174_10:
	s_or_b64 exec, exec, s[8:9]
	v_lshlrev_b32_e32 v2, 3, v26
	s_waitcnt vmcnt(0) lgkmcnt(0)
	ds_write_b64 v2, v[0:1] offset:9088
.LBB174_11:
	s_or_b64 exec, exec, s[4:5]
	s_load_dword s22, s[0:1], 0x28
	s_ashr_i32 s27, s26, 31
	v_lshl_add_u32 v27, v17, 6, v26
	s_lshl_b64 s[0:1], s[26:27], 3
	v_and_b32_e32 v0, 31, v26
	v_lshrrev_b32_e32 v1, 5, v27
	s_add_u32 s4, s6, s0
	s_addc_u32 s5, s7, s1
	s_waitcnt lgkmcnt(0)
	v_mad_u64_u32 v[22:23], s[0:1], v1, s22, v[0:1]
	s_mul_i32 s0, s26, s22
	s_ashr_i32 s1, s0, 31
	s_lshl_b64 s[30:31], s[0:1], 3
	s_add_u32 s0, s30, s4
	s_addc_u32 s1, s31, s5
	s_cmp_lg_u32 s24, 0
	v_ashrrev_i32_e32 v23, 31, v22
	s_cselect_b64 s[34:35], -1, 0
	s_cmp_eq_u32 s24, 0
	v_lshl_add_u64 v[2:3], v[22:23], 3, s[0:1]
	s_cselect_b64 s[36:37], -1, 0
	s_and_b64 vcc, exec, s[34:35]
	s_cbranch_vccnz .LBB174_13
; %bb.12:
	flat_load_dwordx2 v[4:5], v[2:3]
	v_mul_u32_u24_e32 v6, 33, v1
	s_lshl_b32 s0, s22, 3
	v_add_lshl_u32 v8, v6, v0, 3
	s_ashr_i32 s1, s0, 31
	v_lshl_add_u64 v[6:7], s[0:1], 3, v[2:3]
	s_ashr_i32 s23, s22, 31
	s_lshl_b64 s[0:1], s[22:23], 6
	s_waitcnt vmcnt(0) lgkmcnt(0)
	ds_write_b64 v8, v[4:5]
	flat_load_dwordx2 v[4:5], v[6:7]
	v_lshl_add_u64 v[6:7], v[6:7], 0, s[0:1]
	s_waitcnt vmcnt(0) lgkmcnt(0)
	ds_write_b64 v8, v[4:5] offset:2112
	flat_load_dwordx2 v[4:5], v[6:7]
	v_lshl_add_u64 v[6:7], v[6:7], 0, s[0:1]
	s_waitcnt vmcnt(0) lgkmcnt(0)
	ds_write_b64 v8, v[4:5] offset:4224
	flat_load_dwordx2 v[4:5], v[6:7]
	s_waitcnt vmcnt(0) lgkmcnt(0)
	ds_write_b64 v8, v[4:5] offset:6336
	s_cbranch_execz .LBB174_14
	s_branch .LBB174_23
.LBB174_13:
.LBB174_14:
	v_lshlrev_b32_e32 v4, 3, v0
	v_sub_co_u32_e32 v6, vcc, v2, v4
	s_ashr_i32 s25, s24, 31
	s_nop 0
	v_subbrev_co_u32_e32 v7, vcc, 0, v3, vcc
	v_lshl_add_u64 v[6:7], s[24:25], 3, v[6:7]
	v_lshl_add_u64 v[6:7], v[6:7], 0, -8
	v_cmp_gt_i32_e32 vcc, s24, v0
	v_mov_b64_e32 v[8:9], 0
	v_cmp_gt_i32_e64 s[0:1], s24, v1
	v_cndmask_b32_e32 v7, v7, v3, vcc
	v_cndmask_b32_e32 v6, v6, v2, vcc
	v_mov_b64_e32 v[10:11], v[8:9]
	s_and_saveexec_b64 s[4:5], s[0:1]
	s_cbranch_execz .LBB174_16
; %bb.15:
	flat_load_dwordx2 v[10:11], v[6:7]
.LBB174_16:
	s_or_b64 exec, exec, s[4:5]
	v_mul_u32_u24_e32 v5, 33, v1
	v_add_lshl_u32 v5, v5, v0, 3
	s_waitcnt vmcnt(0) lgkmcnt(0)
	ds_write_b64 v5, v[10:11]
	v_add_u32_e32 v10, 8, v1
	v_cmp_gt_i32_e64 s[0:1], s24, v10
	s_and_saveexec_b64 s[4:5], s[0:1]
	s_cbranch_execz .LBB174_18
; %bb.17:
	s_lshl_b32 s0, s22, 3
	s_ashr_i32 s1, s0, 31
	v_lshl_add_u64 v[8:9], s[0:1], 3, v[6:7]
	flat_load_dwordx2 v[8:9], v[8:9]
.LBB174_18:
	s_or_b64 exec, exec, s[4:5]
	s_waitcnt vmcnt(0) lgkmcnt(0)
	ds_write_b64 v5, v[8:9] offset:2112
	v_add_u32_e32 v8, 16, v1
	v_cmp_gt_i32_e64 s[0:1], s24, v8
	v_mov_b64_e32 v[8:9], 0
	v_mov_b64_e32 v[10:11], v[8:9]
	s_and_saveexec_b64 s[4:5], s[0:1]
	s_cbranch_execz .LBB174_20
; %bb.19:
	s_lshl_b32 s0, s22, 4
	s_ashr_i32 s1, s0, 31
	v_lshl_add_u64 v[10:11], s[0:1], 3, v[6:7]
	flat_load_dwordx2 v[10:11], v[10:11]
.LBB174_20:
	s_or_b64 exec, exec, s[4:5]
	s_waitcnt vmcnt(0) lgkmcnt(0)
	ds_write_b64 v5, v[10:11] offset:4224
	v_add_u32_e32 v10, 24, v1
	v_cmp_gt_i32_e64 s[0:1], s24, v10
	s_and_saveexec_b64 s[4:5], s[0:1]
	s_cbranch_execz .LBB174_22
; %bb.21:
	s_mul_i32 s0, s22, 24
	s_ashr_i32 s1, s0, 31
	v_lshl_add_u64 v[8:9], s[0:1], 3, v[6:7]
	flat_load_dwordx2 v[8:9], v[8:9]
.LBB174_22:
	s_or_b64 exec, exec, s[4:5]
	s_waitcnt vmcnt(0) lgkmcnt(0)
	ds_write_b64 v5, v[8:9] offset:6336
	v_mov_b32_e32 v5, 0
	v_lshl_add_u64 v[4:5], v[6:7], 0, v[4:5]
	s_lshl_b64 s[0:1], s[24:25], 3
	v_mov_b32_e32 v6, s1
	v_subrev_co_u32_e64 v4, s[0:1], s0, v4
	s_nop 1
	v_subb_co_u32_e64 v5, s[0:1], v5, v6, s[0:1]
	v_lshl_add_u64 v[4:5], v[4:5], 0, 8
	v_cndmask_b32_e32 v3, v5, v3, vcc
	v_cndmask_b32_e32 v2, v4, v2, vcc
.LBB174_23:
	v_lshlrev_b32_e32 v4, 2, v1
	v_mul_u32_u24_e32 v28, 33, v0
	v_cmp_lt_u32_e64 s[6:7], v4, v0
	v_add_lshl_u32 v30, v4, v28, 3
	s_waitcnt lgkmcnt(0)
	s_barrier
	s_and_saveexec_b64 s[0:1], s[6:7]
	s_cbranch_execz .LBB174_25
; %bb.24:
	v_mul_u32_u24_e32 v5, 0x84, v1
	v_add_lshl_u32 v5, v5, v0, 3
	ds_read_b64 v[6:7], v5
	s_waitcnt lgkmcnt(0)
	ds_write_b64 v30, v[6:7]
.LBB174_25:
	s_or_b64 exec, exec, s[0:1]
	v_or_b32_e32 v5, 1, v4
	v_cmp_lt_u32_e64 s[8:9], v5, v0
	s_and_saveexec_b64 s[0:1], s[8:9]
	s_cbranch_execz .LBB174_27
; %bb.26:
	v_mul_u32_u24_e32 v5, 33, v5
	v_add_lshl_u32 v5, v5, v0, 3
	ds_read_b64 v[6:7], v5
	s_waitcnt lgkmcnt(0)
	ds_write_b64 v30, v[6:7] offset:8
.LBB174_27:
	s_or_b64 exec, exec, s[0:1]
	v_or_b32_e32 v5, 2, v4
	v_cmp_lt_u32_e64 s[10:11], v5, v0
	s_and_saveexec_b64 s[0:1], s[10:11]
	s_cbranch_execz .LBB174_29
; %bb.28:
	v_mul_u32_u24_e32 v5, 33, v5
	v_add_lshl_u32 v5, v5, v0, 3
	ds_read_b64 v[6:7], v5
	s_waitcnt lgkmcnt(0)
	ds_write_b64 v30, v[6:7] offset:16
.LBB174_29:
	s_or_b64 exec, exec, s[0:1]
	v_or_b32_e32 v5, 3, v4
	v_cmp_lt_u32_e64 s[12:13], v5, v0
	v_mad_u32_u24 v5, v5, 33, v0
	v_lshlrev_b32_e32 v10, 3, v5
	s_and_saveexec_b64 s[0:1], s[12:13]
	s_cbranch_execz .LBB174_31
; %bb.30:
	ds_read_b64 v[6:7], v10
	s_waitcnt lgkmcnt(0)
	ds_write_b64 v30, v[6:7] offset:24
.LBB174_31:
	s_or_b64 exec, exec, s[0:1]
	v_mul_u32_u24_e32 v5, 0x84, v1
	v_add_lshl_u32 v11, v5, v0, 3
	s_waitcnt lgkmcnt(0)
	s_barrier
	v_lshlrev_b32_e32 v12, 3, v4
	ds_read_b64 v[8:9], v11
	ds_read_b128 v[4:7], v12 offset:9088
	v_add_u32_e32 v13, 0xfffffdf0, v10
	ds_read2_b64 v[32:35], v13 offset1:33
	ds_read_b128 v[36:39], v12 offset:9104
	ds_read_b64 v[14:15], v10
	v_mov_b64_e32 v[18:19], 0
	v_add_lshl_u32 v29, v1, v28, 3
	s_waitcnt lgkmcnt(3)
	v_fma_f64 v[4:5], v[8:9], v[4:5], 0
	s_waitcnt lgkmcnt(2)
	v_fmac_f64_e32 v[4:5], v[32:33], v[6:7]
	s_waitcnt lgkmcnt(1)
	v_fmac_f64_e32 v[4:5], v[34:35], v[36:37]
	;; [unrolled: 2-line block ×3, first 2 shown]
	v_cmp_gt_u32_e64 s[4:5], 32, v27
	s_barrier
	ds_write_b64 v29, v[4:5]
	s_waitcnt lgkmcnt(0)
	s_barrier
	s_and_saveexec_b64 s[0:1], s[4:5]
	s_cbranch_execz .LBB174_33
; %bb.32:
	v_lshlrev_b32_e32 v14, 3, v28
	ds_read2_b64 v[4:7], v14 offset1:1
	ds_read2_b64 v[32:35], v14 offset0:2 offset1:3
	ds_read2_b64 v[36:39], v14 offset0:4 offset1:5
	s_waitcnt lgkmcnt(2)
	v_add_f64 v[8:9], v[4:5], v[6:7]
	ds_read2_b64 v[4:7], v14 offset0:6 offset1:7
	s_waitcnt lgkmcnt(2)
	v_add_f64 v[8:9], v[8:9], v[32:33]
	v_add_f64 v[8:9], v[8:9], v[34:35]
	s_waitcnt lgkmcnt(1)
	v_add_f64 v[8:9], v[8:9], v[36:37]
	v_add_f64 v[8:9], v[8:9], v[38:39]
	;; [unrolled: 3-line block ×3, first 2 shown]
.LBB174_33:
	s_or_b64 exec, exec, s[0:1]
	s_lshl_b32 s38, s22, 5
	s_ashr_i32 s39, s38, 31
	v_lshl_add_u64 v[4:5], s[38:39], 3, v[2:3]
	s_mov_b64 s[0:1], 0x100
	v_cndmask_b32_e64 v2, 0, 1, s[36:37]
	v_cmp_ne_u32_e64 s[14:15], 1, v2
	s_andn2_b64 vcc, exec, s[36:37]
	v_lshl_add_u64 v[2:3], v[4:5], 0, s[0:1]
	s_barrier
	s_cbranch_vccnz .LBB174_35
; %bb.34:
	flat_load_dwordx2 v[6:7], v[4:5] offset:256
	v_mul_u32_u24_e32 v8, 33, v1
	s_lshl_b32 s0, s22, 3
	v_add_lshl_u32 v8, v8, v0, 3
	s_ashr_i32 s1, s0, 31
	v_lshl_add_u64 v[4:5], s[0:1], 3, v[4:5]
	s_ashr_i32 s23, s22, 31
	s_lshl_b64 s[0:1], s[22:23], 6
	s_waitcnt vmcnt(0) lgkmcnt(0)
	ds_write_b64 v8, v[6:7]
	flat_load_dwordx2 v[6:7], v[4:5] offset:256
	v_lshl_add_u64 v[4:5], v[4:5], 0, s[0:1]
	s_waitcnt vmcnt(0) lgkmcnt(0)
	ds_write_b64 v8, v[6:7] offset:2112
	flat_load_dwordx2 v[6:7], v[4:5] offset:256
	v_lshl_add_u64 v[4:5], v[4:5], 0, s[0:1]
	s_waitcnt vmcnt(0) lgkmcnt(0)
	ds_write_b64 v8, v[6:7] offset:4224
	flat_load_dwordx2 v[4:5], v[4:5] offset:256
	s_waitcnt vmcnt(0) lgkmcnt(0)
	ds_write_b64 v8, v[4:5] offset:6336
	s_cbranch_execz .LBB174_36
	s_branch .LBB174_45
.LBB174_35:
.LBB174_36:
	v_or_b32_e32 v6, 32, v0
	v_lshlrev_b32_e32 v4, 3, v6
	v_sub_co_u32_e32 v4, vcc, v2, v4
	s_ashr_i32 s25, s24, 31
	s_nop 0
	v_subbrev_co_u32_e32 v5, vcc, 0, v3, vcc
	v_lshl_add_u64 v[4:5], s[24:25], 3, v[4:5]
	v_lshl_add_u64 v[4:5], v[4:5], 0, -8
	v_cmp_gt_i32_e32 vcc, s24, v6
	s_sub_i32 s23, s24, 32
	v_mov_b64_e32 v[6:7], 0
	v_cndmask_b32_e32 v5, v5, v3, vcc
	v_cndmask_b32_e32 v4, v4, v2, vcc
	v_cmp_gt_i32_e64 s[0:1], s23, v1
	v_mov_b64_e32 v[8:9], v[6:7]
	s_and_saveexec_b64 s[36:37], s[0:1]
	s_cbranch_execz .LBB174_38
; %bb.37:
	flat_load_dwordx2 v[8:9], v[4:5]
.LBB174_38:
	s_or_b64 exec, exec, s[36:37]
	v_mul_u32_u24_e32 v14, 33, v1
	v_add_lshl_u32 v14, v14, v0, 3
	s_waitcnt vmcnt(0) lgkmcnt(0)
	ds_write_b64 v14, v[8:9]
	v_add_u32_e32 v8, 8, v1
	v_cmp_gt_i32_e64 s[0:1], s23, v8
	s_and_saveexec_b64 s[36:37], s[0:1]
	s_cbranch_execz .LBB174_40
; %bb.39:
	s_lshl_b32 s0, s22, 3
	s_ashr_i32 s1, s0, 31
	v_lshl_add_u64 v[6:7], s[0:1], 3, v[4:5]
	flat_load_dwordx2 v[6:7], v[6:7]
.LBB174_40:
	s_or_b64 exec, exec, s[36:37]
	s_waitcnt vmcnt(0) lgkmcnt(0)
	ds_write_b64 v14, v[6:7] offset:2112
	v_add_u32_e32 v6, 16, v1
	v_cmp_gt_i32_e64 s[0:1], s23, v6
	v_mov_b64_e32 v[6:7], 0
	v_mov_b64_e32 v[8:9], v[6:7]
	s_and_saveexec_b64 s[36:37], s[0:1]
	s_cbranch_execz .LBB174_42
; %bb.41:
	s_lshl_b32 s0, s22, 4
	s_ashr_i32 s1, s0, 31
	v_lshl_add_u64 v[8:9], s[0:1], 3, v[4:5]
	flat_load_dwordx2 v[8:9], v[8:9]
.LBB174_42:
	s_or_b64 exec, exec, s[36:37]
	s_waitcnt vmcnt(0) lgkmcnt(0)
	ds_write_b64 v14, v[8:9] offset:4224
	v_add_u32_e32 v8, 24, v1
	v_cmp_gt_i32_e64 s[0:1], s23, v8
	s_and_saveexec_b64 s[36:37], s[0:1]
	s_cbranch_execz .LBB174_44
; %bb.43:
	s_mul_i32 s0, s22, 24
	s_ashr_i32 s1, s0, 31
	v_lshl_add_u64 v[6:7], s[0:1], 3, v[4:5]
	flat_load_dwordx2 v[6:7], v[6:7]
.LBB174_44:
	s_or_b64 exec, exec, s[36:37]
	s_waitcnt vmcnt(0) lgkmcnt(0)
	ds_write_b64 v14, v[6:7] offset:6336
	v_lshlrev_b32_e32 v6, 3, v0
	v_mov_b32_e32 v7, 0
	v_lshl_add_u64 v[4:5], v[4:5], 0, v[6:7]
	s_lshl_b64 s[0:1], s[24:25], 3
	v_mov_b32_e32 v6, s1
	v_subrev_co_u32_e64 v4, s[0:1], s0, v4
	s_nop 1
	v_subb_co_u32_e64 v5, s[0:1], v5, v6, s[0:1]
	s_mov_b64 s[0:1], 0x108
	s_nop 0
	v_lshl_add_u64 v[4:5], v[4:5], 0, s[0:1]
	v_cndmask_b32_e32 v3, v5, v3, vcc
	v_cndmask_b32_e32 v2, v4, v2, vcc
.LBB174_45:
	v_add_u32_e32 v12, 0x2380, v12
	s_waitcnt lgkmcnt(0)
	s_barrier
	s_and_saveexec_b64 s[0:1], s[6:7]
	s_cbranch_execnz .LBB174_54
; %bb.46:
	s_or_b64 exec, exec, s[0:1]
	s_and_saveexec_b64 s[0:1], s[8:9]
	s_cbranch_execnz .LBB174_55
.LBB174_47:
	s_or_b64 exec, exec, s[0:1]
	s_and_saveexec_b64 s[0:1], s[10:11]
	s_cbranch_execnz .LBB174_56
.LBB174_48:
	s_or_b64 exec, exec, s[0:1]
	s_and_saveexec_b64 s[0:1], s[12:13]
	s_cbranch_execz .LBB174_50
.LBB174_49:
	ds_read_b64 v[4:5], v10
	s_waitcnt lgkmcnt(0)
	ds_write_b64 v30, v[4:5] offset:24
.LBB174_50:
	s_or_b64 exec, exec, s[0:1]
	s_waitcnt lgkmcnt(0)
	s_barrier
	ds_read_b64 v[8:9], v11
	ds_read_b128 v[4:7], v12 offset:256
	ds_read2_b64 v[32:35], v13 offset1:33
	ds_read_b128 v[36:39], v12 offset:272
	ds_read_b64 v[10:11], v10
	v_cmp_eq_u32_e64 s[6:7], 1, v1
	s_waitcnt lgkmcnt(3)
	v_fma_f64 v[4:5], v[8:9], v[4:5], 0
	s_waitcnt lgkmcnt(2)
	v_fmac_f64_e32 v[4:5], v[32:33], v[6:7]
	s_waitcnt lgkmcnt(1)
	v_fmac_f64_e32 v[4:5], v[34:35], v[36:37]
	;; [unrolled: 2-line block ×3, first 2 shown]
	s_barrier
	ds_write_b64 v29, v[4:5]
	s_waitcnt lgkmcnt(0)
	s_barrier
	s_and_saveexec_b64 s[0:1], s[6:7]
	s_cbranch_execz .LBB174_52
; %bb.51:
	v_lshlrev_b32_e32 v13, 3, v28
	ds_read2_b64 v[4:7], v13 offset1:1
	ds_read2_b64 v[8:11], v13 offset0:2 offset1:3
	ds_read2_b64 v[32:35], v13 offset0:4 offset1:5
	s_waitcnt lgkmcnt(2)
	v_add_f64 v[14:15], v[4:5], v[6:7]
	ds_read2_b64 v[4:7], v13 offset0:6 offset1:7
	s_waitcnt lgkmcnt(2)
	v_add_f64 v[8:9], v[14:15], v[8:9]
	v_add_f64 v[8:9], v[8:9], v[10:11]
	s_waitcnt lgkmcnt(1)
	v_add_f64 v[8:9], v[8:9], v[32:33]
	v_add_f64 v[8:9], v[8:9], v[34:35]
	;; [unrolled: 3-line block ×3, first 2 shown]
.LBB174_52:
	s_or_b64 exec, exec, s[0:1]
	s_lshl_b64 s[0:1], s[38:39], 3
	v_mov_b32_e32 v4, s1
	v_subrev_co_u32_e64 v24, s[0:1], s0, v2
	s_and_b64 vcc, exec, s[14:15]
	s_nop 0
	v_subb_co_u32_e64 v25, s[0:1], v3, v4, s[0:1]
	s_barrier
	s_cbranch_vccnz .LBB174_57
; %bb.53:
	flat_load_dwordx2 v[2:3], v[24:25]
	v_mad_u32_u24 v8, v1, 33, v0
	s_lshl_b32 s0, s22, 3
	v_lshlrev_b32_e32 v14, 3, v8
	s_ashr_i32 s1, s0, 31
	v_lshl_add_u64 v[4:5], s[0:1], 3, v[24:25]
	s_ashr_i32 s23, s22, 31
	s_lshl_b64 s[0:1], s[22:23], 6
	v_add_u32_e32 v9, 8, v1
	v_add_u32_e32 v10, 16, v1
	;; [unrolled: 1-line block ×6, first 2 shown]
	s_waitcnt vmcnt(0) lgkmcnt(0)
	ds_write_b64 v14, v[2:3]
	flat_load_dwordx2 v[2:3], v[4:5]
	v_lshl_add_u64 v[4:5], v[4:5], 0, s[0:1]
	s_waitcnt vmcnt(0) lgkmcnt(0)
	ds_write_b64 v14, v[2:3] offset:2112
	flat_load_dwordx2 v[2:3], v[4:5]
	v_lshl_add_u64 v[4:5], v[4:5], 0, s[0:1]
	s_waitcnt vmcnt(0) lgkmcnt(0)
	ds_write_b64 v14, v[2:3] offset:4224
	flat_load_dwordx2 v[2:3], v[4:5]
	s_waitcnt vmcnt(0) lgkmcnt(0)
	ds_write_b64 v14, v[2:3] offset:6336
	s_cbranch_execz .LBB174_58
	s_branch .LBB174_67
.LBB174_54:
	ds_read_b64 v[4:5], v11
	s_waitcnt lgkmcnt(0)
	ds_write_b64 v30, v[4:5]
	s_or_b64 exec, exec, s[0:1]
	s_and_saveexec_b64 s[0:1], s[8:9]
	s_cbranch_execz .LBB174_47
.LBB174_55:
	ds_read_b64 v[4:5], v13
	s_waitcnt lgkmcnt(0)
	ds_write_b64 v30, v[4:5] offset:8
	s_or_b64 exec, exec, s[0:1]
	s_and_saveexec_b64 s[0:1], s[10:11]
	s_cbranch_execz .LBB174_48
.LBB174_56:
	ds_read_b64 v[4:5], v13 offset:264
	s_waitcnt lgkmcnt(0)
	ds_write_b64 v30, v[4:5] offset:16
	s_or_b64 exec, exec, s[0:1]
	s_and_saveexec_b64 s[0:1], s[12:13]
	s_cbranch_execnz .LBB174_49
	s_branch .LBB174_50
.LBB174_57:
                                        ; implicit-def: $vgpr8
                                        ; implicit-def: $vgpr9
                                        ; implicit-def: $vgpr13
                                        ; implicit-def: $vgpr10
                                        ; implicit-def: $vgpr7
                                        ; implicit-def: $vgpr6
                                        ; implicit-def: $vgpr11
.LBB174_58:
	v_or_b32_e32 v4, 32, v0
	v_lshlrev_b32_e32 v2, 3, v4
	v_sub_co_u32_e32 v2, vcc, v24, v2
	s_ashr_i32 s25, s24, 31
	s_nop 0
	v_subbrev_co_u32_e32 v3, vcc, 0, v25, vcc
	v_lshl_add_u64 v[2:3], s[24:25], 3, v[2:3]
	v_lshl_add_u64 v[2:3], v[2:3], 0, -8
	v_cmp_gt_i32_e32 vcc, s24, v4
	v_mov_b64_e32 v[4:5], 0
	v_cmp_gt_i32_e64 s[0:1], s24, v1
	v_cndmask_b32_e32 v3, v3, v25, vcc
	v_cndmask_b32_e32 v2, v2, v24, vcc
	v_mov_b64_e32 v[6:7], v[4:5]
	s_and_saveexec_b64 s[8:9], s[0:1]
	s_cbranch_execz .LBB174_60
; %bb.59:
	flat_load_dwordx2 v[6:7], v[2:3]
.LBB174_60:
	s_or_b64 exec, exec, s[8:9]
	v_mad_u32_u24 v8, v1, 33, v0
	v_add_u32_e32 v9, 8, v1
	v_lshlrev_b32_e32 v14, 3, v8
	v_cmp_gt_i32_e64 s[0:1], s24, v9
	s_waitcnt vmcnt(0) lgkmcnt(0)
	ds_write_b64 v14, v[6:7]
	s_and_saveexec_b64 s[8:9], s[0:1]
	s_cbranch_execz .LBB174_62
; %bb.61:
	s_lshl_b32 s0, s22, 3
	s_ashr_i32 s1, s0, 31
	v_lshl_add_u64 v[4:5], s[0:1], 3, v[2:3]
	flat_load_dwordx2 v[4:5], v[4:5]
.LBB174_62:
	s_or_b64 exec, exec, s[8:9]
	s_waitcnt vmcnt(0) lgkmcnt(0)
	ds_write_b64 v14, v[4:5] offset:2112
	v_add_u32_e32 v10, 16, v1
	v_mov_b64_e32 v[4:5], 0
	v_cmp_gt_i32_e64 s[0:1], s24, v10
	v_mov_b64_e32 v[6:7], v[4:5]
	s_and_saveexec_b64 s[8:9], s[0:1]
	s_cbranch_execz .LBB174_64
; %bb.63:
	s_lshl_b32 s0, s22, 4
	s_ashr_i32 s1, s0, 31
	v_lshl_add_u64 v[6:7], s[0:1], 3, v[2:3]
	flat_load_dwordx2 v[6:7], v[6:7]
.LBB174_64:
	s_or_b64 exec, exec, s[8:9]
	s_waitcnt vmcnt(0) lgkmcnt(0)
	ds_write_b64 v14, v[6:7] offset:4224
	v_add_u32_e32 v6, 24, v1
	v_cmp_gt_i32_e64 s[0:1], s24, v6
	s_and_saveexec_b64 s[8:9], s[0:1]
	s_cbranch_execz .LBB174_66
; %bb.65:
	s_mul_i32 s0, s22, 24
	s_ashr_i32 s1, s0, 31
	v_lshl_add_u64 v[4:5], s[0:1], 3, v[2:3]
	flat_load_dwordx2 v[4:5], v[4:5]
.LBB174_66:
	s_or_b64 exec, exec, s[8:9]
	s_waitcnt vmcnt(0) lgkmcnt(0)
	ds_write_b64 v14, v[4:5] offset:6336
	v_lshlrev_b32_e32 v4, 3, v0
	v_mov_b32_e32 v5, 0
	v_lshl_add_u64 v[2:3], v[2:3], 0, v[4:5]
	s_lshl_b64 s[0:1], s[24:25], 3
	v_mov_b32_e32 v0, s1
	v_subrev_co_u32_e64 v2, s[0:1], s0, v2
	v_add_u32_e32 v13, 0x108, v8
	s_nop 0
	v_subb_co_u32_e64 v3, s[0:1], v3, v0, s[0:1]
	s_mov_b64 s[0:1], 0x108
	s_nop 0
	v_lshl_add_u64 v[2:3], v[2:3], 0, s[0:1]
	v_add_u32_e32 v7, 0x210, v8
	v_add_u32_e32 v11, 0x318, v8
	v_cndmask_b32_e32 v25, v3, v25, vcc
	v_cndmask_b32_e32 v24, v2, v24, vcc
.LBB174_67:
	v_lshlrev_b32_e32 v0, 3, v8
	s_waitcnt lgkmcnt(0)
	s_barrier
	v_lshlrev_b32_e32 v1, 3, v1
	v_lshlrev_b32_e32 v2, 3, v13
	;; [unrolled: 1-line block ×3, first 2 shown]
	ds_read_b64 v[32:33], v0
	ds_read_b64 v[34:35], v1 offset:9088
	ds_read_b64 v[36:37], v2
	ds_read_b64 v[38:39], v3 offset:9088
	v_lshlrev_b32_e32 v0, 3, v7
	v_lshlrev_b32_e32 v1, 3, v10
	;; [unrolled: 1-line block ×4, first 2 shown]
	ds_read_b64 v[40:41], v0
	ds_read_b64 v[42:43], v1 offset:9088
	ds_read_b64 v[44:45], v2
	ds_read_b64 v[46:47], v3 offset:9088
	ds_read_b128 v[8:11], v12 offset:256
	ds_read_b128 v[0:3], v12 offset:272
	ds_read2_b64 v[12:15], v30 offset1:1
	ds_read2_b64 v[4:7], v30 offset0:2 offset1:3
	s_waitcnt lgkmcnt(10)
	v_fma_f64 v[30:31], v[32:33], v[34:35], 0
	s_waitcnt lgkmcnt(8)
	v_fmac_f64_e32 v[30:31], v[36:37], v[38:39]
	s_waitcnt lgkmcnt(6)
	v_fmac_f64_e32 v[30:31], v[40:41], v[42:43]
	;; [unrolled: 2-line block ×3, first 2 shown]
	s_waitcnt lgkmcnt(0)
	s_barrier
	ds_write_b64 v29, v[30:31]
	s_waitcnt lgkmcnt(0)
	s_barrier
	s_and_saveexec_b64 s[0:1], s[6:7]
	s_cbranch_execz .LBB174_69
; %bb.68:
	v_lshlrev_b32_e32 v42, 3, v28
	ds_read2_b64 v[30:33], v42 offset1:1
	ds_read2_b64 v[34:37], v42 offset0:2 offset1:3
	ds_read2_b64 v[38:41], v42 offset0:4 offset1:5
	s_waitcnt lgkmcnt(2)
	v_add_f64 v[18:19], v[18:19], v[30:31]
	v_add_f64 v[18:19], v[18:19], v[32:33]
	ds_read2_b64 v[30:33], v42 offset0:6 offset1:7
	s_waitcnt lgkmcnt(2)
	v_add_f64 v[18:19], v[18:19], v[34:35]
	v_add_f64 v[18:19], v[18:19], v[36:37]
	s_waitcnt lgkmcnt(1)
	v_add_f64 v[18:19], v[18:19], v[38:39]
	v_add_f64 v[18:19], v[18:19], v[40:41]
	;; [unrolled: 3-line block ×3, first 2 shown]
.LBB174_69:
	s_or_b64 exec, exec, s[0:1]
	v_fma_f64 v[8:9], v[12:13], v[8:9], 0
	v_fmac_f64_e32 v[8:9], v[14:15], v[10:11]
	v_fmac_f64_e32 v[8:9], v[4:5], v[0:1]
	;; [unrolled: 1-line block ×3, first 2 shown]
	s_barrier
	ds_write_b64 v29, v[8:9]
	s_waitcnt lgkmcnt(0)
	s_barrier
	s_and_saveexec_b64 s[0:1], s[4:5]
	s_cbranch_execz .LBB174_71
; %bb.70:
	v_lshlrev_b32_e32 v14, 3, v28
	ds_read2_b64 v[0:3], v14 offset1:1
	ds_read2_b64 v[4:7], v14 offset0:2 offset1:3
	ds_read2_b64 v[8:11], v14 offset0:4 offset1:5
	s_waitcnt lgkmcnt(2)
	v_add_f64 v[0:1], v[18:19], v[0:1]
	v_add_f64 v[12:13], v[0:1], v[2:3]
	ds_read2_b64 v[0:3], v14 offset0:6 offset1:7
	s_waitcnt lgkmcnt(2)
	v_add_f64 v[4:5], v[12:13], v[4:5]
	v_add_f64 v[4:5], v[4:5], v[6:7]
	s_waitcnt lgkmcnt(1)
	v_add_f64 v[4:5], v[4:5], v[8:9]
	v_add_f64 v[4:5], v[4:5], v[10:11]
	;; [unrolled: 3-line block ×3, first 2 shown]
.LBB174_71:
	s_or_b64 exec, exec, s[0:1]
	s_mul_hi_u32 s0, s21, s20
	s_mul_i32 s40, s40, s20
	s_add_i32 s0, s0, s40
	s_mul_i32 s4, s21, s20
	s_mul_i32 s0, s0, s33
	s_mul_hi_u32 s1, s4, s33
	s_add_i32 s1, s1, s0
	s_mul_i32 s0, s4, s33
	s_lshl_b64 s[0:1], s[0:1], 3
	s_add_u32 s4, s28, s0
	s_mul_i32 s0, s2, s21
	s_addc_u32 s5, s29, s1
	s_ashr_i32 s1, s0, 31
	s_lshl_b64 s[0:1], s[0:1], 3
	s_add_u32 s6, s4, s0
	v_cmp_le_i32_e32 vcc, s24, v26
	s_addc_u32 s7, s5, s1
	s_and_b64 vcc, s[34:35], vcc
	s_cmp_lt_i32 s2, 1
	v_lshlrev_b32_e32 v74, 3, v26
	s_barrier
	s_cbranch_scc1 .LBB174_78
; %bb.72:
	s_mul_i32 s0, s26, s3
	s_ashr_i32 s1, s0, 31
	s_lshl_b64 s[0:1], s[0:1], 3
	v_mov_b32_e32 v1, s1
	v_subrev_co_u32_e64 v0, s[0:1], s0, v20
	v_mov_b32_e32 v2, s31
	s_nop 0
	v_subb_co_u32_e64 v1, s[0:1], v21, v1, s[0:1]
	v_subrev_co_u32_e64 v4, s[0:1], s30, v24
	s_ashr_i32 s25, s24, 31
	s_nop 0
	v_subb_co_u32_e64 v5, s[0:1], v25, v2, s[0:1]
	v_lshlrev_b64 v[2:3], 3, v[22:23]
	v_sub_co_u32_e64 v2, s[0:1], v4, v2
	v_mul_lo_u32 v4, v17, s22
	s_nop 0
	v_subb_co_u32_e64 v3, s[0:1], v5, v3, s[0:1]
	v_lshl_add_u32 v4, v4, 2, v26
	v_ashrrev_i32_e32 v5, 31, v4
	s_movk_i32 s0, 0xff00
	v_lshl_add_u64 v[2:3], v[4:5], 3, v[2:3]
	s_mov_b32 s1, -1
	v_lshl_add_u64 v[4:5], v[2:3], 0, s[0:1]
	v_sub_co_u32_e64 v6, s[0:1], v4, v74
	v_and_b32_e32 v2, 48, v26
	s_nop 0
	v_subbrev_co_u32_e64 v7, s[0:1], 0, v5, s[0:1]
	v_lshl_add_u64 v[6:7], s[24:25], 3, v[6:7]
	v_lshl_add_u64 v[6:7], v[6:7], 0, -8
	v_and_b32_e32 v8, 15, v26
	v_cndmask_b32_e32 v4, v4, v6, vcc
	v_lshlrev_b32_e32 v6, 3, v2
	s_movk_i32 s0, 0x218
	v_lshrrev_b32_e32 v9, 4, v27
	v_mad_u32_u24 v77, v8, s0, v6
	v_or_b32_e32 v6, 0x78, v74
	v_mad_u32_u24 v78, v8, s0, v6
	v_lshlrev_b32_e32 v6, 5, v9
	v_mad_u32_u24 v79, v8, s0, v6
	v_mov_b32_e32 v6, 0x2180
	s_ashr_i32 s23, s22, 31
	v_lshl_add_u32 v80, v17, 5, v6
	s_movk_i32 s1, 0x860
	v_lshlrev_b32_e32 v6, 3, v9
	v_mov_b32_e32 v3, 0
	v_cndmask_b32_e32 v5, v5, v7, vcc
	s_lshl_b32 s3, s3, 6
	v_add_u32_e32 v75, 0x2180, v74
	v_add_u32_e32 v76, 0x2380, v74
	v_cmp_gt_u32_e64 s[4:5], 64, v27
	v_mad_u32_u24 v81, v17, s1, v74
	v_mad_u32_u24 v82, v8, s0, v6
	s_lshl_b64 s[0:1], s[22:23], 3
	s_lshl_b64 s[8:9], s[22:23], 4
	s_lshl_b64 s[10:11], s[22:23], 9
	s_mul_hi_i32 s13, s22, 24
	s_mul_i32 s12, s22, 24
	s_lshl_b64 s[14:15], s[22:23], 7
	s_mul_hi_i32 s21, s22, 0x90
	s_mul_i32 s20, s22, 0x90
	s_mul_hi_i32 s25, s22, 0x98
	s_mul_i32 s24, s22, 0x98
	s_lshl_b64 s[26:27], s[22:23], 8
	s_mul_hi_i32 s29, s22, 0x110
	s_mul_i32 s28, s22, 0x110
	s_mul_hi_i32 s31, s22, 0x118
	s_mul_i32 s30, s22, 0x118
	;; [unrolled: 2-line block ×7, first 2 shown]
	s_mul_hi_i32 s23, s22, 0x88
	s_mulk_i32 s22, 0x88
	v_or_b32_e32 v2, v2, v8
	s_mov_b32 s44, 0
	s_branch .LBB174_74
.LBB174_73:                             ;   in Loop: Header=BB174_74 Depth=1
	s_or_b64 exec, exec, s[46:47]
	v_fmac_f64_e32 v[18:19], v[6:7], v[14:15]
	v_fmac_f64_e32 v[18:19], v[10:11], v[20:21]
	;; [unrolled: 1-line block ×15, first 2 shown]
	s_add_i32 s2, s2, -1
	s_add_i32 s44, s44, s3
	v_fmac_f64_e32 v[18:19], v[58:59], v[72:73]
	v_lshl_add_u64 v[4:5], v[4:5], 0, s[10:11]
	s_cmp_eq_u32 s2, 0
	v_add_u32_e32 v2, 64, v2
	s_barrier
	s_cbranch_scc1 .LBB174_78
.LBB174_74:                             ; =>This Inner Loop Header: Depth=1
	s_and_saveexec_b64 s[46:47], s[18:19]
	s_cbranch_execz .LBB174_76
; %bb.75:                               ;   in Loop: Header=BB174_74 Depth=1
	s_ashr_i32 s45, s44, 31
	v_lshl_add_u64 v[6:7], s[44:45], 3, v[0:1]
	flat_load_dwordx2 v[6:7], v[6:7]
	s_waitcnt vmcnt(0) lgkmcnt(0)
	ds_write_b64 v75, v[6:7]
.LBB174_76:                             ;   in Loop: Header=BB174_74 Depth=1
	s_or_b64 exec, exec, s[46:47]
	s_waitcnt lgkmcnt(0)
	s_barrier
	flat_load_dwordx2 v[6:7], v[4:5]
	v_lshl_add_u64 v[12:13], v[4:5], 0, s[0:1]
	v_lshl_add_u64 v[14:15], v[4:5], 0, s[8:9]
	flat_load_dwordx2 v[10:11], v[12:13]
	flat_load_dwordx2 v[8:9], v[14:15]
	v_lshl_add_u64 v[12:13], v[4:5], 0, s[12:13]
	flat_load_dwordx2 v[12:13], v[12:13]
	ds_read_b64 v[20:21], v76
	ds_read_b64 v[14:15], v80
	v_lshl_add_u64 v[34:35], v[4:5], 0, s[14:15]
	v_lshl_add_u64 v[36:37], v[4:5], 0, s[22:23]
	;; [unrolled: 1-line block ×12, first 2 shown]
	s_waitcnt vmcnt(0) lgkmcnt(0)
	v_mul_f64 v[22:23], v[6:7], v[20:21]
	ds_write_b64 v81, v[22:23]
	v_mul_f64 v[22:23], v[10:11], v[20:21]
	v_mul_f64 v[24:25], v[8:9], v[20:21]
	;; [unrolled: 1-line block ×3, first 2 shown]
	ds_read_b64 v[20:21], v80 offset:8
	ds_write_b64 v81, v[22:23] offset:536
	ds_read_b64 v[22:23], v80 offset:16
	ds_write_b64 v81, v[24:25] offset:1072
	;; [unrolled: 2-line block ×3, first 2 shown]
	s_waitcnt lgkmcnt(0)
	s_barrier
	ds_read2_b64 v[66:69], v79 offset1:1
	ds_read2_b64 v[70:73], v79 offset0:2 offset1:3
	s_waitcnt lgkmcnt(0)
	s_barrier
	flat_load_dwordx2 v[32:33], v[34:35]
	flat_load_dwordx2 v[30:31], v[36:37]
	;; [unrolled: 1-line block ×4, first 2 shown]
	ds_read_b64 v[36:37], v76
	ds_read_b64 v[34:35], v80 offset:128
	v_add_f64 v[66:67], v[66:67], 0
	v_add_f64 v[66:67], v[66:67], v[68:69]
	;; [unrolled: 1-line block ×3, first 2 shown]
	s_waitcnt vmcnt(0) lgkmcnt(0)
	v_mul_f64 v[38:39], v[32:33], v[36:37]
	v_mul_f64 v[40:41], v[30:31], v[36:37]
	ds_write_b64 v81, v[38:39]
	v_mul_f64 v[42:43], v[28:29], v[36:37]
	v_mul_f64 v[44:45], v[26:27], v[36:37]
	ds_read_b64 v[36:37], v80 offset:136
	ds_write_b64 v81, v[40:41] offset:536
	ds_read_b64 v[38:39], v80 offset:144
	ds_write_b64 v81, v[42:43] offset:1072
	;; [unrolled: 2-line block ×3, first 2 shown]
	s_waitcnt lgkmcnt(0)
	s_barrier
	ds_read2_b64 v[84:87], v79 offset1:1
	ds_read2_b64 v[88:91], v79 offset0:2 offset1:3
	s_waitcnt lgkmcnt(0)
	s_barrier
	flat_load_dwordx2 v[48:49], v[50:51]
	flat_load_dwordx2 v[46:47], v[52:53]
	;; [unrolled: 1-line block ×4, first 2 shown]
	ds_read_b64 v[52:53], v76
	ds_read_b64 v[50:51], v80 offset:256
	s_waitcnt vmcnt(0) lgkmcnt(0)
	v_mul_f64 v[54:55], v[48:49], v[52:53]
	v_mul_f64 v[56:57], v[46:47], v[52:53]
	ds_write_b64 v81, v[54:55]
	v_mul_f64 v[58:59], v[44:45], v[52:53]
	v_mul_f64 v[60:61], v[42:43], v[52:53]
	ds_read_b64 v[52:53], v80 offset:264
	ds_write_b64 v81, v[56:57] offset:536
	ds_read_b64 v[54:55], v80 offset:272
	ds_write_b64 v81, v[58:59] offset:1072
	;; [unrolled: 2-line block ×3, first 2 shown]
	s_waitcnt lgkmcnt(0)
	s_barrier
	ds_read2_b64 v[92:95], v79 offset1:1
	ds_read2_b64 v[96:99], v79 offset0:2 offset1:3
	s_waitcnt lgkmcnt(0)
	s_barrier
	flat_load_dwordx2 v[64:65], v[100:101]
	flat_load_dwordx2 v[62:63], v[102:103]
	;; [unrolled: 1-line block ×4, first 2 shown]
	v_add_f64 v[100:101], v[66:67], v[72:73]
	v_add_f64 v[66:67], v[84:85], 0
	;; [unrolled: 1-line block ×5, first 2 shown]
	ds_read_b64 v[68:69], v76
	ds_read_b64 v[66:67], v80 offset:384
	v_add_f64 v[70:71], v[92:93], 0
	v_add_f64 v[70:71], v[70:71], v[94:95]
	;; [unrolled: 1-line block ×4, first 2 shown]
	s_waitcnt vmcnt(0) lgkmcnt(0)
	v_mul_f64 v[70:71], v[64:65], v[68:69]
	v_mul_f64 v[72:73], v[62:63], v[68:69]
	ds_write_b64 v81, v[70:71]
	v_mul_f64 v[84:85], v[60:61], v[68:69]
	v_mul_f64 v[86:87], v[58:59], v[68:69]
	ds_read_b64 v[68:69], v80 offset:392
	ds_write_b64 v81, v[72:73] offset:536
	ds_read_b64 v[70:71], v80 offset:400
	ds_write_b64 v81, v[84:85] offset:1072
	;; [unrolled: 2-line block ×3, first 2 shown]
	s_waitcnt lgkmcnt(0)
	s_barrier
	ds_read2_b64 v[84:87], v79 offset1:1
	ds_read2_b64 v[88:91], v79 offset0:2 offset1:3
	s_waitcnt lgkmcnt(0)
	s_barrier
	v_add_f64 v[84:85], v[84:85], 0
	v_add_f64 v[84:85], v[84:85], v[86:87]
	;; [unrolled: 1-line block ×4, first 2 shown]
	ds_write2_b64 v82, v[100:101], v[102:103] offset1:16
	ds_write2_b64 v82, v[92:93], v[84:85] offset0:32 offset1:48
	s_waitcnt lgkmcnt(0)
	s_barrier
	s_and_saveexec_b64 s[46:47], s[4:5]
	s_cbranch_execz .LBB174_73
; %bb.77:                               ;   in Loop: Header=BB174_74 Depth=1
	ds_read2_b64 v[84:87], v77 offset1:1
	ds_read2_b64 v[88:91], v77 offset0:2 offset1:3
	ds_read2_b64 v[92:95], v77 offset0:4 offset1:5
	ds_read2_b64 v[96:99], v77 offset0:6 offset1:7
	s_waitcnt lgkmcnt(3)
	v_add_f64 v[84:85], v[84:85], v[86:87]
	s_waitcnt lgkmcnt(2)
	v_add_f64 v[84:85], v[84:85], v[88:89]
	v_add_f64 v[84:85], v[84:85], v[90:91]
	s_waitcnt lgkmcnt(1)
	v_add_f64 v[88:89], v[84:85], v[92:93]
	ds_read2_b64 v[84:87], v77 offset0:8 offset1:9
	v_add_f64 v[88:89], v[88:89], v[94:95]
	s_waitcnt lgkmcnt(1)
	v_add_f64 v[92:93], v[88:89], v[96:97]
	ds_read2_b64 v[88:91], v77 offset0:10 offset1:11
	v_add_f64 v[92:93], v[92:93], v[98:99]
	s_waitcnt lgkmcnt(1)
	v_add_f64 v[84:85], v[92:93], v[84:85]
	v_add_f64 v[92:93], v[84:85], v[86:87]
	ds_read2_b64 v[84:87], v77 offset0:12 offset1:13
	s_waitcnt lgkmcnt(1)
	v_add_f64 v[88:89], v[92:93], v[88:89]
	ds_read_b64 v[92:93], v77 offset:112
	ds_read_b64 v[94:95], v78
	v_add_f64 v[88:89], v[88:89], v[90:91]
	s_waitcnt lgkmcnt(2)
	v_add_f64 v[84:85], v[88:89], v[84:85]
	v_add_f64 v[84:85], v[84:85], v[86:87]
	s_waitcnt lgkmcnt(1)
	v_add_f64 v[84:85], v[84:85], v[92:93]
	s_waitcnt lgkmcnt(0)
	v_add_f64 v[84:85], v[84:85], v[94:95]
	v_lshl_add_u64 v[86:87], v[2:3], 3, s[6:7]
	global_store_dwordx2 v[86:87], v[84:85], off
	s_branch .LBB174_73
.LBB174_78:
	s_movk_i32 s0, 0x218
	v_mad_u32_u24 v0, v17, s0, v74
	s_or_b64 s[0:1], s[16:17], vcc
	s_xor_b64 s[0:1], s[0:1], -1
	ds_write_b64 v0, v[18:19]
	s_waitcnt lgkmcnt(0)
	s_barrier
	s_and_saveexec_b64 s[2:3], s[0:1]
	s_cbranch_execz .LBB174_80
; %bb.79:
	ds_read2_b64 v[0:3], v74 offset1:67
	ds_read2_b64 v[4:7], v74 offset0:134 offset1:201
	v_ashrrev_i32_e32 v17, 31, v16
	s_waitcnt lgkmcnt(1)
	v_add_f64 v[0:1], v[0:1], v[2:3]
	s_waitcnt lgkmcnt(0)
	v_add_f64 v[0:1], v[0:1], v[4:5]
	v_add_f64 v[0:1], v[0:1], v[6:7]
	v_lshl_add_u64 v[2:3], v[16:17], 3, s[6:7]
	global_store_dwordx2 v[2:3], v[0:1], off
.LBB174_80:
	s_endpgm
	.section	.rodata,"a",@progbits
	.p2align	6, 0x0
	.amdhsa_kernel _ZL26rocblas_hemvn_kernel_lowerILb0ELi64ELi4ELi33ELi32ELi16EiPKdPKS1_PdEviT6_lT7_lT5_lS6_lS7_lS5_lT8_i
		.amdhsa_group_segment_fixed_size 9600
		.amdhsa_private_segment_fixed_size 0
		.amdhsa_kernarg_size 376
		.amdhsa_user_sgpr_count 2
		.amdhsa_user_sgpr_dispatch_ptr 0
		.amdhsa_user_sgpr_queue_ptr 0
		.amdhsa_user_sgpr_kernarg_segment_ptr 1
		.amdhsa_user_sgpr_dispatch_id 0
		.amdhsa_user_sgpr_kernarg_preload_length 0
		.amdhsa_user_sgpr_kernarg_preload_offset 0
		.amdhsa_user_sgpr_private_segment_size 0
		.amdhsa_uses_dynamic_stack 0
		.amdhsa_enable_private_segment 0
		.amdhsa_system_sgpr_workgroup_id_x 1
		.amdhsa_system_sgpr_workgroup_id_y 0
		.amdhsa_system_sgpr_workgroup_id_z 1
		.amdhsa_system_sgpr_workgroup_info 0
		.amdhsa_system_vgpr_workitem_id 1
		.amdhsa_next_free_vgpr 108
		.amdhsa_next_free_sgpr 48
		.amdhsa_accum_offset 108
		.amdhsa_reserve_vcc 1
		.amdhsa_float_round_mode_32 0
		.amdhsa_float_round_mode_16_64 0
		.amdhsa_float_denorm_mode_32 3
		.amdhsa_float_denorm_mode_16_64 3
		.amdhsa_dx10_clamp 1
		.amdhsa_ieee_mode 1
		.amdhsa_fp16_overflow 0
		.amdhsa_tg_split 0
		.amdhsa_exception_fp_ieee_invalid_op 0
		.amdhsa_exception_fp_denorm_src 0
		.amdhsa_exception_fp_ieee_div_zero 0
		.amdhsa_exception_fp_ieee_overflow 0
		.amdhsa_exception_fp_ieee_underflow 0
		.amdhsa_exception_fp_ieee_inexact 0
		.amdhsa_exception_int_div_zero 0
	.end_amdhsa_kernel
	.section	.text._ZL26rocblas_hemvn_kernel_lowerILb0ELi64ELi4ELi33ELi32ELi16EiPKdPKS1_PdEviT6_lT7_lT5_lS6_lS7_lS5_lT8_i,"axG",@progbits,_ZL26rocblas_hemvn_kernel_lowerILb0ELi64ELi4ELi33ELi32ELi16EiPKdPKS1_PdEviT6_lT7_lT5_lS6_lS7_lS5_lT8_i,comdat
.Lfunc_end174:
	.size	_ZL26rocblas_hemvn_kernel_lowerILb0ELi64ELi4ELi33ELi32ELi16EiPKdPKS1_PdEviT6_lT7_lT5_lS6_lS7_lS5_lT8_i, .Lfunc_end174-_ZL26rocblas_hemvn_kernel_lowerILb0ELi64ELi4ELi33ELi32ELi16EiPKdPKS1_PdEviT6_lT7_lT5_lS6_lS7_lS5_lT8_i
                                        ; -- End function
	.section	.AMDGPU.csdata,"",@progbits
; Kernel info:
; codeLenInByte = 5828
; NumSgprs: 54
; NumVgprs: 108
; NumAgprs: 0
; TotalNumVgprs: 108
; ScratchSize: 0
; MemoryBound: 0
; FloatMode: 240
; IeeeMode: 1
; LDSByteSize: 9600 bytes/workgroup (compile time only)
; SGPRBlocks: 6
; VGPRBlocks: 13
; NumSGPRsForWavesPerEU: 54
; NumVGPRsForWavesPerEU: 108
; AccumOffset: 108
; Occupancy: 4
; WaveLimiterHint : 1
; COMPUTE_PGM_RSRC2:SCRATCH_EN: 0
; COMPUTE_PGM_RSRC2:USER_SGPR: 2
; COMPUTE_PGM_RSRC2:TRAP_HANDLER: 0
; COMPUTE_PGM_RSRC2:TGID_X_EN: 1
; COMPUTE_PGM_RSRC2:TGID_Y_EN: 0
; COMPUTE_PGM_RSRC2:TGID_Z_EN: 1
; COMPUTE_PGM_RSRC2:TIDIG_COMP_CNT: 1
; COMPUTE_PGM_RSRC3_GFX90A:ACCUM_OFFSET: 26
; COMPUTE_PGM_RSRC3_GFX90A:TG_SPLIT: 0
	.section	.text._ZL36rocblas_hemvn_kernel_lower_block_sumILi64EiPKdPKPddEviT1_lS5_lT2_lT0_lPT3_i,"axG",@progbits,_ZL36rocblas_hemvn_kernel_lower_block_sumILi64EiPKdPKPddEviT1_lS5_lT2_lT0_lPT3_i,comdat
	.globl	_ZL36rocblas_hemvn_kernel_lower_block_sumILi64EiPKdPKPddEviT1_lS5_lT2_lT0_lPT3_i ; -- Begin function _ZL36rocblas_hemvn_kernel_lower_block_sumILi64EiPKdPKPddEviT1_lS5_lT2_lT0_lPT3_i
	.p2align	8
	.type	_ZL36rocblas_hemvn_kernel_lower_block_sumILi64EiPKdPKPddEviT1_lS5_lT2_lT0_lPT3_i,@function
_ZL36rocblas_hemvn_kernel_lower_block_sumILi64EiPKdPKPddEviT1_lS5_lT2_lT0_lPT3_i: ; @_ZL36rocblas_hemvn_kernel_lower_block_sumILi64EiPKdPKPddEviT1_lS5_lT2_lT0_lPT3_i
; %bb.0:
	s_load_dwordx8 s[4:11], s[0:1], 0x8
	s_mov_b32 s14, s3
	s_waitcnt lgkmcnt(0)
	s_mul_i32 s3, s3, s7
	s_mul_hi_u32 s7, s14, s6
	s_add_i32 s7, s7, s3
	s_mul_i32 s6, s14, s6
	s_lshl_b64 s[6:7], s[6:7], 3
	s_add_u32 s4, s4, s6
	s_addc_u32 s5, s5, s7
	s_load_dwordx2 s[6:7], s[4:5], 0x0
	s_mul_i32 s3, s14, s11
	s_mul_hi_u32 s4, s14, s10
	s_add_i32 s5, s4, s3
	s_mul_i32 s4, s14, s10
	s_lshl_b64 s[4:5], s[4:5], 3
	s_add_u32 s4, s8, s4
	s_addc_u32 s5, s9, s5
	s_load_dwordx2 s[10:11], s[4:5], 0x0
	s_waitcnt lgkmcnt(0)
	v_cmp_eq_f64_e64 s[4:5], s[6:7], 0
	v_cmp_eq_f64_e64 s[8:9], s[10:11], 1.0
	s_and_b64 s[4:5], s[4:5], s[8:9]
	s_and_b64 vcc, exec, s[4:5]
	s_cbranch_vccnz .LBB175_19
; %bb.1:
	s_load_dwordx4 s[20:23], s[0:1], 0x28
	s_mov_b32 s15, 0
	s_lshl_b64 s[4:5], s[14:15], 3
	s_load_dword s3, s[0:1], 0x38
	s_load_dword s16, s[0:1], 0x0
	v_lshl_or_b32 v6, s2, 6, v0
	s_waitcnt lgkmcnt(0)
	s_add_u32 s4, s20, s4
	s_addc_u32 s5, s21, s5
	s_load_dwordx2 s[4:5], s[4:5], 0x0
	s_lshl_b64 s[8:9], s[22:23], 3
	v_cmp_neq_f64_e64 s[18:19], s[6:7], 0
	s_mov_b64 s[12:13], 0
	s_waitcnt lgkmcnt(0)
	s_add_u32 s8, s4, s8
	s_addc_u32 s9, s5, s9
	s_and_b64 vcc, exec, s[18:19]
	v_cmp_gt_i32_e64 s[4:5], s16, v6
	s_cbranch_vccnz .LBB175_6
; %bb.2:
	s_mov_b64 s[18:19], 0
                                        ; implicit-def: $vgpr2_vgpr3
                                        ; implicit-def: $vgpr0_vgpr1
	s_and_saveexec_b64 s[20:21], s[4:5]
	s_cbranch_execz .LBB175_7
; %bb.3:
	v_cmp_eq_f64_e64 s[4:5], s[10:11], 0
	v_mul_lo_u32 v0, v6, s3
	v_mov_b64_e32 v[2:3], 0
	v_ashrrev_i32_e32 v1, 31, v0
	s_and_b64 vcc, exec, s[4:5]
	s_cbranch_vccnz .LBB175_5
; %bb.4:
	v_lshl_add_u64 v[2:3], v[0:1], 3, s[8:9]
	global_load_dwordx2 v[2:3], v[2:3], off
	s_waitcnt vmcnt(0)
	v_mul_f64 v[2:3], s[10:11], v[2:3]
.LBB175_5:
	s_mov_b64 s[12:13], exec
	s_or_b64 exec, exec, s[20:21]
	s_and_b64 vcc, exec, s[18:19]
	s_cbranch_vccnz .LBB175_8
	s_branch .LBB175_17
.LBB175_6:
                                        ; implicit-def: $vgpr2_vgpr3
                                        ; implicit-def: $vgpr0_vgpr1
	s_cbranch_execnz .LBB175_8
	s_branch .LBB175_17
.LBB175_7:
	s_or_b64 exec, exec, s[20:21]
	s_and_b64 vcc, exec, s[18:19]
	s_cbranch_vccz .LBB175_17
.LBB175_8:
	v_cmp_gt_i32_e32 vcc, s16, v6
                                        ; implicit-def: $vgpr2_vgpr3
                                        ; implicit-def: $vgpr0_vgpr1
	s_and_saveexec_b64 s[4:5], vcc
	s_cbranch_execz .LBB175_16
; %bb.9:
	s_load_dword s15, s[0:1], 0x58
	v_mov_b64_e32 v[4:5], 0
	s_waitcnt lgkmcnt(0)
	s_cmp_ge_i32 s2, s15
	s_cbranch_scc1 .LBB175_12
; %bb.10:
	s_ashr_i32 s17, s16, 31
	s_mul_i32 s18, s2, s16
	s_load_dwordx2 s[0:1], s[0:1], 0x48
	v_add_u32_e32 v0, s18, v6
	s_mul_hi_u32 s18, s16, s14
	s_mul_i32 s19, s17, s14
	s_add_i32 s18, s18, s19
	s_mul_i32 s14, s16, s14
	s_mul_i32 s18, s18, s15
	s_mul_hi_u32 s19, s14, s15
	s_add_i32 s19, s19, s18
	s_mul_i32 s18, s14, s15
	s_lshl_b64 s[18:19], s[18:19], 3
	s_waitcnt lgkmcnt(0)
	s_add_u32 s0, s0, s18
	v_ashrrev_i32_e32 v1, 31, v0
	s_addc_u32 s1, s1, s19
	v_lshl_add_u64 v[0:1], v[0:1], 3, s[0:1]
	s_lshl_b64 s[0:1], s[16:17], 3
	v_mov_b64_e32 v[4:5], 0
.LBB175_11:                             ; =>This Inner Loop Header: Depth=1
	global_load_dwordx2 v[2:3], v[0:1], off
	s_add_i32 s2, s2, 1
	v_lshl_add_u64 v[0:1], v[0:1], 0, s[0:1]
	s_cmp_ge_i32 s2, s15
	s_waitcnt vmcnt(0)
	v_add_f64 v[4:5], v[4:5], v[2:3]
	s_cbranch_scc0 .LBB175_11
.LBB175_12:
	v_cmp_eq_f64_e64 s[14:15], s[10:11], 0
	v_mul_lo_u32 v0, v6, s3
	s_mov_b64 s[0:1], 0
	s_and_b64 vcc, exec, s[14:15]
	v_ashrrev_i32_e32 v1, 31, v0
	s_cbranch_vccz .LBB175_20
; %bb.13:
	v_mul_f64 v[2:3], s[6:7], v[4:5]
	s_andn2_b64 vcc, exec, s[0:1]
	s_cbranch_vccnz .LBB175_15
.LBB175_14:
	v_lshl_add_u64 v[2:3], v[0:1], 3, s[8:9]
	global_load_dwordx2 v[2:3], v[2:3], off
	s_waitcnt vmcnt(0)
	v_mul_f64 v[2:3], s[10:11], v[2:3]
	v_fmac_f64_e32 v[2:3], s[6:7], v[4:5]
.LBB175_15:
	s_or_b64 s[12:13], s[12:13], exec
.LBB175_16:
	s_or_b64 exec, exec, s[4:5]
.LBB175_17:
	s_and_saveexec_b64 s[0:1], s[12:13]
	s_cbranch_execz .LBB175_19
; %bb.18:
	v_lshl_add_u64 v[0:1], v[0:1], 3, s[8:9]
	global_store_dwordx2 v[0:1], v[2:3], off
.LBB175_19:
	s_endpgm
.LBB175_20:
                                        ; implicit-def: $vgpr2_vgpr3
	s_branch .LBB175_14
	.section	.rodata,"a",@progbits
	.p2align	6, 0x0
	.amdhsa_kernel _ZL36rocblas_hemvn_kernel_lower_block_sumILi64EiPKdPKPddEviT1_lS5_lT2_lT0_lPT3_i
		.amdhsa_group_segment_fixed_size 0
		.amdhsa_private_segment_fixed_size 0
		.amdhsa_kernarg_size 344
		.amdhsa_user_sgpr_count 2
		.amdhsa_user_sgpr_dispatch_ptr 0
		.amdhsa_user_sgpr_queue_ptr 0
		.amdhsa_user_sgpr_kernarg_segment_ptr 1
		.amdhsa_user_sgpr_dispatch_id 0
		.amdhsa_user_sgpr_kernarg_preload_length 0
		.amdhsa_user_sgpr_kernarg_preload_offset 0
		.amdhsa_user_sgpr_private_segment_size 0
		.amdhsa_uses_dynamic_stack 0
		.amdhsa_enable_private_segment 0
		.amdhsa_system_sgpr_workgroup_id_x 1
		.amdhsa_system_sgpr_workgroup_id_y 0
		.amdhsa_system_sgpr_workgroup_id_z 1
		.amdhsa_system_sgpr_workgroup_info 0
		.amdhsa_system_vgpr_workitem_id 0
		.amdhsa_next_free_vgpr 7
		.amdhsa_next_free_sgpr 24
		.amdhsa_accum_offset 8
		.amdhsa_reserve_vcc 1
		.amdhsa_float_round_mode_32 0
		.amdhsa_float_round_mode_16_64 0
		.amdhsa_float_denorm_mode_32 3
		.amdhsa_float_denorm_mode_16_64 3
		.amdhsa_dx10_clamp 1
		.amdhsa_ieee_mode 1
		.amdhsa_fp16_overflow 0
		.amdhsa_tg_split 0
		.amdhsa_exception_fp_ieee_invalid_op 0
		.amdhsa_exception_fp_denorm_src 0
		.amdhsa_exception_fp_ieee_div_zero 0
		.amdhsa_exception_fp_ieee_overflow 0
		.amdhsa_exception_fp_ieee_underflow 0
		.amdhsa_exception_fp_ieee_inexact 0
		.amdhsa_exception_int_div_zero 0
	.end_amdhsa_kernel
	.section	.text._ZL36rocblas_hemvn_kernel_lower_block_sumILi64EiPKdPKPddEviT1_lS5_lT2_lT0_lPT3_i,"axG",@progbits,_ZL36rocblas_hemvn_kernel_lower_block_sumILi64EiPKdPKPddEviT1_lS5_lT2_lT0_lPT3_i,comdat
.Lfunc_end175:
	.size	_ZL36rocblas_hemvn_kernel_lower_block_sumILi64EiPKdPKPddEviT1_lS5_lT2_lT0_lPT3_i, .Lfunc_end175-_ZL36rocblas_hemvn_kernel_lower_block_sumILi64EiPKdPKPddEviT1_lS5_lT2_lT0_lPT3_i
                                        ; -- End function
	.section	.AMDGPU.csdata,"",@progbits
; Kernel info:
; codeLenInByte = 620
; NumSgprs: 30
; NumVgprs: 7
; NumAgprs: 0
; TotalNumVgprs: 7
; ScratchSize: 0
; MemoryBound: 0
; FloatMode: 240
; IeeeMode: 1
; LDSByteSize: 0 bytes/workgroup (compile time only)
; SGPRBlocks: 3
; VGPRBlocks: 0
; NumSGPRsForWavesPerEU: 30
; NumVGPRsForWavesPerEU: 7
; AccumOffset: 8
; Occupancy: 8
; WaveLimiterHint : 1
; COMPUTE_PGM_RSRC2:SCRATCH_EN: 0
; COMPUTE_PGM_RSRC2:USER_SGPR: 2
; COMPUTE_PGM_RSRC2:TRAP_HANDLER: 0
; COMPUTE_PGM_RSRC2:TGID_X_EN: 1
; COMPUTE_PGM_RSRC2:TGID_Y_EN: 0
; COMPUTE_PGM_RSRC2:TGID_Z_EN: 1
; COMPUTE_PGM_RSRC2:TIDIG_COMP_CNT: 0
; COMPUTE_PGM_RSRC3_GFX90A:ACCUM_OFFSET: 1
; COMPUTE_PGM_RSRC3_GFX90A:TG_SPLIT: 0
	.section	.text._ZL26rocblas_hemvn_kernel_lowerILb0ELi64ELi4ELi33ELi32ELi16EldPKPKdPdEviT6_lT7_lT5_lS6_lS7_lS5_lT8_i,"axG",@progbits,_ZL26rocblas_hemvn_kernel_lowerILb0ELi64ELi4ELi33ELi32ELi16EldPKPKdPdEviT6_lT7_lT5_lS6_lS7_lS5_lT8_i,comdat
	.globl	_ZL26rocblas_hemvn_kernel_lowerILb0ELi64ELi4ELi33ELi32ELi16EldPKPKdPdEviT6_lT7_lT5_lS6_lS7_lS5_lT8_i ; -- Begin function _ZL26rocblas_hemvn_kernel_lowerILb0ELi64ELi4ELi33ELi32ELi16EldPKPKdPdEviT6_lT7_lT5_lS6_lS7_lS5_lT8_i
	.p2align	8
	.type	_ZL26rocblas_hemvn_kernel_lowerILb0ELi64ELi4ELi33ELi32ELi16EldPKPKdPdEviT6_lT7_lT5_lS6_lS7_lS5_lT8_i,@function
_ZL26rocblas_hemvn_kernel_lowerILb0ELi64ELi4ELi33ELi32ELi16EldPKPKdPdEviT6_lT7_lT5_lS6_lS7_lS5_lT8_i: ; @_ZL26rocblas_hemvn_kernel_lowerILb0ELi64ELi4ELi33ELi32ELi16EldPKPKdPdEviT6_lT7_lT5_lS6_lS7_lS5_lT8_i
; %bb.0:
	s_load_dwordx2 s[4:5], s[0:1], 0x84
	s_add_u32 s14, s0, 0x78
	s_mov_b32 s28, s3
	s_addc_u32 s15, s1, 0
	s_waitcnt lgkmcnt(0)
	s_and_b32 s3, s5, 0xffff
	s_lshr_b32 s5, s4, 16
	s_and_b32 s4, s4, 0xffff
	s_mul_i32 s4, s5, s4
	s_mul_i32 s4, s4, s3
	s_cmpk_lg_i32 s4, 0x100
	s_cbranch_scc1 .LBB176_80
; %bb.1:
	s_load_dwordx2 s[8:9], s[0:1], 0x8
	s_load_dwordx2 s[4:5], s[0:1], 0x58
	s_waitcnt lgkmcnt(0)
	v_cmp_eq_f64_e64 s[10:11], s[8:9], 0
	v_cmp_eq_f64_e64 s[4:5], s[4:5], 1.0
	s_and_b64 s[4:5], s[10:11], s[4:5]
	s_and_b64 vcc, exec, s[4:5]
	s_cbranch_vccnz .LBB176_80
; %bb.2:
	s_load_dwordx4 s[4:7], s[0:1], 0x18
	s_load_dwordx2 s[26:27], s[0:1], 0x28
	s_mov_b64 s[16:17], 0
	v_cmp_neq_f64_e64 s[18:19], s[8:9], 0
	s_and_b64 vcc, exec, s[10:11]
	s_mov_b64 s[12:13], 0
	s_cbranch_vccnz .LBB176_4
; %bb.3:
	s_mov_b32 s29, 0
	s_lshl_b64 s[8:9], s[28:29], 3
	s_waitcnt lgkmcnt(0)
	s_add_u32 s4, s4, s8
	s_addc_u32 s5, s5, s9
	s_load_dwordx2 s[4:5], s[4:5], 0x0
	s_lshl_b64 s[6:7], s[6:7], 3
	s_waitcnt lgkmcnt(0)
	s_add_u32 s12, s4, s6
	s_addc_u32 s13, s5, s7
.LBB176_4:
	s_load_dwordx4 s[8:11], s[0:1], 0x38
	s_load_dwordx2 s[22:23], s[0:1], 0x48
	v_cndmask_b32_e64 v1, 0, 1, s[18:19]
	s_waitcnt lgkmcnt(0)
	v_cmp_ne_u32_e64 s[4:5], 1, v1
	s_andn2_b64 vcc, exec, s[18:19]
	s_cbranch_vccnz .LBB176_6
; %bb.5:
	s_mov_b32 s29, 0
	s_lshl_b64 s[6:7], s[28:29], 3
	s_add_u32 s6, s8, s6
	s_addc_u32 s7, s9, s7
	s_load_dwordx2 s[6:7], s[6:7], 0x0
	s_lshl_b64 s[8:9], s[10:11], 3
	s_waitcnt lgkmcnt(0)
	s_add_u32 s16, s6, s8
	s_addc_u32 s17, s7, s9
.LBB176_6:
	s_and_b64 vcc, exec, s[4:5]
	s_cbranch_vccnz .LBB176_80
; %bb.7:
	s_load_dword s29, s[14:15], 0x0
	s_load_dword s3, s[0:1], 0x0
	v_and_b32_e32 v26, 0x3ff, v0
	s_lshl_b32 s34, s2, 6
	v_add_u32_e32 v16, s34, v26
	s_waitcnt lgkmcnt(0)
	s_add_i32 s4, s29, -1
	s_ashr_i32 s33, s3, 31
	s_lshr_b32 s5, s33, 26
	s_add_i32 s5, s3, s5
	s_andn2_b32 s5, s5, 63
	s_sub_i32 s5, s3, s5
	s_cmp_eq_u32 s2, s4
	v_ashrrev_i32_e32 v17, 31, v16
	v_bfe_u32 v76, v0, 10, 10
	s_cselect_b32 s30, s5, 0
	v_mul_lo_u32 v2, v17, s22
	v_mul_lo_u32 v3, v16, s23
	v_mad_u64_u32 v[0:1], s[4:5], v16, s22, 0
	v_add3_u32 v1, v1, v3, v2
	v_lshl_add_u64 v[20:21], v[0:1], 3, s[16:17]
	v_cmp_ne_u32_e64 s[4:5], 0, v76
	v_cmp_eq_u32_e64 s[18:19], 0, v76
	s_and_saveexec_b64 s[6:7], s[18:19]
	s_cbranch_execz .LBB176_11
; %bb.8:
	s_cmp_eq_u32 s30, 0
	s_cselect_b64 s[8:9], -1, 0
	v_cmp_gt_i32_e32 vcc, s30, v26
	s_or_b64 s[10:11], s[8:9], vcc
	v_mov_b64_e32 v[0:1], 0
	s_and_saveexec_b64 s[8:9], s[10:11]
	s_cbranch_execz .LBB176_10
; %bb.9:
	flat_load_dwordx2 v[0:1], v[20:21]
.LBB176_10:
	s_or_b64 exec, exec, s[8:9]
	v_lshlrev_b32_e32 v2, 3, v26
	s_waitcnt vmcnt(0) lgkmcnt(0)
	ds_write_b64 v2, v[0:1] offset:9088
.LBB176_11:
	s_or_b64 exec, exec, s[6:7]
	s_ashr_i32 s35, s34, 31
	v_lshl_add_u32 v27, v76, 6, v26
	s_lshl_b64 s[6:7], s[34:35], 3
	v_and_b32_e32 v0, 31, v26
	v_lshrrev_b32_e32 v12, 5, v27
	s_add_u32 s8, s12, s6
	v_mov_b32_e32 v1, 0
	s_addc_u32 s9, s13, s7
	v_mad_u64_u32 v[22:23], s[6:7], v12, s26, v[0:1]
	v_mov_b32_e32 v2, v23
	v_mad_u64_u32 v[2:3], s[6:7], v12, s27, v[2:3]
	s_mul_i32 s6, s34, s27
	s_mul_hi_u32 s7, s34, s26
	s_add_i32 s6, s7, s6
	s_mul_i32 s7, s35, s26
	s_add_i32 s7, s6, s7
	s_mul_i32 s6, s34, s26
	s_lshl_b64 s[36:37], s[6:7], 3
	s_add_u32 s6, s36, s8
	s_addc_u32 s7, s37, s9
	s_cmp_lg_u32 s30, 0
	v_mov_b32_e32 v23, v2
	s_cselect_b64 s[38:39], -1, 0
	s_cmp_eq_u32 s30, 0
	v_lshl_add_u64 v[2:3], v[22:23], 3, s[6:7]
	s_cselect_b64 s[20:21], -1, 0
	s_and_b64 vcc, exec, s[38:39]
	s_cbranch_vccnz .LBB176_13
; %bb.12:
	flat_load_dwordx2 v[4:5], v[2:3]
	v_mul_u32_u24_e32 v1, 33, v12
	s_lshl_b64 s[6:7], s[26:27], 6
	v_add_lshl_u32 v1, v1, v0, 3
	v_lshl_add_u64 v[6:7], v[2:3], 0, s[6:7]
	s_mul_i32 s8, s27, 0xc0
	s_waitcnt vmcnt(0) lgkmcnt(0)
	ds_write_b64 v1, v[4:5]
	flat_load_dwordx2 v[4:5], v[6:7]
	v_lshl_add_u64 v[6:7], v[6:7], 0, s[6:7]
	s_waitcnt vmcnt(0) lgkmcnt(0)
	ds_write_b64 v1, v[4:5] offset:2112
	flat_load_dwordx2 v[4:5], v[6:7]
	v_mov_b32_e32 v6, 0xc0
	v_mad_u64_u32 v[6:7], s[6:7], s26, v6, v[2:3]
	v_add_u32_e32 v7, s8, v7
	s_waitcnt vmcnt(0) lgkmcnt(0)
	ds_write_b64 v1, v[4:5] offset:4224
	flat_load_dwordx2 v[4:5], v[6:7]
	s_waitcnt vmcnt(0) lgkmcnt(0)
	ds_write_b64 v1, v[4:5] offset:6336
	s_cbranch_execz .LBB176_14
	s_branch .LBB176_23
.LBB176_13:
.LBB176_14:
	v_lshlrev_b32_e32 v4, 3, v0
	v_sub_co_u32_e32 v6, vcc, v2, v4
	s_ashr_i32 s31, s30, 31
	s_nop 0
	v_subbrev_co_u32_e32 v7, vcc, 0, v3, vcc
	v_lshl_add_u64 v[6:7], s[30:31], 3, v[6:7]
	v_lshl_add_u64 v[6:7], v[6:7], 0, -8
	v_cmp_gt_i32_e32 vcc, s30, v0
	v_mov_b64_e32 v[8:9], 0
	v_cmp_gt_i32_e64 s[6:7], s30, v12
	v_cndmask_b32_e32 v7, v7, v3, vcc
	v_cndmask_b32_e32 v6, v6, v2, vcc
	v_mov_b64_e32 v[10:11], v[8:9]
	s_and_saveexec_b64 s[8:9], s[6:7]
	s_cbranch_execz .LBB176_16
; %bb.15:
	flat_load_dwordx2 v[10:11], v[6:7]
.LBB176_16:
	s_or_b64 exec, exec, s[8:9]
	v_mul_u32_u24_e32 v1, 33, v12
	v_add_u32_e32 v5, 8, v12
	v_add_lshl_u32 v1, v1, v0, 3
	v_cmp_gt_i32_e64 s[6:7], s30, v5
	s_waitcnt vmcnt(0) lgkmcnt(0)
	ds_write_b64 v1, v[10:11]
	s_and_saveexec_b64 s[8:9], s[6:7]
	s_cbranch_execz .LBB176_18
; %bb.17:
	s_lshl_b64 s[6:7], s[26:27], 6
	v_lshl_add_u64 v[8:9], v[6:7], 0, s[6:7]
	flat_load_dwordx2 v[8:9], v[8:9]
.LBB176_18:
	s_or_b64 exec, exec, s[8:9]
	s_waitcnt vmcnt(0) lgkmcnt(0)
	ds_write_b64 v1, v[8:9] offset:2112
	v_add_u32_e32 v5, 16, v12
	v_mov_b64_e32 v[8:9], 0
	v_cmp_gt_i32_e64 s[6:7], s30, v5
	v_mov_b64_e32 v[10:11], v[8:9]
	s_and_saveexec_b64 s[8:9], s[6:7]
	s_cbranch_execz .LBB176_20
; %bb.19:
	s_lshl_b64 s[6:7], s[26:27], 7
	v_lshl_add_u64 v[10:11], v[6:7], 0, s[6:7]
	flat_load_dwordx2 v[10:11], v[10:11]
.LBB176_20:
	s_or_b64 exec, exec, s[8:9]
	v_add_u32_e32 v5, 24, v12
	v_cmp_gt_i32_e64 s[6:7], s30, v5
	s_waitcnt vmcnt(0) lgkmcnt(0)
	ds_write_b64 v1, v[10:11] offset:4224
	s_and_saveexec_b64 s[8:9], s[6:7]
	s_cbranch_execz .LBB176_22
; %bb.21:
	v_mov_b32_e32 v5, 0xc0
	v_mad_u64_u32 v[8:9], s[6:7], s26, v5, v[6:7]
	s_mul_i32 s6, s27, 0xc0
	s_nop 0
	v_add_u32_e32 v9, s6, v9
	flat_load_dwordx2 v[8:9], v[8:9]
.LBB176_22:
	s_or_b64 exec, exec, s[8:9]
	v_mov_b32_e32 v5, 0
	v_lshl_add_u64 v[4:5], v[6:7], 0, v[4:5]
	s_lshl_b64 s[6:7], s[30:31], 3
	s_waitcnt vmcnt(0) lgkmcnt(0)
	ds_write_b64 v1, v[8:9] offset:6336
	v_mov_b32_e32 v1, s7
	v_subrev_co_u32_e64 v4, s[6:7], s6, v4
	s_nop 1
	v_subb_co_u32_e64 v5, s[6:7], v5, v1, s[6:7]
	v_lshl_add_u64 v[4:5], v[4:5], 0, 8
	v_cndmask_b32_e32 v3, v5, v3, vcc
	v_cndmask_b32_e32 v2, v4, v2, vcc
.LBB176_23:
	v_lshlrev_b32_e32 v1, 2, v12
	v_mul_u32_u24_e32 v28, 33, v0
	v_cmp_lt_u32_e64 s[8:9], v1, v0
	v_add_lshl_u32 v30, v1, v28, 3
	s_waitcnt lgkmcnt(0)
	s_barrier
	s_and_saveexec_b64 s[6:7], s[8:9]
	s_cbranch_execz .LBB176_25
; %bb.24:
	v_mul_u32_u24_e32 v4, 0x84, v12
	v_add_lshl_u32 v4, v4, v0, 3
	ds_read_b64 v[4:5], v4
	s_waitcnt lgkmcnt(0)
	ds_write_b64 v30, v[4:5]
.LBB176_25:
	s_or_b64 exec, exec, s[6:7]
	v_or_b32_e32 v4, 1, v1
	v_cmp_lt_u32_e64 s[10:11], v4, v0
	s_and_saveexec_b64 s[6:7], s[10:11]
	s_cbranch_execz .LBB176_27
; %bb.26:
	v_mul_u32_u24_e32 v4, 33, v4
	v_add_lshl_u32 v4, v4, v0, 3
	ds_read_b64 v[4:5], v4
	s_waitcnt lgkmcnt(0)
	ds_write_b64 v30, v[4:5] offset:8
.LBB176_27:
	s_or_b64 exec, exec, s[6:7]
	v_or_b32_e32 v4, 2, v1
	v_cmp_lt_u32_e64 s[12:13], v4, v0
	s_and_saveexec_b64 s[6:7], s[12:13]
	s_cbranch_execz .LBB176_29
; %bb.28:
	v_mul_u32_u24_e32 v4, 33, v4
	v_add_lshl_u32 v4, v4, v0, 3
	ds_read_b64 v[4:5], v4
	s_waitcnt lgkmcnt(0)
	ds_write_b64 v30, v[4:5] offset:16
.LBB176_29:
	s_or_b64 exec, exec, s[6:7]
	v_or_b32_e32 v4, 3, v1
	v_cmp_lt_u32_e64 s[14:15], v4, v0
	v_mad_u32_u24 v4, v4, 33, v0
	v_lshlrev_b32_e32 v10, 3, v4
	s_and_saveexec_b64 s[6:7], s[14:15]
	s_cbranch_execz .LBB176_31
; %bb.30:
	ds_read_b64 v[4:5], v10
	s_waitcnt lgkmcnt(0)
	ds_write_b64 v30, v[4:5] offset:24
.LBB176_31:
	s_or_b64 exec, exec, s[6:7]
	v_mul_u32_u24_e32 v4, 0x84, v12
	v_add_lshl_u32 v11, v4, v0, 3
	s_waitcnt lgkmcnt(0)
	s_barrier
	v_lshlrev_b32_e32 v1, 3, v1
	ds_read_b64 v[8:9], v11
	ds_read_b128 v[4:7], v1 offset:9088
	v_add_u32_e32 v13, 0xfffffdf0, v10
	ds_read2_b64 v[32:35], v13 offset1:33
	ds_read_b128 v[36:39], v1 offset:9104
	ds_read_b64 v[14:15], v10
	v_mov_b64_e32 v[18:19], 0
	v_add_lshl_u32 v29, v12, v28, 3
	s_waitcnt lgkmcnt(3)
	v_fma_f64 v[4:5], v[8:9], v[4:5], 0
	s_waitcnt lgkmcnt(2)
	v_fmac_f64_e32 v[4:5], v[32:33], v[6:7]
	s_waitcnt lgkmcnt(1)
	v_fmac_f64_e32 v[4:5], v[34:35], v[36:37]
	;; [unrolled: 2-line block ×3, first 2 shown]
	v_cmp_gt_u32_e64 s[6:7], 32, v27
	s_barrier
	ds_write_b64 v29, v[4:5]
	s_waitcnt lgkmcnt(0)
	s_barrier
	s_and_saveexec_b64 s[16:17], s[6:7]
	s_cbranch_execz .LBB176_33
; %bb.32:
	v_lshlrev_b32_e32 v14, 3, v28
	ds_read2_b64 v[4:7], v14 offset1:1
	ds_read2_b64 v[32:35], v14 offset0:2 offset1:3
	ds_read2_b64 v[36:39], v14 offset0:4 offset1:5
	s_waitcnt lgkmcnt(2)
	v_add_f64 v[8:9], v[4:5], v[6:7]
	ds_read2_b64 v[4:7], v14 offset0:6 offset1:7
	s_waitcnt lgkmcnt(2)
	v_add_f64 v[8:9], v[8:9], v[32:33]
	v_add_f64 v[8:9], v[8:9], v[34:35]
	s_waitcnt lgkmcnt(1)
	v_add_f64 v[8:9], v[8:9], v[36:37]
	v_add_f64 v[8:9], v[8:9], v[38:39]
	;; [unrolled: 3-line block ×3, first 2 shown]
.LBB176_33:
	s_or_b64 exec, exec, s[16:17]
	s_lshl_b64 s[24:25], s[26:27], 8
	v_lshl_add_u64 v[4:5], v[2:3], 0, s[24:25]
	s_mov_b64 s[40:41], 0x100
	v_cndmask_b32_e64 v2, 0, 1, s[20:21]
	v_cmp_ne_u32_e64 s[16:17], 1, v2
	s_andn2_b64 vcc, exec, s[20:21]
	v_lshl_add_u64 v[2:3], v[4:5], 0, s[40:41]
	s_barrier
	s_cbranch_vccnz .LBB176_35
; %bb.34:
	flat_load_dwordx2 v[6:7], v[4:5] offset:256
	v_mul_u32_u24_e32 v8, 33, v12
	s_lshl_b64 s[20:21], s[26:27], 6
	v_add_lshl_u32 v14, v8, v0, 3
	v_lshl_add_u64 v[8:9], v[4:5], 0, s[20:21]
	s_mul_i32 s31, s27, 0xc0
	s_waitcnt vmcnt(0) lgkmcnt(0)
	ds_write_b64 v14, v[6:7]
	flat_load_dwordx2 v[6:7], v[8:9] offset:256
	v_lshl_add_u64 v[8:9], v[8:9], 0, s[20:21]
	s_waitcnt vmcnt(0) lgkmcnt(0)
	ds_write_b64 v14, v[6:7] offset:2112
	flat_load_dwordx2 v[6:7], v[8:9] offset:256
	v_mov_b32_e32 v8, 0xc0
	v_mad_u64_u32 v[4:5], s[20:21], s26, v8, v[4:5]
	v_add_u32_e32 v5, s31, v5
	s_waitcnt vmcnt(0) lgkmcnt(0)
	ds_write_b64 v14, v[6:7] offset:4224
	flat_load_dwordx2 v[4:5], v[4:5] offset:256
	s_waitcnt vmcnt(0) lgkmcnt(0)
	ds_write_b64 v14, v[4:5] offset:6336
	s_cbranch_execz .LBB176_36
	s_branch .LBB176_45
.LBB176_35:
.LBB176_36:
	v_or_b32_e32 v6, 32, v0
	v_lshlrev_b32_e32 v4, 3, v6
	v_sub_co_u32_e32 v4, vcc, v2, v4
	s_ashr_i32 s31, s30, 31
	s_nop 0
	v_subbrev_co_u32_e32 v5, vcc, 0, v3, vcc
	v_lshl_add_u64 v[4:5], s[30:31], 3, v[4:5]
	v_lshl_add_u64 v[4:5], v[4:5], 0, -8
	v_cmp_gt_i32_e32 vcc, s30, v6
	s_sub_i32 s42, s30, 32
	v_mov_b64_e32 v[6:7], 0
	v_cndmask_b32_e32 v5, v5, v3, vcc
	v_cndmask_b32_e32 v4, v4, v2, vcc
	v_cmp_gt_i32_e64 s[20:21], s42, v12
	v_mov_b64_e32 v[8:9], v[6:7]
	s_and_saveexec_b64 s[40:41], s[20:21]
	s_cbranch_execz .LBB176_38
; %bb.37:
	flat_load_dwordx2 v[8:9], v[4:5]
.LBB176_38:
	s_or_b64 exec, exec, s[40:41]
	v_mul_u32_u24_e32 v14, 33, v12
	v_add_lshl_u32 v14, v14, v0, 3
	s_waitcnt vmcnt(0) lgkmcnt(0)
	ds_write_b64 v14, v[8:9]
	v_add_u32_e32 v8, 8, v12
	v_cmp_gt_i32_e64 s[20:21], s42, v8
	s_and_saveexec_b64 s[40:41], s[20:21]
	s_cbranch_execz .LBB176_40
; %bb.39:
	s_lshl_b64 s[20:21], s[26:27], 6
	v_lshl_add_u64 v[6:7], v[4:5], 0, s[20:21]
	flat_load_dwordx2 v[6:7], v[6:7]
.LBB176_40:
	s_or_b64 exec, exec, s[40:41]
	s_waitcnt vmcnt(0) lgkmcnt(0)
	ds_write_b64 v14, v[6:7] offset:2112
	v_add_u32_e32 v6, 16, v12
	v_cmp_gt_i32_e64 s[20:21], s42, v6
	v_mov_b64_e32 v[6:7], 0
	v_mov_b64_e32 v[8:9], v[6:7]
	s_and_saveexec_b64 s[40:41], s[20:21]
	s_cbranch_execz .LBB176_42
; %bb.41:
	s_lshl_b64 s[20:21], s[26:27], 7
	v_lshl_add_u64 v[8:9], v[4:5], 0, s[20:21]
	flat_load_dwordx2 v[8:9], v[8:9]
.LBB176_42:
	s_or_b64 exec, exec, s[40:41]
	s_waitcnt vmcnt(0) lgkmcnt(0)
	ds_write_b64 v14, v[8:9] offset:4224
	v_add_u32_e32 v8, 24, v12
	v_cmp_gt_i32_e64 s[20:21], s42, v8
	s_and_saveexec_b64 s[40:41], s[20:21]
	s_cbranch_execz .LBB176_44
; %bb.43:
	v_mov_b32_e32 v6, 0xc0
	v_mad_u64_u32 v[6:7], s[20:21], s26, v6, v[4:5]
	s_mul_i32 s20, s27, 0xc0
	s_nop 0
	v_add_u32_e32 v7, s20, v7
	flat_load_dwordx2 v[6:7], v[6:7]
.LBB176_44:
	s_or_b64 exec, exec, s[40:41]
	s_waitcnt vmcnt(0) lgkmcnt(0)
	ds_write_b64 v14, v[6:7] offset:6336
	v_lshlrev_b32_e32 v6, 3, v0
	v_mov_b32_e32 v7, 0
	v_lshl_add_u64 v[4:5], v[4:5], 0, v[6:7]
	s_lshl_b64 s[20:21], s[30:31], 3
	v_mov_b32_e32 v6, s21
	v_subrev_co_u32_e64 v4, s[20:21], s20, v4
	s_nop 1
	v_subb_co_u32_e64 v5, s[20:21], v5, v6, s[20:21]
	s_mov_b64 s[20:21], 0x108
	s_nop 0
	v_lshl_add_u64 v[4:5], v[4:5], 0, s[20:21]
	v_cndmask_b32_e32 v3, v5, v3, vcc
	v_cndmask_b32_e32 v2, v4, v2, vcc
.LBB176_45:
	v_add_u32_e32 v1, 0x2380, v1
	s_lshl_b64 s[20:21], s[26:27], 5
	s_waitcnt lgkmcnt(0)
	s_barrier
	s_and_saveexec_b64 s[40:41], s[8:9]
	s_cbranch_execnz .LBB176_54
; %bb.46:
	s_or_b64 exec, exec, s[40:41]
	s_and_saveexec_b64 s[8:9], s[10:11]
	s_cbranch_execnz .LBB176_55
.LBB176_47:
	s_or_b64 exec, exec, s[8:9]
	s_and_saveexec_b64 s[8:9], s[12:13]
	s_cbranch_execnz .LBB176_56
.LBB176_48:
	s_or_b64 exec, exec, s[8:9]
	s_and_saveexec_b64 s[8:9], s[14:15]
	s_cbranch_execz .LBB176_50
.LBB176_49:
	ds_read_b64 v[4:5], v10
	s_waitcnt lgkmcnt(0)
	ds_write_b64 v30, v[4:5] offset:24
.LBB176_50:
	s_or_b64 exec, exec, s[8:9]
	s_waitcnt lgkmcnt(0)
	s_barrier
	ds_read_b64 v[8:9], v11
	ds_read_b128 v[4:7], v1 offset:256
	ds_read2_b64 v[32:35], v13 offset1:33
	ds_read_b128 v[36:39], v1 offset:272
	ds_read_b64 v[10:11], v10
	v_cmp_eq_u32_e64 s[8:9], 1, v12
	s_waitcnt lgkmcnt(3)
	v_fma_f64 v[4:5], v[8:9], v[4:5], 0
	s_waitcnt lgkmcnt(2)
	v_fmac_f64_e32 v[4:5], v[32:33], v[6:7]
	s_waitcnt lgkmcnt(1)
	v_fmac_f64_e32 v[4:5], v[34:35], v[36:37]
	;; [unrolled: 2-line block ×3, first 2 shown]
	s_barrier
	ds_write_b64 v29, v[4:5]
	s_waitcnt lgkmcnt(0)
	s_barrier
	s_and_saveexec_b64 s[10:11], s[8:9]
	s_cbranch_execz .LBB176_52
; %bb.51:
	v_lshlrev_b32_e32 v13, 3, v28
	ds_read2_b64 v[4:7], v13 offset1:1
	ds_read2_b64 v[8:11], v13 offset0:2 offset1:3
	ds_read2_b64 v[32:35], v13 offset0:4 offset1:5
	s_waitcnt lgkmcnt(2)
	v_add_f64 v[14:15], v[4:5], v[6:7]
	ds_read2_b64 v[4:7], v13 offset0:6 offset1:7
	s_waitcnt lgkmcnt(2)
	v_add_f64 v[8:9], v[14:15], v[8:9]
	v_add_f64 v[8:9], v[8:9], v[10:11]
	s_waitcnt lgkmcnt(1)
	v_add_f64 v[8:9], v[8:9], v[32:33]
	v_add_f64 v[8:9], v[8:9], v[34:35]
	;; [unrolled: 3-line block ×3, first 2 shown]
.LBB176_52:
	s_or_b64 exec, exec, s[10:11]
	s_lshl_b64 s[10:11], s[20:21], 3
	v_mov_b32_e32 v4, s11
	v_subrev_co_u32_e64 v24, s[10:11], s10, v2
	s_and_b64 vcc, exec, s[16:17]
	s_nop 0
	v_subb_co_u32_e64 v25, s[10:11], v3, v4, s[10:11]
	s_barrier
	s_cbranch_vccnz .LBB176_57
; %bb.53:
	flat_load_dwordx2 v[2:3], v[24:25]
	v_mad_u32_u24 v8, v12, 33, v0
	s_lshl_b64 s[10:11], s[26:27], 6
	v_lshlrev_b32_e32 v14, 3, v8
	v_lshl_add_u64 v[4:5], v[24:25], 0, s[10:11]
	s_mul_i32 s12, s27, 0xc0
	v_add_u32_e32 v9, 8, v12
	v_add_u32_e32 v10, 16, v12
	v_add_u32_e32 v6, 24, v12
	v_add_u32_e32 v13, 0x108, v8
	v_add_u32_e32 v7, 0x210, v8
	v_add_u32_e32 v11, 0x318, v8
	s_waitcnt vmcnt(0) lgkmcnt(0)
	ds_write_b64 v14, v[2:3]
	flat_load_dwordx2 v[2:3], v[4:5]
	v_lshl_add_u64 v[4:5], v[4:5], 0, s[10:11]
	s_waitcnt vmcnt(0) lgkmcnt(0)
	ds_write_b64 v14, v[2:3] offset:2112
	flat_load_dwordx2 v[2:3], v[4:5]
	v_mov_b32_e32 v4, 0xc0
	v_mad_u64_u32 v[4:5], s[10:11], s26, v4, v[24:25]
	v_add_u32_e32 v5, s12, v5
	s_waitcnt vmcnt(0) lgkmcnt(0)
	ds_write_b64 v14, v[2:3] offset:4224
	flat_load_dwordx2 v[2:3], v[4:5]
	s_waitcnt vmcnt(0) lgkmcnt(0)
	ds_write_b64 v14, v[2:3] offset:6336
	s_cbranch_execz .LBB176_58
	s_branch .LBB176_67
.LBB176_54:
	ds_read_b64 v[4:5], v11
	s_waitcnt lgkmcnt(0)
	ds_write_b64 v30, v[4:5]
	s_or_b64 exec, exec, s[40:41]
	s_and_saveexec_b64 s[8:9], s[10:11]
	s_cbranch_execz .LBB176_47
.LBB176_55:
	ds_read_b64 v[4:5], v13
	s_waitcnt lgkmcnt(0)
	ds_write_b64 v30, v[4:5] offset:8
	s_or_b64 exec, exec, s[8:9]
	s_and_saveexec_b64 s[8:9], s[12:13]
	s_cbranch_execz .LBB176_48
.LBB176_56:
	ds_read_b64 v[4:5], v13 offset:264
	s_waitcnt lgkmcnt(0)
	ds_write_b64 v30, v[4:5] offset:16
	s_or_b64 exec, exec, s[8:9]
	s_and_saveexec_b64 s[8:9], s[14:15]
	s_cbranch_execnz .LBB176_49
	s_branch .LBB176_50
.LBB176_57:
                                        ; implicit-def: $vgpr8
                                        ; implicit-def: $vgpr9
                                        ; implicit-def: $vgpr13
                                        ; implicit-def: $vgpr10
                                        ; implicit-def: $vgpr7
                                        ; implicit-def: $vgpr6
                                        ; implicit-def: $vgpr11
.LBB176_58:
	v_or_b32_e32 v4, 32, v0
	v_lshlrev_b32_e32 v2, 3, v4
	v_sub_co_u32_e32 v2, vcc, v24, v2
	s_ashr_i32 s31, s30, 31
	s_nop 0
	v_subbrev_co_u32_e32 v3, vcc, 0, v25, vcc
	v_lshl_add_u64 v[2:3], s[30:31], 3, v[2:3]
	v_lshl_add_u64 v[2:3], v[2:3], 0, -8
	v_cmp_gt_i32_e32 vcc, s30, v4
	v_mov_b64_e32 v[4:5], 0
	v_cmp_gt_i32_e64 s[10:11], s30, v12
	v_cndmask_b32_e32 v3, v3, v25, vcc
	v_cndmask_b32_e32 v2, v2, v24, vcc
	v_mov_b64_e32 v[6:7], v[4:5]
	s_and_saveexec_b64 s[12:13], s[10:11]
	s_cbranch_execz .LBB176_60
; %bb.59:
	flat_load_dwordx2 v[6:7], v[2:3]
.LBB176_60:
	s_or_b64 exec, exec, s[12:13]
	v_mad_u32_u24 v8, v12, 33, v0
	v_add_u32_e32 v9, 8, v12
	v_lshlrev_b32_e32 v14, 3, v8
	v_cmp_gt_i32_e64 s[10:11], s30, v9
	s_waitcnt vmcnt(0) lgkmcnt(0)
	ds_write_b64 v14, v[6:7]
	s_and_saveexec_b64 s[12:13], s[10:11]
	s_cbranch_execz .LBB176_62
; %bb.61:
	s_lshl_b64 s[10:11], s[26:27], 6
	v_lshl_add_u64 v[4:5], v[2:3], 0, s[10:11]
	flat_load_dwordx2 v[4:5], v[4:5]
.LBB176_62:
	s_or_b64 exec, exec, s[12:13]
	s_waitcnt vmcnt(0) lgkmcnt(0)
	ds_write_b64 v14, v[4:5] offset:2112
	v_add_u32_e32 v10, 16, v12
	v_mov_b64_e32 v[4:5], 0
	v_cmp_gt_i32_e64 s[10:11], s30, v10
	v_mov_b64_e32 v[6:7], v[4:5]
	s_and_saveexec_b64 s[12:13], s[10:11]
	s_cbranch_execz .LBB176_64
; %bb.63:
	s_lshl_b64 s[10:11], s[26:27], 7
	v_lshl_add_u64 v[6:7], v[2:3], 0, s[10:11]
	flat_load_dwordx2 v[6:7], v[6:7]
.LBB176_64:
	s_or_b64 exec, exec, s[12:13]
	s_waitcnt vmcnt(0) lgkmcnt(0)
	ds_write_b64 v14, v[6:7] offset:4224
	v_add_u32_e32 v6, 24, v12
	v_cmp_gt_i32_e64 s[10:11], s30, v6
	s_and_saveexec_b64 s[12:13], s[10:11]
	s_cbranch_execz .LBB176_66
; %bb.65:
	v_mov_b32_e32 v4, 0xc0
	v_mad_u64_u32 v[4:5], s[10:11], s26, v4, v[2:3]
	s_mul_i32 s10, s27, 0xc0
	s_nop 0
	v_add_u32_e32 v5, s10, v5
	flat_load_dwordx2 v[4:5], v[4:5]
.LBB176_66:
	s_or_b64 exec, exec, s[12:13]
	s_waitcnt vmcnt(0) lgkmcnt(0)
	ds_write_b64 v14, v[4:5] offset:6336
	v_lshlrev_b32_e32 v4, 3, v0
	v_mov_b32_e32 v5, 0
	v_lshl_add_u64 v[2:3], v[2:3], 0, v[4:5]
	s_lshl_b64 s[10:11], s[30:31], 3
	v_mov_b32_e32 v0, s11
	v_subrev_co_u32_e64 v2, s[10:11], s10, v2
	v_add_u32_e32 v13, 0x108, v8
	s_nop 0
	v_subb_co_u32_e64 v3, s[10:11], v3, v0, s[10:11]
	s_mov_b64 s[10:11], 0x108
	s_nop 0
	v_lshl_add_u64 v[2:3], v[2:3], 0, s[10:11]
	v_add_u32_e32 v7, 0x210, v8
	v_add_u32_e32 v11, 0x318, v8
	v_cndmask_b32_e32 v25, v3, v25, vcc
	v_cndmask_b32_e32 v24, v2, v24, vcc
.LBB176_67:
	v_lshlrev_b32_e32 v0, 3, v8
	s_waitcnt lgkmcnt(0)
	s_barrier
	v_lshlrev_b32_e32 v2, 3, v12
	v_lshlrev_b32_e32 v3, 3, v13
	;; [unrolled: 1-line block ×3, first 2 shown]
	ds_read_b64 v[32:33], v0
	ds_read_b64 v[34:35], v2 offset:9088
	ds_read_b64 v[36:37], v3
	ds_read_b64 v[38:39], v4 offset:9088
	v_lshlrev_b32_e32 v0, 3, v7
	v_lshlrev_b32_e32 v2, 3, v10
	;; [unrolled: 1-line block ×4, first 2 shown]
	ds_read_b64 v[40:41], v0
	ds_read_b64 v[42:43], v2 offset:9088
	ds_read_b64 v[44:45], v3
	ds_read_b64 v[46:47], v4 offset:9088
	ds_read_b128 v[8:11], v1 offset:256
	ds_read_b128 v[0:3], v1 offset:272
	ds_read2_b64 v[12:15], v30 offset1:1
	ds_read2_b64 v[4:7], v30 offset0:2 offset1:3
	s_waitcnt lgkmcnt(10)
	v_fma_f64 v[30:31], v[32:33], v[34:35], 0
	s_waitcnt lgkmcnt(8)
	v_fmac_f64_e32 v[30:31], v[36:37], v[38:39]
	s_waitcnt lgkmcnt(6)
	v_fmac_f64_e32 v[30:31], v[40:41], v[42:43]
	;; [unrolled: 2-line block ×3, first 2 shown]
	s_waitcnt lgkmcnt(0)
	s_barrier
	ds_write_b64 v29, v[30:31]
	s_waitcnt lgkmcnt(0)
	s_barrier
	s_and_saveexec_b64 s[10:11], s[8:9]
	s_cbranch_execz .LBB176_69
; %bb.68:
	v_lshlrev_b32_e32 v42, 3, v28
	ds_read2_b64 v[30:33], v42 offset1:1
	ds_read2_b64 v[34:37], v42 offset0:2 offset1:3
	ds_read2_b64 v[38:41], v42 offset0:4 offset1:5
	s_waitcnt lgkmcnt(2)
	v_add_f64 v[18:19], v[18:19], v[30:31]
	v_add_f64 v[18:19], v[18:19], v[32:33]
	ds_read2_b64 v[30:33], v42 offset0:6 offset1:7
	s_waitcnt lgkmcnt(2)
	v_add_f64 v[18:19], v[18:19], v[34:35]
	v_add_f64 v[18:19], v[18:19], v[36:37]
	s_waitcnt lgkmcnt(1)
	v_add_f64 v[18:19], v[18:19], v[38:39]
	v_add_f64 v[18:19], v[18:19], v[40:41]
	s_waitcnt lgkmcnt(0)
	v_add_f64 v[18:19], v[18:19], v[30:31]
	v_add_f64 v[18:19], v[18:19], v[32:33]
.LBB176_69:
	s_or_b64 exec, exec, s[10:11]
	v_fma_f64 v[8:9], v[12:13], v[8:9], 0
	v_fmac_f64_e32 v[8:9], v[14:15], v[10:11]
	v_fmac_f64_e32 v[8:9], v[4:5], v[0:1]
	;; [unrolled: 1-line block ×3, first 2 shown]
	s_barrier
	ds_write_b64 v29, v[8:9]
	s_waitcnt lgkmcnt(0)
	s_barrier
	s_and_saveexec_b64 s[8:9], s[6:7]
	s_cbranch_execz .LBB176_71
; %bb.70:
	v_lshlrev_b32_e32 v14, 3, v28
	ds_read2_b64 v[0:3], v14 offset1:1
	ds_read2_b64 v[4:7], v14 offset0:2 offset1:3
	ds_read2_b64 v[8:11], v14 offset0:4 offset1:5
	s_waitcnt lgkmcnt(2)
	v_add_f64 v[0:1], v[18:19], v[0:1]
	v_add_f64 v[12:13], v[0:1], v[2:3]
	ds_read2_b64 v[0:3], v14 offset0:6 offset1:7
	s_waitcnt lgkmcnt(2)
	v_add_f64 v[4:5], v[12:13], v[4:5]
	v_add_f64 v[4:5], v[4:5], v[6:7]
	s_waitcnt lgkmcnt(1)
	v_add_f64 v[4:5], v[4:5], v[8:9]
	v_add_f64 v[4:5], v[4:5], v[10:11]
	;; [unrolled: 3-line block ×3, first 2 shown]
.LBB176_71:
	s_or_b64 exec, exec, s[8:9]
	s_load_dwordx2 s[0:1], s[0:1], 0x68
	s_mul_hi_u32 s6, s3, s28
	s_mul_i32 s33, s33, s28
	s_add_i32 s6, s6, s33
	s_mul_i32 s8, s3, s28
	s_mul_i32 s6, s6, s29
	s_mul_hi_u32 s7, s8, s29
	s_add_i32 s7, s7, s6
	s_mul_i32 s6, s8, s29
	s_lshl_b64 s[6:7], s[6:7], 3
	s_waitcnt lgkmcnt(0)
	s_add_u32 s6, s0, s6
	s_mul_i32 s0, s2, s3
	s_addc_u32 s7, s1, s7
	s_ashr_i32 s1, s0, 31
	s_lshl_b64 s[0:1], s[0:1], 3
	s_add_u32 s6, s6, s0
	v_cmp_le_i32_e32 vcc, s30, v26
	s_addc_u32 s7, s7, s1
	s_and_b64 vcc, s[38:39], vcc
	s_cmp_lt_i32 s2, 1
	v_lshlrev_b32_e32 v0, 3, v26
	s_barrier
	s_cbranch_scc1 .LBB176_78
; %bb.72:
	s_mul_i32 s0, s34, s23
	s_mul_hi_u32 s1, s34, s22
	s_add_i32 s0, s1, s0
	s_mul_i32 s1, s35, s22
	s_add_i32 s1, s0, s1
	s_mul_i32 s0, s34, s22
	s_lshl_b64 s[0:1], s[0:1], 3
	v_mov_b32_e32 v1, s1
	v_subrev_co_u32_e64 v2, s[0:1], s0, v20
	v_mov_b32_e32 v4, s37
	s_nop 0
	v_subb_co_u32_e64 v3, s[0:1], v21, v1, s[0:1]
	v_subrev_co_u32_e64 v6, s[0:1], s36, v24
	v_lshlrev_b32_e32 v1, 2, v76
	s_nop 0
	v_subb_co_u32_e64 v7, s[0:1], v25, v4, s[0:1]
	v_lshlrev_b64 v[4:5], 3, v[22:23]
	v_sub_co_u32_e64 v4, s[0:1], v6, v4
	s_ashr_i32 s31, s30, 31
	s_nop 0
	v_subb_co_u32_e64 v5, s[0:1], v7, v5, s[0:1]
	v_mad_u64_u32 v[6:7], s[0:1], v1, s26, 0
	v_mov_b32_e32 v8, v7
	v_mad_u64_u32 v[8:9], s[0:1], v1, s27, v[8:9]
	v_mov_b32_e32 v7, v8
	s_movk_i32 s0, 0xff00
	v_lshl_add_u64 v[4:5], v[6:7], 3, v[4:5]
	s_mov_b32 s1, -1
	v_lshl_add_u64 v[6:7], v[4:5], 0, s[0:1]
	v_lshl_add_u64 v[4:5], s[30:31], 3, v[6:7]
	v_lshl_add_u64 v[8:9], v[4:5], 0, -8
	v_mov_b32_e32 v5, 0
	v_mov_b32_e32 v1, v5
	v_lshl_add_u64 v[6:7], v[6:7], 0, v[0:1]
	v_and_b32_e32 v4, 48, v26
	v_and_b32_e32 v10, 15, v26
	v_cndmask_b32_e32 v6, v6, v8, vcc
	v_lshlrev_b32_e32 v8, 3, v4
	s_movk_i32 s3, 0x218
	v_lshrrev_b32_e32 v11, 4, v27
	v_mad_u32_u24 v78, v10, s3, v8
	v_or_b32_e32 v8, 0x78, v0
	v_mad_u32_u24 v79, v10, s3, v8
	v_lshlrev_b32_e32 v8, 5, v11
	v_mad_u32_u24 v80, v10, s3, v8
	v_mov_b32_e32 v8, 0x2180
	v_lshl_add_u32 v81, v76, 5, v8
	v_lshlrev_b32_e32 v8, 3, v11
	v_mad_u32_u24 v83, v10, s3, v8
	s_mul_i32 s3, s27, 24
	s_mul_hi_u32 s14, s26, 24
	s_add_i32 s15, s14, s3
	s_mul_i32 s3, s27, 0x90
	s_mul_hi_u32 s20, s26, 0x90
	s_add_i32 s21, s20, s3
	;; [unrolled: 3-line block ×8, first 2 shown]
	s_mul_i32 s3, s27, 0x188
	s_mul_hi_u32 s33, s26, 0x188
	s_movk_i32 s8, 0x860
	s_add_i32 s43, s33, s3
	s_mul_i32 s3, s27, 0x108
	s_mul_hi_u32 s33, s26, 0x108
	v_mad_u32_u24 v82, v76, s8, v0
	s_lshl_b64 s[8:9], s[26:27], 3
	s_lshl_b64 s[10:11], s[26:27], 4
	;; [unrolled: 1-line block ×4, first 2 shown]
	s_add_i32 s45, s33, s3
	s_mul_i32 s3, s27, 0x88
	s_mul_hi_u32 s27, s26, 0x88
	v_cndmask_b32_e32 v7, v7, v9, vcc
	v_add_u32_e32 v1, 0x2180, v0
	v_add_u32_e32 v77, 0x2380, v0
	v_cmp_gt_u32_e64 s[0:1], 64, v27
	s_mul_i32 s14, s26, 24
	s_mul_i32 s20, s26, 0x90
	;; [unrolled: 1-line block ×10, first 2 shown]
	s_add_i32 s27, s27, s3
	s_mulk_i32 s26, 0x88
	v_or_b32_e32 v84, v4, v10
	s_mov_b32 s3, 0
	s_branch .LBB176_74
.LBB176_73:                             ;   in Loop: Header=BB176_74 Depth=1
	s_or_b64 exec, exec, s[46:47]
	v_fmac_f64_e32 v[18:19], v[8:9], v[20:21]
	v_fmac_f64_e32 v[18:19], v[12:13], v[22:23]
	v_fmac_f64_e32 v[18:19], v[10:11], v[24:25]
	v_fmac_f64_e32 v[18:19], v[14:15], v[26:27]
	v_fmac_f64_e32 v[18:19], v[34:35], v[36:37]
	v_fmac_f64_e32 v[18:19], v[32:33], v[38:39]
	v_fmac_f64_e32 v[18:19], v[30:31], v[40:41]
	v_fmac_f64_e32 v[18:19], v[28:29], v[42:43]
	v_fmac_f64_e32 v[18:19], v[50:51], v[52:53]
	v_fmac_f64_e32 v[18:19], v[48:49], v[54:55]
	v_fmac_f64_e32 v[18:19], v[46:47], v[56:57]
	v_fmac_f64_e32 v[18:19], v[44:45], v[58:59]
	v_fmac_f64_e32 v[18:19], v[66:67], v[68:69]
	v_fmac_f64_e32 v[18:19], v[64:65], v[70:71]
	v_fmac_f64_e32 v[18:19], v[62:63], v[72:73]
	s_add_i32 s3, s3, 64
	s_add_i32 s2, s2, -1
	v_fmac_f64_e32 v[18:19], v[60:61], v[74:75]
	s_cmp_eq_u32 s2, 0
	v_lshl_add_u64 v[6:7], v[6:7], 0, s[12:13]
	s_barrier
	s_cbranch_scc1 .LBB176_78
.LBB176_74:                             ; =>This Inner Loop Header: Depth=1
	s_and_saveexec_b64 s[46:47], s[18:19]
	s_cbranch_execz .LBB176_76
; %bb.75:                               ;   in Loop: Header=BB176_74 Depth=1
	s_mul_i32 s33, s3, s23
	s_mul_hi_u32 s48, s3, s22
	s_add_i32 s49, s48, s33
	s_mul_i32 s48, s3, s22
	v_lshl_add_u64 v[8:9], s[48:49], 3, v[2:3]
	flat_load_dwordx2 v[8:9], v[8:9]
	s_waitcnt vmcnt(0) lgkmcnt(0)
	ds_write_b64 v1, v[8:9]
.LBB176_76:                             ;   in Loop: Header=BB176_74 Depth=1
	s_or_b64 exec, exec, s[46:47]
	s_waitcnt lgkmcnt(0)
	s_barrier
	flat_load_dwordx2 v[8:9], v[6:7]
	v_lshl_add_u64 v[14:15], v[6:7], 0, s[8:9]
	v_lshl_add_u64 v[20:21], v[6:7], 0, s[10:11]
	flat_load_dwordx2 v[12:13], v[14:15]
	flat_load_dwordx2 v[10:11], v[20:21]
	v_lshl_add_u64 v[14:15], v[6:7], 0, s[14:15]
	flat_load_dwordx2 v[14:15], v[14:15]
	ds_read_b64 v[22:23], v77
	ds_read_b64 v[20:21], v81
	v_lshl_add_u64 v[36:37], v[6:7], 0, s[16:17]
	v_lshl_add_u64 v[38:39], v[6:7], 0, s[26:27]
	;; [unrolled: 1-line block ×12, first 2 shown]
	s_waitcnt vmcnt(0) lgkmcnt(0)
	v_mul_f64 v[24:25], v[8:9], v[22:23]
	ds_write_b64 v82, v[24:25]
	v_mul_f64 v[24:25], v[12:13], v[22:23]
	v_mul_f64 v[26:27], v[10:11], v[22:23]
	v_mul_f64 v[28:29], v[14:15], v[22:23]
	ds_read_b64 v[22:23], v81 offset:8
	ds_write_b64 v82, v[24:25] offset:536
	ds_read_b64 v[24:25], v81 offset:16
	ds_write_b64 v82, v[26:27] offset:1072
	;; [unrolled: 2-line block ×3, first 2 shown]
	s_waitcnt lgkmcnt(0)
	s_barrier
	ds_read2_b64 v[68:71], v80 offset1:1
	ds_read2_b64 v[72:75], v80 offset0:2 offset1:3
	s_waitcnt lgkmcnt(0)
	s_barrier
	flat_load_dwordx2 v[34:35], v[36:37]
	flat_load_dwordx2 v[32:33], v[38:39]
	flat_load_dwordx2 v[30:31], v[40:41]
	flat_load_dwordx2 v[28:29], v[42:43]
	ds_read_b64 v[38:39], v77
	ds_read_b64 v[36:37], v81 offset:128
	v_add_f64 v[68:69], v[68:69], 0
	v_add_f64 v[68:69], v[68:69], v[70:71]
	v_add_f64 v[68:69], v[68:69], v[72:73]
	s_waitcnt vmcnt(0) lgkmcnt(0)
	v_mul_f64 v[40:41], v[34:35], v[38:39]
	v_mul_f64 v[42:43], v[32:33], v[38:39]
	ds_write_b64 v82, v[40:41]
	v_mul_f64 v[44:45], v[30:31], v[38:39]
	v_mul_f64 v[46:47], v[28:29], v[38:39]
	ds_read_b64 v[38:39], v81 offset:136
	ds_write_b64 v82, v[42:43] offset:536
	ds_read_b64 v[40:41], v81 offset:144
	ds_write_b64 v82, v[44:45] offset:1072
	;; [unrolled: 2-line block ×3, first 2 shown]
	s_waitcnt lgkmcnt(0)
	s_barrier
	ds_read2_b64 v[86:89], v80 offset1:1
	ds_read2_b64 v[90:93], v80 offset0:2 offset1:3
	s_waitcnt lgkmcnt(0)
	s_barrier
	flat_load_dwordx2 v[50:51], v[52:53]
	flat_load_dwordx2 v[48:49], v[54:55]
	;; [unrolled: 1-line block ×4, first 2 shown]
	ds_read_b64 v[54:55], v77
	ds_read_b64 v[52:53], v81 offset:256
	s_waitcnt vmcnt(0) lgkmcnt(0)
	v_mul_f64 v[56:57], v[50:51], v[54:55]
	v_mul_f64 v[58:59], v[48:49], v[54:55]
	ds_write_b64 v82, v[56:57]
	v_mul_f64 v[60:61], v[46:47], v[54:55]
	v_mul_f64 v[62:63], v[44:45], v[54:55]
	ds_read_b64 v[54:55], v81 offset:264
	ds_write_b64 v82, v[58:59] offset:536
	ds_read_b64 v[56:57], v81 offset:272
	ds_write_b64 v82, v[60:61] offset:1072
	;; [unrolled: 2-line block ×3, first 2 shown]
	s_waitcnt lgkmcnt(0)
	s_barrier
	ds_read2_b64 v[94:97], v80 offset1:1
	ds_read2_b64 v[98:101], v80 offset0:2 offset1:3
	s_waitcnt lgkmcnt(0)
	s_barrier
	flat_load_dwordx2 v[66:67], v[102:103]
	flat_load_dwordx2 v[64:65], v[104:105]
	;; [unrolled: 1-line block ×4, first 2 shown]
	v_add_f64 v[102:103], v[68:69], v[74:75]
	v_add_f64 v[68:69], v[86:87], 0
	;; [unrolled: 1-line block ×5, first 2 shown]
	ds_read_b64 v[70:71], v77
	ds_read_b64 v[68:69], v81 offset:384
	v_add_f64 v[72:73], v[94:95], 0
	v_add_f64 v[72:73], v[72:73], v[96:97]
	;; [unrolled: 1-line block ×4, first 2 shown]
	s_waitcnt vmcnt(0) lgkmcnt(0)
	v_mul_f64 v[72:73], v[66:67], v[70:71]
	v_mul_f64 v[74:75], v[64:65], v[70:71]
	ds_write_b64 v82, v[72:73]
	v_mul_f64 v[86:87], v[62:63], v[70:71]
	v_mul_f64 v[88:89], v[60:61], v[70:71]
	ds_read_b64 v[70:71], v81 offset:392
	ds_write_b64 v82, v[74:75] offset:536
	ds_read_b64 v[72:73], v81 offset:400
	ds_write_b64 v82, v[86:87] offset:1072
	;; [unrolled: 2-line block ×3, first 2 shown]
	s_waitcnt lgkmcnt(0)
	s_barrier
	ds_read2_b64 v[86:89], v80 offset1:1
	ds_read2_b64 v[90:93], v80 offset0:2 offset1:3
	s_waitcnt lgkmcnt(0)
	s_barrier
	v_add_f64 v[86:87], v[86:87], 0
	v_add_f64 v[86:87], v[86:87], v[88:89]
	;; [unrolled: 1-line block ×4, first 2 shown]
	ds_write2_b64 v83, v[102:103], v[104:105] offset1:16
	ds_write2_b64 v83, v[94:95], v[86:87] offset0:32 offset1:48
	s_waitcnt lgkmcnt(0)
	s_barrier
	s_and_saveexec_b64 s[46:47], s[0:1]
	s_cbranch_execz .LBB176_73
; %bb.77:                               ;   in Loop: Header=BB176_74 Depth=1
	ds_read2_b64 v[86:89], v78 offset1:1
	ds_read2_b64 v[90:93], v78 offset0:2 offset1:3
	ds_read2_b64 v[94:97], v78 offset0:4 offset1:5
	;; [unrolled: 1-line block ×3, first 2 shown]
	v_add_u32_e32 v4, s3, v84
	s_waitcnt lgkmcnt(3)
	v_add_f64 v[86:87], v[86:87], v[88:89]
	s_waitcnt lgkmcnt(2)
	v_add_f64 v[86:87], v[86:87], v[90:91]
	v_add_f64 v[86:87], v[86:87], v[92:93]
	s_waitcnt lgkmcnt(1)
	v_add_f64 v[90:91], v[86:87], v[94:95]
	ds_read2_b64 v[86:89], v78 offset0:8 offset1:9
	v_add_f64 v[90:91], v[90:91], v[96:97]
	s_waitcnt lgkmcnt(1)
	v_add_f64 v[94:95], v[90:91], v[98:99]
	ds_read2_b64 v[90:93], v78 offset0:10 offset1:11
	v_add_f64 v[94:95], v[94:95], v[100:101]
	s_waitcnt lgkmcnt(1)
	v_add_f64 v[86:87], v[94:95], v[86:87]
	v_add_f64 v[94:95], v[86:87], v[88:89]
	ds_read2_b64 v[86:89], v78 offset0:12 offset1:13
	s_waitcnt lgkmcnt(1)
	v_add_f64 v[90:91], v[94:95], v[90:91]
	ds_read_b64 v[94:95], v78 offset:112
	ds_read_b64 v[96:97], v79
	v_add_f64 v[90:91], v[90:91], v[92:93]
	s_waitcnt lgkmcnt(2)
	v_add_f64 v[86:87], v[90:91], v[86:87]
	v_add_f64 v[86:87], v[86:87], v[88:89]
	s_waitcnt lgkmcnt(1)
	v_add_f64 v[86:87], v[86:87], v[94:95]
	s_waitcnt lgkmcnt(0)
	v_add_f64 v[86:87], v[86:87], v[96:97]
	v_lshl_add_u64 v[88:89], v[4:5], 3, s[6:7]
	global_store_dwordx2 v[88:89], v[86:87], off
	s_branch .LBB176_73
.LBB176_78:
	s_movk_i32 s0, 0x218
	v_mad_u32_u24 v1, v76, s0, v0
	s_or_b64 s[0:1], s[4:5], vcc
	s_xor_b64 s[0:1], s[0:1], -1
	ds_write_b64 v1, v[18:19]
	s_waitcnt lgkmcnt(0)
	s_barrier
	s_and_saveexec_b64 s[2:3], s[0:1]
	s_cbranch_execz .LBB176_80
; %bb.79:
	ds_read2_b64 v[2:5], v0 offset1:67
	ds_read2_b64 v[6:9], v0 offset0:134 offset1:201
	s_waitcnt lgkmcnt(1)
	v_add_f64 v[0:1], v[2:3], v[4:5]
	s_waitcnt lgkmcnt(0)
	v_add_f64 v[0:1], v[0:1], v[6:7]
	v_add_f64 v[0:1], v[0:1], v[8:9]
	v_lshl_add_u64 v[2:3], v[16:17], 3, s[6:7]
	global_store_dwordx2 v[2:3], v[0:1], off
.LBB176_80:
	s_endpgm
	.section	.rodata,"a",@progbits
	.p2align	6, 0x0
	.amdhsa_kernel _ZL26rocblas_hemvn_kernel_lowerILb0ELi64ELi4ELi33ELi32ELi16EldPKPKdPdEviT6_lT7_lT5_lS6_lS7_lS5_lT8_i
		.amdhsa_group_segment_fixed_size 9600
		.amdhsa_private_segment_fixed_size 0
		.amdhsa_kernarg_size 376
		.amdhsa_user_sgpr_count 2
		.amdhsa_user_sgpr_dispatch_ptr 0
		.amdhsa_user_sgpr_queue_ptr 0
		.amdhsa_user_sgpr_kernarg_segment_ptr 1
		.amdhsa_user_sgpr_dispatch_id 0
		.amdhsa_user_sgpr_kernarg_preload_length 0
		.amdhsa_user_sgpr_kernarg_preload_offset 0
		.amdhsa_user_sgpr_private_segment_size 0
		.amdhsa_uses_dynamic_stack 0
		.amdhsa_enable_private_segment 0
		.amdhsa_system_sgpr_workgroup_id_x 1
		.amdhsa_system_sgpr_workgroup_id_y 0
		.amdhsa_system_sgpr_workgroup_id_z 1
		.amdhsa_system_sgpr_workgroup_info 0
		.amdhsa_system_vgpr_workitem_id 1
		.amdhsa_next_free_vgpr 110
		.amdhsa_next_free_sgpr 50
		.amdhsa_accum_offset 112
		.amdhsa_reserve_vcc 1
		.amdhsa_float_round_mode_32 0
		.amdhsa_float_round_mode_16_64 0
		.amdhsa_float_denorm_mode_32 3
		.amdhsa_float_denorm_mode_16_64 3
		.amdhsa_dx10_clamp 1
		.amdhsa_ieee_mode 1
		.amdhsa_fp16_overflow 0
		.amdhsa_tg_split 0
		.amdhsa_exception_fp_ieee_invalid_op 0
		.amdhsa_exception_fp_denorm_src 0
		.amdhsa_exception_fp_ieee_div_zero 0
		.amdhsa_exception_fp_ieee_overflow 0
		.amdhsa_exception_fp_ieee_underflow 0
		.amdhsa_exception_fp_ieee_inexact 0
		.amdhsa_exception_int_div_zero 0
	.end_amdhsa_kernel
	.section	.text._ZL26rocblas_hemvn_kernel_lowerILb0ELi64ELi4ELi33ELi32ELi16EldPKPKdPdEviT6_lT7_lT5_lS6_lS7_lS5_lT8_i,"axG",@progbits,_ZL26rocblas_hemvn_kernel_lowerILb0ELi64ELi4ELi33ELi32ELi16EldPKPKdPdEviT6_lT7_lT5_lS6_lS7_lS5_lT8_i,comdat
.Lfunc_end176:
	.size	_ZL26rocblas_hemvn_kernel_lowerILb0ELi64ELi4ELi33ELi32ELi16EldPKPKdPdEviT6_lT7_lT5_lS6_lS7_lS5_lT8_i, .Lfunc_end176-_ZL26rocblas_hemvn_kernel_lowerILb0ELi64ELi4ELi33ELi32ELi16EldPKPKdPdEviT6_lT7_lT5_lS6_lS7_lS5_lT8_i
                                        ; -- End function
	.section	.AMDGPU.csdata,"",@progbits
; Kernel info:
; codeLenInByte = 6008
; NumSgprs: 56
; NumVgprs: 110
; NumAgprs: 0
; TotalNumVgprs: 110
; ScratchSize: 0
; MemoryBound: 0
; FloatMode: 240
; IeeeMode: 1
; LDSByteSize: 9600 bytes/workgroup (compile time only)
; SGPRBlocks: 6
; VGPRBlocks: 13
; NumSGPRsForWavesPerEU: 56
; NumVGPRsForWavesPerEU: 110
; AccumOffset: 112
; Occupancy: 4
; WaveLimiterHint : 1
; COMPUTE_PGM_RSRC2:SCRATCH_EN: 0
; COMPUTE_PGM_RSRC2:USER_SGPR: 2
; COMPUTE_PGM_RSRC2:TRAP_HANDLER: 0
; COMPUTE_PGM_RSRC2:TGID_X_EN: 1
; COMPUTE_PGM_RSRC2:TGID_Y_EN: 0
; COMPUTE_PGM_RSRC2:TGID_Z_EN: 1
; COMPUTE_PGM_RSRC2:TIDIG_COMP_CNT: 1
; COMPUTE_PGM_RSRC3_GFX90A:ACCUM_OFFSET: 27
; COMPUTE_PGM_RSRC3_GFX90A:TG_SPLIT: 0
	.section	.text._ZL36rocblas_hemvn_kernel_lower_block_sumILi64EldPKPddEviT1_lS3_lT2_lT0_lPT3_i,"axG",@progbits,_ZL36rocblas_hemvn_kernel_lower_block_sumILi64EldPKPddEviT1_lS3_lT2_lT0_lPT3_i,comdat
	.globl	_ZL36rocblas_hemvn_kernel_lower_block_sumILi64EldPKPddEviT1_lS3_lT2_lT0_lPT3_i ; -- Begin function _ZL36rocblas_hemvn_kernel_lower_block_sumILi64EldPKPddEviT1_lS3_lT2_lT0_lPT3_i
	.p2align	8
	.type	_ZL36rocblas_hemvn_kernel_lower_block_sumILi64EldPKPddEviT1_lS3_lT2_lT0_lPT3_i,@function
_ZL36rocblas_hemvn_kernel_lower_block_sumILi64EldPKPddEviT1_lS3_lT2_lT0_lPT3_i: ; @_ZL36rocblas_hemvn_kernel_lower_block_sumILi64EldPKPddEviT1_lS3_lT2_lT0_lPT3_i
; %bb.0:
	s_load_dwordx2 s[10:11], s[0:1], 0x8
	s_load_dwordx2 s[12:13], s[0:1], 0x18
	s_waitcnt lgkmcnt(0)
	v_cmp_eq_f64_e64 s[4:5], s[10:11], 0
	v_cmp_eq_f64_e64 s[6:7], s[12:13], 1.0
	s_and_b64 s[4:5], s[4:5], s[6:7]
	s_and_b64 vcc, exec, s[4:5]
	s_cbranch_vccnz .LBB177_19
; %bb.1:
	s_load_dwordx2 s[8:9], s[0:1], 0x28
	s_load_dword s18, s[0:1], 0x0
	s_load_dwordx4 s[4:7], s[0:1], 0x30
	s_mov_b32 s16, s3
	s_mov_b32 s17, 0
	s_lshl_b64 s[14:15], s[16:17], 3
	s_waitcnt lgkmcnt(0)
	s_add_u32 s8, s8, s14
	s_addc_u32 s9, s9, s15
	s_load_dwordx2 s[8:9], s[8:9], 0x0
	s_lshl_b64 s[4:5], s[4:5], 3
	v_lshl_or_b32 v6, s2, 6, v0
	v_cmp_neq_f64_e64 s[20:21], s[10:11], 0
	s_mov_b64 s[14:15], 0
	s_waitcnt lgkmcnt(0)
	s_add_u32 s8, s8, s4
	s_addc_u32 s9, s9, s5
	s_and_b64 vcc, exec, s[20:21]
	v_cmp_gt_i32_e64 s[4:5], s18, v6
	s_cbranch_vccnz .LBB177_6
; %bb.2:
	s_mov_b64 s[20:21], 0
                                        ; implicit-def: $vgpr0_vgpr1
                                        ; implicit-def: $vgpr2_vgpr3
	s_and_saveexec_b64 s[22:23], s[4:5]
	s_cbranch_execz .LBB177_7
; %bb.3:
	v_ashrrev_i32_e32 v2, 31, v6
	v_cmp_eq_f64_e64 s[4:5], s[12:13], 0
	v_mul_lo_u32 v4, v6, s7
	v_mul_lo_u32 v5, v2, s6
	v_mad_u64_u32 v[2:3], s[14:15], v6, s6, 0
	v_mov_b64_e32 v[0:1], 0
	v_add3_u32 v3, v3, v4, v5
	s_and_b64 vcc, exec, s[4:5]
	s_cbranch_vccnz .LBB177_5
; %bb.4:
	v_lshl_add_u64 v[0:1], v[2:3], 3, s[8:9]
	global_load_dwordx2 v[0:1], v[0:1], off
	s_waitcnt vmcnt(0)
	v_mul_f64 v[0:1], v[0:1], s[12:13]
.LBB177_5:
	s_mov_b64 s[14:15], exec
	s_or_b64 exec, exec, s[22:23]
	s_and_b64 vcc, exec, s[20:21]
	s_cbranch_vccnz .LBB177_8
	s_branch .LBB177_17
.LBB177_6:
                                        ; implicit-def: $vgpr0_vgpr1
                                        ; implicit-def: $vgpr2_vgpr3
	s_cbranch_execnz .LBB177_8
	s_branch .LBB177_17
.LBB177_7:
	s_or_b64 exec, exec, s[22:23]
	s_and_b64 vcc, exec, s[20:21]
	s_cbranch_vccz .LBB177_17
.LBB177_8:
	v_cmp_gt_i32_e32 vcc, s18, v6
                                        ; implicit-def: $vgpr0_vgpr1
                                        ; implicit-def: $vgpr2_vgpr3
	s_and_saveexec_b64 s[4:5], vcc
	s_cbranch_execz .LBB177_16
; %bb.9:
	s_load_dword s3, s[0:1], 0x58
	v_mov_b64_e32 v[4:5], 0
	s_waitcnt lgkmcnt(0)
	s_cmp_ge_i32 s2, s3
	s_cbranch_scc1 .LBB177_12
; %bb.10:
	s_ashr_i32 s19, s18, 31
	s_mul_i32 s17, s2, s18
	s_load_dwordx2 s[0:1], s[0:1], 0x48
	v_add_u32_e32 v0, s17, v6
	s_mul_hi_u32 s17, s18, s16
	s_mul_i32 s20, s19, s16
	s_add_i32 s17, s17, s20
	s_mul_i32 s16, s18, s16
	s_mul_i32 s17, s17, s3
	s_mul_hi_u32 s20, s16, s3
	s_add_i32 s17, s20, s17
	s_mul_i32 s16, s16, s3
	s_lshl_b64 s[16:17], s[16:17], 3
	s_waitcnt lgkmcnt(0)
	s_add_u32 s0, s0, s16
	v_ashrrev_i32_e32 v1, 31, v0
	s_addc_u32 s1, s1, s17
	v_lshl_add_u64 v[0:1], v[0:1], 3, s[0:1]
	s_lshl_b64 s[0:1], s[18:19], 3
	v_mov_b64_e32 v[4:5], 0
.LBB177_11:                             ; =>This Inner Loop Header: Depth=1
	global_load_dwordx2 v[2:3], v[0:1], off
	s_add_i32 s2, s2, 1
	v_lshl_add_u64 v[0:1], v[0:1], 0, s[0:1]
	s_cmp_ge_i32 s2, s3
	s_waitcnt vmcnt(0)
	v_add_f64 v[4:5], v[4:5], v[2:3]
	s_cbranch_scc0 .LBB177_11
.LBB177_12:
	v_cmp_eq_f64_e64 s[2:3], s[12:13], 0
	v_ashrrev_i32_e32 v0, 31, v6
	s_mov_b64 s[0:1], 0
	s_and_b64 vcc, exec, s[2:3]
	v_mul_lo_u32 v7, v6, s7
	v_mul_lo_u32 v8, v0, s6
	s_cbranch_vccz .LBB177_20
; %bb.13:
	v_mad_u64_u32 v[2:3], s[2:3], v6, s6, 0
	v_mul_f64 v[0:1], v[4:5], s[10:11]
	v_add3_u32 v3, v3, v7, v8
	s_andn2_b64 vcc, exec, s[0:1]
	s_cbranch_vccnz .LBB177_15
.LBB177_14:
	v_mad_u64_u32 v[2:3], s[0:1], v6, s6, 0
	v_add3_u32 v3, v3, v7, v8
	v_lshl_add_u64 v[0:1], v[2:3], 3, s[8:9]
	global_load_dwordx2 v[0:1], v[0:1], off
	s_waitcnt vmcnt(0)
	v_mul_f64 v[0:1], v[0:1], s[12:13]
	v_fmac_f64_e32 v[0:1], s[10:11], v[4:5]
.LBB177_15:
	s_or_b64 s[14:15], s[14:15], exec
.LBB177_16:
	s_or_b64 exec, exec, s[4:5]
.LBB177_17:
	s_and_saveexec_b64 s[0:1], s[14:15]
	s_cbranch_execz .LBB177_19
; %bb.18:
	v_lshl_add_u64 v[2:3], v[2:3], 3, s[8:9]
	global_store_dwordx2 v[2:3], v[0:1], off
.LBB177_19:
	s_endpgm
.LBB177_20:
                                        ; implicit-def: $vgpr0_vgpr1
                                        ; implicit-def: $vgpr2_vgpr3
	s_branch .LBB177_14
	.section	.rodata,"a",@progbits
	.p2align	6, 0x0
	.amdhsa_kernel _ZL36rocblas_hemvn_kernel_lower_block_sumILi64EldPKPddEviT1_lS3_lT2_lT0_lPT3_i
		.amdhsa_group_segment_fixed_size 0
		.amdhsa_private_segment_fixed_size 0
		.amdhsa_kernarg_size 344
		.amdhsa_user_sgpr_count 2
		.amdhsa_user_sgpr_dispatch_ptr 0
		.amdhsa_user_sgpr_queue_ptr 0
		.amdhsa_user_sgpr_kernarg_segment_ptr 1
		.amdhsa_user_sgpr_dispatch_id 0
		.amdhsa_user_sgpr_kernarg_preload_length 0
		.amdhsa_user_sgpr_kernarg_preload_offset 0
		.amdhsa_user_sgpr_private_segment_size 0
		.amdhsa_uses_dynamic_stack 0
		.amdhsa_enable_private_segment 0
		.amdhsa_system_sgpr_workgroup_id_x 1
		.amdhsa_system_sgpr_workgroup_id_y 0
		.amdhsa_system_sgpr_workgroup_id_z 1
		.amdhsa_system_sgpr_workgroup_info 0
		.amdhsa_system_vgpr_workitem_id 0
		.amdhsa_next_free_vgpr 9
		.amdhsa_next_free_sgpr 24
		.amdhsa_accum_offset 12
		.amdhsa_reserve_vcc 1
		.amdhsa_float_round_mode_32 0
		.amdhsa_float_round_mode_16_64 0
		.amdhsa_float_denorm_mode_32 3
		.amdhsa_float_denorm_mode_16_64 3
		.amdhsa_dx10_clamp 1
		.amdhsa_ieee_mode 1
		.amdhsa_fp16_overflow 0
		.amdhsa_tg_split 0
		.amdhsa_exception_fp_ieee_invalid_op 0
		.amdhsa_exception_fp_denorm_src 0
		.amdhsa_exception_fp_ieee_div_zero 0
		.amdhsa_exception_fp_ieee_overflow 0
		.amdhsa_exception_fp_ieee_underflow 0
		.amdhsa_exception_fp_ieee_inexact 0
		.amdhsa_exception_int_div_zero 0
	.end_amdhsa_kernel
	.section	.text._ZL36rocblas_hemvn_kernel_lower_block_sumILi64EldPKPddEviT1_lS3_lT2_lT0_lPT3_i,"axG",@progbits,_ZL36rocblas_hemvn_kernel_lower_block_sumILi64EldPKPddEviT1_lS3_lT2_lT0_lPT3_i,comdat
.Lfunc_end177:
	.size	_ZL36rocblas_hemvn_kernel_lower_block_sumILi64EldPKPddEviT1_lS3_lT2_lT0_lPT3_i, .Lfunc_end177-_ZL36rocblas_hemvn_kernel_lower_block_sumILi64EldPKPddEviT1_lS3_lT2_lT0_lPT3_i
                                        ; -- End function
	.section	.AMDGPU.csdata,"",@progbits
; Kernel info:
; codeLenInByte = 616
; NumSgprs: 30
; NumVgprs: 9
; NumAgprs: 0
; TotalNumVgprs: 9
; ScratchSize: 0
; MemoryBound: 0
; FloatMode: 240
; IeeeMode: 1
; LDSByteSize: 0 bytes/workgroup (compile time only)
; SGPRBlocks: 3
; VGPRBlocks: 1
; NumSGPRsForWavesPerEU: 30
; NumVGPRsForWavesPerEU: 9
; AccumOffset: 12
; Occupancy: 8
; WaveLimiterHint : 1
; COMPUTE_PGM_RSRC2:SCRATCH_EN: 0
; COMPUTE_PGM_RSRC2:USER_SGPR: 2
; COMPUTE_PGM_RSRC2:TRAP_HANDLER: 0
; COMPUTE_PGM_RSRC2:TGID_X_EN: 1
; COMPUTE_PGM_RSRC2:TGID_Y_EN: 0
; COMPUTE_PGM_RSRC2:TGID_Z_EN: 1
; COMPUTE_PGM_RSRC2:TIDIG_COMP_CNT: 0
; COMPUTE_PGM_RSRC3_GFX90A:ACCUM_OFFSET: 2
; COMPUTE_PGM_RSRC3_GFX90A:TG_SPLIT: 0
	.section	.text._ZL26rocblas_hemvn_kernel_lowerILb0ELi64ELi4ELi33ELi32ELi16EidPKPKdPdEviT6_lT7_lT5_lS6_lS7_lS5_lT8_i,"axG",@progbits,_ZL26rocblas_hemvn_kernel_lowerILb0ELi64ELi4ELi33ELi32ELi16EidPKPKdPdEviT6_lT7_lT5_lS6_lS7_lS5_lT8_i,comdat
	.globl	_ZL26rocblas_hemvn_kernel_lowerILb0ELi64ELi4ELi33ELi32ELi16EidPKPKdPdEviT6_lT7_lT5_lS6_lS7_lS5_lT8_i ; -- Begin function _ZL26rocblas_hemvn_kernel_lowerILb0ELi64ELi4ELi33ELi32ELi16EidPKPKdPdEviT6_lT7_lT5_lS6_lS7_lS5_lT8_i
	.p2align	8
	.type	_ZL26rocblas_hemvn_kernel_lowerILb0ELi64ELi4ELi33ELi32ELi16EidPKPKdPdEviT6_lT7_lT5_lS6_lS7_lS5_lT8_i,@function
_ZL26rocblas_hemvn_kernel_lowerILb0ELi64ELi4ELi33ELi32ELi16EidPKPKdPdEviT6_lT7_lT5_lS6_lS7_lS5_lT8_i: ; @_ZL26rocblas_hemvn_kernel_lowerILb0ELi64ELi4ELi33ELi32ELi16EidPKPKdPdEviT6_lT7_lT5_lS6_lS7_lS5_lT8_i
; %bb.0:
	s_load_dwordx2 s[4:5], s[0:1], 0x84
	s_add_u32 s8, s0, 0x78
	s_mov_b32 s22, s3
	s_addc_u32 s9, s1, 0
	s_waitcnt lgkmcnt(0)
	s_and_b32 s3, s5, 0xffff
	s_lshr_b32 s5, s4, 16
	s_and_b32 s4, s4, 0xffff
	s_mul_i32 s4, s5, s4
	s_mul_i32 s4, s4, s3
	s_cmpk_lg_i32 s4, 0x100
	s_cbranch_scc1 .LBB178_80
; %bb.1:
	s_load_dwordx2 s[4:5], s[0:1], 0x8
	s_load_dwordx2 s[10:11], s[0:1], 0x58
	s_waitcnt lgkmcnt(0)
	v_cmp_eq_f64_e64 s[6:7], s[4:5], 0
	v_cmp_eq_f64_e64 s[10:11], s[10:11], 1.0
	s_and_b64 s[10:11], s[6:7], s[10:11]
	s_and_b64 vcc, exec, s[10:11]
	s_cbranch_vccnz .LBB178_80
; %bb.2:
	s_mov_b64 s[10:11], 0
	v_cmp_neq_f64_e64 s[12:13], s[4:5], 0
	s_and_b64 vcc, exec, s[6:7]
	s_mov_b64 s[6:7], 0
	s_cbranch_vccnz .LBB178_4
; %bb.3:
	s_load_dwordx4 s[4:7], s[0:1], 0x18
	s_mov_b32 s23, 0
	s_lshl_b64 s[14:15], s[22:23], 3
	s_waitcnt lgkmcnt(0)
	s_add_u32 s4, s4, s14
	s_addc_u32 s5, s5, s15
	s_load_dwordx2 s[4:5], s[4:5], 0x0
	s_lshl_b64 s[6:7], s[6:7], 3
	s_waitcnt lgkmcnt(0)
	s_add_u32 s6, s4, s6
	s_addc_u32 s7, s5, s7
.LBB178_4:
	v_cndmask_b32_e64 v1, 0, 1, s[12:13]
	v_cmp_ne_u32_e64 s[4:5], 1, v1
	s_andn2_b64 vcc, exec, s[12:13]
	s_cbranch_vccnz .LBB178_6
; %bb.5:
	s_load_dwordx4 s[12:15], s[0:1], 0x38
	s_mov_b32 s23, 0
	s_lshl_b64 s[10:11], s[22:23], 3
	s_waitcnt lgkmcnt(0)
	s_add_u32 s10, s12, s10
	s_addc_u32 s11, s13, s11
	s_load_dwordx2 s[10:11], s[10:11], 0x0
	s_lshl_b64 s[12:13], s[14:15], 3
	s_waitcnt lgkmcnt(0)
	s_add_u32 s10, s10, s12
	s_addc_u32 s11, s11, s13
.LBB178_6:
	s_and_b64 vcc, exec, s[4:5]
	s_cbranch_vccnz .LBB178_80
; %bb.7:
	s_load_dword s33, s[8:9], 0x0
	s_load_dword s23, s[0:1], 0x0
	s_load_dword s3, s[0:1], 0x48
	v_and_b32_e32 v26, 0x3ff, v0
	s_lshl_b32 s28, s2, 6
	v_add_u32_e32 v16, s28, v26
	s_waitcnt lgkmcnt(0)
	s_ashr_i32 s40, s23, 31
	s_lshr_b32 s5, s40, 26
	s_add_i32 s5, s23, s5
	s_andn2_b32 s5, s5, 63
	v_bfe_u32 v17, v0, 10, 10
	s_add_i32 s4, s33, -1
	s_sub_i32 s5, s23, s5
	v_mul_lo_u32 v0, v16, s3
	s_cmp_eq_u32 s2, s4
	v_ashrrev_i32_e32 v1, 31, v0
	s_cselect_b32 s26, s5, 0
	v_lshl_add_u64 v[20:21], v[0:1], 3, s[10:11]
	v_cmp_ne_u32_e64 s[4:5], 0, v17
	v_cmp_eq_u32_e64 s[18:19], 0, v17
	s_and_saveexec_b64 s[8:9], s[18:19]
	s_cbranch_execz .LBB178_11
; %bb.8:
	s_cmp_eq_u32 s26, 0
	s_cselect_b64 s[10:11], -1, 0
	v_cmp_gt_i32_e32 vcc, s26, v26
	s_or_b64 s[12:13], s[10:11], vcc
	v_mov_b64_e32 v[0:1], 0
	s_and_saveexec_b64 s[10:11], s[12:13]
	s_cbranch_execz .LBB178_10
; %bb.9:
	flat_load_dwordx2 v[0:1], v[20:21]
.LBB178_10:
	s_or_b64 exec, exec, s[10:11]
	v_lshlrev_b32_e32 v2, 3, v26
	s_waitcnt vmcnt(0) lgkmcnt(0)
	ds_write_b64 v2, v[0:1] offset:9088
.LBB178_11:
	s_or_b64 exec, exec, s[8:9]
	s_load_dword s24, s[0:1], 0x28
	s_ashr_i32 s29, s28, 31
	v_lshl_add_u32 v27, v17, 6, v26
	s_lshl_b64 s[8:9], s[28:29], 3
	v_and_b32_e32 v0, 31, v26
	v_lshrrev_b32_e32 v1, 5, v27
	s_add_u32 s8, s6, s8
	s_addc_u32 s9, s7, s9
	s_waitcnt lgkmcnt(0)
	v_mad_u64_u32 v[22:23], s[6:7], v1, s24, v[0:1]
	s_mul_i32 s6, s28, s24
	s_ashr_i32 s7, s6, 31
	s_lshl_b64 s[30:31], s[6:7], 3
	s_add_u32 s6, s30, s8
	s_addc_u32 s7, s31, s9
	s_cmp_lg_u32 s26, 0
	v_ashrrev_i32_e32 v23, 31, v22
	s_cselect_b64 s[34:35], -1, 0
	s_cmp_eq_u32 s26, 0
	v_lshl_add_u64 v[2:3], v[22:23], 3, s[6:7]
	s_cselect_b64 s[20:21], -1, 0
	s_and_b64 vcc, exec, s[34:35]
	s_cbranch_vccnz .LBB178_13
; %bb.12:
	flat_load_dwordx2 v[4:5], v[2:3]
	v_mul_u32_u24_e32 v6, 33, v1
	s_lshl_b32 s6, s24, 3
	v_add_lshl_u32 v8, v6, v0, 3
	s_ashr_i32 s7, s6, 31
	v_lshl_add_u64 v[6:7], s[6:7], 3, v[2:3]
	s_ashr_i32 s25, s24, 31
	s_lshl_b64 s[6:7], s[24:25], 6
	s_waitcnt vmcnt(0) lgkmcnt(0)
	ds_write_b64 v8, v[4:5]
	flat_load_dwordx2 v[4:5], v[6:7]
	v_lshl_add_u64 v[6:7], v[6:7], 0, s[6:7]
	s_waitcnt vmcnt(0) lgkmcnt(0)
	ds_write_b64 v8, v[4:5] offset:2112
	flat_load_dwordx2 v[4:5], v[6:7]
	v_lshl_add_u64 v[6:7], v[6:7], 0, s[6:7]
	s_waitcnt vmcnt(0) lgkmcnt(0)
	ds_write_b64 v8, v[4:5] offset:4224
	flat_load_dwordx2 v[4:5], v[6:7]
	s_waitcnt vmcnt(0) lgkmcnt(0)
	ds_write_b64 v8, v[4:5] offset:6336
	s_cbranch_execz .LBB178_14
	s_branch .LBB178_23
.LBB178_13:
.LBB178_14:
	v_lshlrev_b32_e32 v4, 3, v0
	v_sub_co_u32_e32 v6, vcc, v2, v4
	s_ashr_i32 s27, s26, 31
	s_nop 0
	v_subbrev_co_u32_e32 v7, vcc, 0, v3, vcc
	v_lshl_add_u64 v[6:7], s[26:27], 3, v[6:7]
	v_lshl_add_u64 v[6:7], v[6:7], 0, -8
	v_cmp_gt_i32_e32 vcc, s26, v0
	v_mov_b64_e32 v[8:9], 0
	v_cmp_gt_i32_e64 s[6:7], s26, v1
	v_cndmask_b32_e32 v7, v7, v3, vcc
	v_cndmask_b32_e32 v6, v6, v2, vcc
	v_mov_b64_e32 v[10:11], v[8:9]
	s_and_saveexec_b64 s[8:9], s[6:7]
	s_cbranch_execz .LBB178_16
; %bb.15:
	flat_load_dwordx2 v[10:11], v[6:7]
.LBB178_16:
	s_or_b64 exec, exec, s[8:9]
	v_mul_u32_u24_e32 v5, 33, v1
	v_add_lshl_u32 v5, v5, v0, 3
	s_waitcnt vmcnt(0) lgkmcnt(0)
	ds_write_b64 v5, v[10:11]
	v_add_u32_e32 v10, 8, v1
	v_cmp_gt_i32_e64 s[6:7], s26, v10
	s_and_saveexec_b64 s[8:9], s[6:7]
	s_cbranch_execz .LBB178_18
; %bb.17:
	s_lshl_b32 s6, s24, 3
	s_ashr_i32 s7, s6, 31
	v_lshl_add_u64 v[8:9], s[6:7], 3, v[6:7]
	flat_load_dwordx2 v[8:9], v[8:9]
.LBB178_18:
	s_or_b64 exec, exec, s[8:9]
	s_waitcnt vmcnt(0) lgkmcnt(0)
	ds_write_b64 v5, v[8:9] offset:2112
	v_add_u32_e32 v8, 16, v1
	v_cmp_gt_i32_e64 s[6:7], s26, v8
	v_mov_b64_e32 v[8:9], 0
	v_mov_b64_e32 v[10:11], v[8:9]
	s_and_saveexec_b64 s[8:9], s[6:7]
	s_cbranch_execz .LBB178_20
; %bb.19:
	s_lshl_b32 s6, s24, 4
	s_ashr_i32 s7, s6, 31
	v_lshl_add_u64 v[10:11], s[6:7], 3, v[6:7]
	flat_load_dwordx2 v[10:11], v[10:11]
.LBB178_20:
	s_or_b64 exec, exec, s[8:9]
	s_waitcnt vmcnt(0) lgkmcnt(0)
	ds_write_b64 v5, v[10:11] offset:4224
	v_add_u32_e32 v10, 24, v1
	v_cmp_gt_i32_e64 s[6:7], s26, v10
	s_and_saveexec_b64 s[8:9], s[6:7]
	s_cbranch_execz .LBB178_22
; %bb.21:
	s_mul_i32 s6, s24, 24
	s_ashr_i32 s7, s6, 31
	v_lshl_add_u64 v[8:9], s[6:7], 3, v[6:7]
	flat_load_dwordx2 v[8:9], v[8:9]
.LBB178_22:
	s_or_b64 exec, exec, s[8:9]
	s_waitcnt vmcnt(0) lgkmcnt(0)
	ds_write_b64 v5, v[8:9] offset:6336
	v_mov_b32_e32 v5, 0
	v_lshl_add_u64 v[4:5], v[6:7], 0, v[4:5]
	s_lshl_b64 s[6:7], s[26:27], 3
	v_mov_b32_e32 v6, s7
	v_subrev_co_u32_e64 v4, s[6:7], s6, v4
	s_nop 1
	v_subb_co_u32_e64 v5, s[6:7], v5, v6, s[6:7]
	v_lshl_add_u64 v[4:5], v[4:5], 0, 8
	v_cndmask_b32_e32 v3, v5, v3, vcc
	v_cndmask_b32_e32 v2, v4, v2, vcc
.LBB178_23:
	v_lshlrev_b32_e32 v4, 2, v1
	v_mul_u32_u24_e32 v28, 33, v0
	v_cmp_lt_u32_e64 s[8:9], v4, v0
	v_add_lshl_u32 v30, v4, v28, 3
	s_waitcnt lgkmcnt(0)
	s_barrier
	s_and_saveexec_b64 s[6:7], s[8:9]
	s_cbranch_execz .LBB178_25
; %bb.24:
	v_mul_u32_u24_e32 v5, 0x84, v1
	v_add_lshl_u32 v5, v5, v0, 3
	ds_read_b64 v[6:7], v5
	s_waitcnt lgkmcnt(0)
	ds_write_b64 v30, v[6:7]
.LBB178_25:
	s_or_b64 exec, exec, s[6:7]
	v_or_b32_e32 v5, 1, v4
	v_cmp_lt_u32_e64 s[10:11], v5, v0
	s_and_saveexec_b64 s[6:7], s[10:11]
	s_cbranch_execz .LBB178_27
; %bb.26:
	v_mul_u32_u24_e32 v5, 33, v5
	v_add_lshl_u32 v5, v5, v0, 3
	ds_read_b64 v[6:7], v5
	s_waitcnt lgkmcnt(0)
	ds_write_b64 v30, v[6:7] offset:8
.LBB178_27:
	s_or_b64 exec, exec, s[6:7]
	v_or_b32_e32 v5, 2, v4
	v_cmp_lt_u32_e64 s[12:13], v5, v0
	s_and_saveexec_b64 s[6:7], s[12:13]
	s_cbranch_execz .LBB178_29
; %bb.28:
	v_mul_u32_u24_e32 v5, 33, v5
	v_add_lshl_u32 v5, v5, v0, 3
	ds_read_b64 v[6:7], v5
	s_waitcnt lgkmcnt(0)
	ds_write_b64 v30, v[6:7] offset:16
.LBB178_29:
	s_or_b64 exec, exec, s[6:7]
	v_or_b32_e32 v5, 3, v4
	v_cmp_lt_u32_e64 s[14:15], v5, v0
	v_mad_u32_u24 v5, v5, 33, v0
	v_lshlrev_b32_e32 v10, 3, v5
	s_and_saveexec_b64 s[6:7], s[14:15]
	s_cbranch_execz .LBB178_31
; %bb.30:
	ds_read_b64 v[6:7], v10
	s_waitcnt lgkmcnt(0)
	ds_write_b64 v30, v[6:7] offset:24
.LBB178_31:
	s_or_b64 exec, exec, s[6:7]
	v_mul_u32_u24_e32 v5, 0x84, v1
	v_add_lshl_u32 v11, v5, v0, 3
	s_waitcnt lgkmcnt(0)
	s_barrier
	v_lshlrev_b32_e32 v12, 3, v4
	ds_read_b64 v[8:9], v11
	ds_read_b128 v[4:7], v12 offset:9088
	v_add_u32_e32 v13, 0xfffffdf0, v10
	ds_read2_b64 v[32:35], v13 offset1:33
	ds_read_b128 v[36:39], v12 offset:9104
	ds_read_b64 v[14:15], v10
	v_mov_b64_e32 v[18:19], 0
	v_add_lshl_u32 v29, v1, v28, 3
	s_waitcnt lgkmcnt(3)
	v_fma_f64 v[4:5], v[8:9], v[4:5], 0
	s_waitcnt lgkmcnt(2)
	v_fmac_f64_e32 v[4:5], v[32:33], v[6:7]
	s_waitcnt lgkmcnt(1)
	v_fmac_f64_e32 v[4:5], v[34:35], v[36:37]
	;; [unrolled: 2-line block ×3, first 2 shown]
	v_cmp_gt_u32_e64 s[6:7], 32, v27
	s_barrier
	ds_write_b64 v29, v[4:5]
	s_waitcnt lgkmcnt(0)
	s_barrier
	s_and_saveexec_b64 s[16:17], s[6:7]
	s_cbranch_execz .LBB178_33
; %bb.32:
	v_lshlrev_b32_e32 v14, 3, v28
	ds_read2_b64 v[4:7], v14 offset1:1
	ds_read2_b64 v[32:35], v14 offset0:2 offset1:3
	ds_read2_b64 v[36:39], v14 offset0:4 offset1:5
	s_waitcnt lgkmcnt(2)
	v_add_f64 v[8:9], v[4:5], v[6:7]
	ds_read2_b64 v[4:7], v14 offset0:6 offset1:7
	s_waitcnt lgkmcnt(2)
	v_add_f64 v[8:9], v[8:9], v[32:33]
	v_add_f64 v[8:9], v[8:9], v[34:35]
	s_waitcnt lgkmcnt(1)
	v_add_f64 v[8:9], v[8:9], v[36:37]
	v_add_f64 v[8:9], v[8:9], v[38:39]
	;; [unrolled: 3-line block ×3, first 2 shown]
.LBB178_33:
	s_or_b64 exec, exec, s[16:17]
	s_lshl_b32 s36, s24, 5
	s_ashr_i32 s37, s36, 31
	v_lshl_add_u64 v[4:5], s[36:37], 3, v[2:3]
	s_mov_b64 s[38:39], 0x100
	v_cndmask_b32_e64 v2, 0, 1, s[20:21]
	v_cmp_ne_u32_e64 s[16:17], 1, v2
	s_andn2_b64 vcc, exec, s[20:21]
	v_lshl_add_u64 v[2:3], v[4:5], 0, s[38:39]
	s_barrier
	s_cbranch_vccnz .LBB178_35
; %bb.34:
	flat_load_dwordx2 v[6:7], v[4:5] offset:256
	v_mul_u32_u24_e32 v8, 33, v1
	s_lshl_b32 s20, s24, 3
	v_add_lshl_u32 v8, v8, v0, 3
	s_ashr_i32 s21, s20, 31
	v_lshl_add_u64 v[4:5], s[20:21], 3, v[4:5]
	s_ashr_i32 s25, s24, 31
	s_lshl_b64 s[20:21], s[24:25], 6
	s_waitcnt vmcnt(0) lgkmcnt(0)
	ds_write_b64 v8, v[6:7]
	flat_load_dwordx2 v[6:7], v[4:5] offset:256
	v_lshl_add_u64 v[4:5], v[4:5], 0, s[20:21]
	s_waitcnt vmcnt(0) lgkmcnt(0)
	ds_write_b64 v8, v[6:7] offset:2112
	flat_load_dwordx2 v[6:7], v[4:5] offset:256
	v_lshl_add_u64 v[4:5], v[4:5], 0, s[20:21]
	s_waitcnt vmcnt(0) lgkmcnt(0)
	ds_write_b64 v8, v[6:7] offset:4224
	flat_load_dwordx2 v[4:5], v[4:5] offset:256
	s_waitcnt vmcnt(0) lgkmcnt(0)
	ds_write_b64 v8, v[4:5] offset:6336
	s_cbranch_execz .LBB178_36
	s_branch .LBB178_45
.LBB178_35:
.LBB178_36:
	v_or_b32_e32 v6, 32, v0
	v_lshlrev_b32_e32 v4, 3, v6
	v_sub_co_u32_e32 v4, vcc, v2, v4
	s_ashr_i32 s27, s26, 31
	s_nop 0
	v_subbrev_co_u32_e32 v5, vcc, 0, v3, vcc
	v_lshl_add_u64 v[4:5], s[26:27], 3, v[4:5]
	v_lshl_add_u64 v[4:5], v[4:5], 0, -8
	v_cmp_gt_i32_e32 vcc, s26, v6
	s_sub_i32 s25, s26, 32
	v_mov_b64_e32 v[6:7], 0
	v_cndmask_b32_e32 v5, v5, v3, vcc
	v_cndmask_b32_e32 v4, v4, v2, vcc
	v_cmp_gt_i32_e64 s[20:21], s25, v1
	v_mov_b64_e32 v[8:9], v[6:7]
	s_and_saveexec_b64 s[38:39], s[20:21]
	s_cbranch_execz .LBB178_38
; %bb.37:
	flat_load_dwordx2 v[8:9], v[4:5]
.LBB178_38:
	s_or_b64 exec, exec, s[38:39]
	v_mul_u32_u24_e32 v14, 33, v1
	v_add_lshl_u32 v14, v14, v0, 3
	s_waitcnt vmcnt(0) lgkmcnt(0)
	ds_write_b64 v14, v[8:9]
	v_add_u32_e32 v8, 8, v1
	v_cmp_gt_i32_e64 s[20:21], s25, v8
	s_and_saveexec_b64 s[38:39], s[20:21]
	s_cbranch_execz .LBB178_40
; %bb.39:
	s_lshl_b32 s20, s24, 3
	s_ashr_i32 s21, s20, 31
	v_lshl_add_u64 v[6:7], s[20:21], 3, v[4:5]
	flat_load_dwordx2 v[6:7], v[6:7]
.LBB178_40:
	s_or_b64 exec, exec, s[38:39]
	s_waitcnt vmcnt(0) lgkmcnt(0)
	ds_write_b64 v14, v[6:7] offset:2112
	v_add_u32_e32 v6, 16, v1
	v_cmp_gt_i32_e64 s[20:21], s25, v6
	v_mov_b64_e32 v[6:7], 0
	v_mov_b64_e32 v[8:9], v[6:7]
	s_and_saveexec_b64 s[38:39], s[20:21]
	s_cbranch_execz .LBB178_42
; %bb.41:
	s_lshl_b32 s20, s24, 4
	s_ashr_i32 s21, s20, 31
	v_lshl_add_u64 v[8:9], s[20:21], 3, v[4:5]
	flat_load_dwordx2 v[8:9], v[8:9]
.LBB178_42:
	s_or_b64 exec, exec, s[38:39]
	s_waitcnt vmcnt(0) lgkmcnt(0)
	ds_write_b64 v14, v[8:9] offset:4224
	v_add_u32_e32 v8, 24, v1
	v_cmp_gt_i32_e64 s[20:21], s25, v8
	s_and_saveexec_b64 s[38:39], s[20:21]
	s_cbranch_execz .LBB178_44
; %bb.43:
	s_mul_i32 s20, s24, 24
	s_ashr_i32 s21, s20, 31
	v_lshl_add_u64 v[6:7], s[20:21], 3, v[4:5]
	flat_load_dwordx2 v[6:7], v[6:7]
.LBB178_44:
	s_or_b64 exec, exec, s[38:39]
	s_waitcnt vmcnt(0) lgkmcnt(0)
	ds_write_b64 v14, v[6:7] offset:6336
	v_lshlrev_b32_e32 v6, 3, v0
	v_mov_b32_e32 v7, 0
	v_lshl_add_u64 v[4:5], v[4:5], 0, v[6:7]
	s_lshl_b64 s[20:21], s[26:27], 3
	v_mov_b32_e32 v6, s21
	v_subrev_co_u32_e64 v4, s[20:21], s20, v4
	s_nop 1
	v_subb_co_u32_e64 v5, s[20:21], v5, v6, s[20:21]
	s_mov_b64 s[20:21], 0x108
	s_nop 0
	v_lshl_add_u64 v[4:5], v[4:5], 0, s[20:21]
	v_cndmask_b32_e32 v3, v5, v3, vcc
	v_cndmask_b32_e32 v2, v4, v2, vcc
.LBB178_45:
	v_add_u32_e32 v12, 0x2380, v12
	s_waitcnt lgkmcnt(0)
	s_barrier
	s_and_saveexec_b64 s[20:21], s[8:9]
	s_cbranch_execnz .LBB178_54
; %bb.46:
	s_or_b64 exec, exec, s[20:21]
	s_and_saveexec_b64 s[8:9], s[10:11]
	s_cbranch_execnz .LBB178_55
.LBB178_47:
	s_or_b64 exec, exec, s[8:9]
	s_and_saveexec_b64 s[8:9], s[12:13]
	s_cbranch_execnz .LBB178_56
.LBB178_48:
	s_or_b64 exec, exec, s[8:9]
	s_and_saveexec_b64 s[8:9], s[14:15]
	s_cbranch_execz .LBB178_50
.LBB178_49:
	ds_read_b64 v[4:5], v10
	s_waitcnt lgkmcnt(0)
	ds_write_b64 v30, v[4:5] offset:24
.LBB178_50:
	s_or_b64 exec, exec, s[8:9]
	s_waitcnt lgkmcnt(0)
	s_barrier
	ds_read_b64 v[8:9], v11
	ds_read_b128 v[4:7], v12 offset:256
	ds_read2_b64 v[32:35], v13 offset1:33
	ds_read_b128 v[36:39], v12 offset:272
	ds_read_b64 v[10:11], v10
	v_cmp_eq_u32_e64 s[8:9], 1, v1
	s_waitcnt lgkmcnt(3)
	v_fma_f64 v[4:5], v[8:9], v[4:5], 0
	s_waitcnt lgkmcnt(2)
	v_fmac_f64_e32 v[4:5], v[32:33], v[6:7]
	s_waitcnt lgkmcnt(1)
	v_fmac_f64_e32 v[4:5], v[34:35], v[36:37]
	;; [unrolled: 2-line block ×3, first 2 shown]
	s_barrier
	ds_write_b64 v29, v[4:5]
	s_waitcnt lgkmcnt(0)
	s_barrier
	s_and_saveexec_b64 s[10:11], s[8:9]
	s_cbranch_execz .LBB178_52
; %bb.51:
	v_lshlrev_b32_e32 v13, 3, v28
	ds_read2_b64 v[4:7], v13 offset1:1
	ds_read2_b64 v[8:11], v13 offset0:2 offset1:3
	ds_read2_b64 v[32:35], v13 offset0:4 offset1:5
	s_waitcnt lgkmcnt(2)
	v_add_f64 v[14:15], v[4:5], v[6:7]
	ds_read2_b64 v[4:7], v13 offset0:6 offset1:7
	s_waitcnt lgkmcnt(2)
	v_add_f64 v[8:9], v[14:15], v[8:9]
	v_add_f64 v[8:9], v[8:9], v[10:11]
	s_waitcnt lgkmcnt(1)
	v_add_f64 v[8:9], v[8:9], v[32:33]
	v_add_f64 v[8:9], v[8:9], v[34:35]
	;; [unrolled: 3-line block ×3, first 2 shown]
.LBB178_52:
	s_or_b64 exec, exec, s[10:11]
	s_lshl_b64 s[10:11], s[36:37], 3
	v_mov_b32_e32 v4, s11
	v_subrev_co_u32_e64 v24, s[10:11], s10, v2
	s_and_b64 vcc, exec, s[16:17]
	s_nop 0
	v_subb_co_u32_e64 v25, s[10:11], v3, v4, s[10:11]
	s_barrier
	s_cbranch_vccnz .LBB178_57
; %bb.53:
	flat_load_dwordx2 v[2:3], v[24:25]
	v_mad_u32_u24 v8, v1, 33, v0
	s_lshl_b32 s10, s24, 3
	v_lshlrev_b32_e32 v14, 3, v8
	s_ashr_i32 s11, s10, 31
	v_lshl_add_u64 v[4:5], s[10:11], 3, v[24:25]
	s_ashr_i32 s25, s24, 31
	s_lshl_b64 s[10:11], s[24:25], 6
	v_add_u32_e32 v9, 8, v1
	v_add_u32_e32 v10, 16, v1
	;; [unrolled: 1-line block ×6, first 2 shown]
	s_waitcnt vmcnt(0) lgkmcnt(0)
	ds_write_b64 v14, v[2:3]
	flat_load_dwordx2 v[2:3], v[4:5]
	v_lshl_add_u64 v[4:5], v[4:5], 0, s[10:11]
	s_waitcnt vmcnt(0) lgkmcnt(0)
	ds_write_b64 v14, v[2:3] offset:2112
	flat_load_dwordx2 v[2:3], v[4:5]
	v_lshl_add_u64 v[4:5], v[4:5], 0, s[10:11]
	s_waitcnt vmcnt(0) lgkmcnt(0)
	ds_write_b64 v14, v[2:3] offset:4224
	flat_load_dwordx2 v[2:3], v[4:5]
	s_waitcnt vmcnt(0) lgkmcnt(0)
	ds_write_b64 v14, v[2:3] offset:6336
	s_cbranch_execz .LBB178_58
	s_branch .LBB178_67
.LBB178_54:
	ds_read_b64 v[4:5], v11
	s_waitcnt lgkmcnt(0)
	ds_write_b64 v30, v[4:5]
	s_or_b64 exec, exec, s[20:21]
	s_and_saveexec_b64 s[8:9], s[10:11]
	s_cbranch_execz .LBB178_47
.LBB178_55:
	ds_read_b64 v[4:5], v13
	s_waitcnt lgkmcnt(0)
	ds_write_b64 v30, v[4:5] offset:8
	s_or_b64 exec, exec, s[8:9]
	s_and_saveexec_b64 s[8:9], s[12:13]
	s_cbranch_execz .LBB178_48
.LBB178_56:
	ds_read_b64 v[4:5], v13 offset:264
	s_waitcnt lgkmcnt(0)
	ds_write_b64 v30, v[4:5] offset:16
	s_or_b64 exec, exec, s[8:9]
	s_and_saveexec_b64 s[8:9], s[14:15]
	s_cbranch_execnz .LBB178_49
	s_branch .LBB178_50
.LBB178_57:
                                        ; implicit-def: $vgpr8
                                        ; implicit-def: $vgpr9
                                        ; implicit-def: $vgpr13
                                        ; implicit-def: $vgpr10
                                        ; implicit-def: $vgpr7
                                        ; implicit-def: $vgpr6
                                        ; implicit-def: $vgpr11
.LBB178_58:
	v_or_b32_e32 v4, 32, v0
	v_lshlrev_b32_e32 v2, 3, v4
	v_sub_co_u32_e32 v2, vcc, v24, v2
	s_ashr_i32 s27, s26, 31
	s_nop 0
	v_subbrev_co_u32_e32 v3, vcc, 0, v25, vcc
	v_lshl_add_u64 v[2:3], s[26:27], 3, v[2:3]
	v_lshl_add_u64 v[2:3], v[2:3], 0, -8
	v_cmp_gt_i32_e32 vcc, s26, v4
	v_mov_b64_e32 v[4:5], 0
	v_cmp_gt_i32_e64 s[10:11], s26, v1
	v_cndmask_b32_e32 v3, v3, v25, vcc
	v_cndmask_b32_e32 v2, v2, v24, vcc
	v_mov_b64_e32 v[6:7], v[4:5]
	s_and_saveexec_b64 s[12:13], s[10:11]
	s_cbranch_execz .LBB178_60
; %bb.59:
	flat_load_dwordx2 v[6:7], v[2:3]
.LBB178_60:
	s_or_b64 exec, exec, s[12:13]
	v_mad_u32_u24 v8, v1, 33, v0
	v_add_u32_e32 v9, 8, v1
	v_lshlrev_b32_e32 v14, 3, v8
	v_cmp_gt_i32_e64 s[10:11], s26, v9
	s_waitcnt vmcnt(0) lgkmcnt(0)
	ds_write_b64 v14, v[6:7]
	s_and_saveexec_b64 s[12:13], s[10:11]
	s_cbranch_execz .LBB178_62
; %bb.61:
	s_lshl_b32 s10, s24, 3
	s_ashr_i32 s11, s10, 31
	v_lshl_add_u64 v[4:5], s[10:11], 3, v[2:3]
	flat_load_dwordx2 v[4:5], v[4:5]
.LBB178_62:
	s_or_b64 exec, exec, s[12:13]
	s_waitcnt vmcnt(0) lgkmcnt(0)
	ds_write_b64 v14, v[4:5] offset:2112
	v_add_u32_e32 v10, 16, v1
	v_mov_b64_e32 v[4:5], 0
	v_cmp_gt_i32_e64 s[10:11], s26, v10
	v_mov_b64_e32 v[6:7], v[4:5]
	s_and_saveexec_b64 s[12:13], s[10:11]
	s_cbranch_execz .LBB178_64
; %bb.63:
	s_lshl_b32 s10, s24, 4
	s_ashr_i32 s11, s10, 31
	v_lshl_add_u64 v[6:7], s[10:11], 3, v[2:3]
	flat_load_dwordx2 v[6:7], v[6:7]
.LBB178_64:
	s_or_b64 exec, exec, s[12:13]
	s_waitcnt vmcnt(0) lgkmcnt(0)
	ds_write_b64 v14, v[6:7] offset:4224
	v_add_u32_e32 v6, 24, v1
	v_cmp_gt_i32_e64 s[10:11], s26, v6
	s_and_saveexec_b64 s[12:13], s[10:11]
	s_cbranch_execz .LBB178_66
; %bb.65:
	s_mul_i32 s10, s24, 24
	s_ashr_i32 s11, s10, 31
	v_lshl_add_u64 v[4:5], s[10:11], 3, v[2:3]
	flat_load_dwordx2 v[4:5], v[4:5]
.LBB178_66:
	s_or_b64 exec, exec, s[12:13]
	s_waitcnt vmcnt(0) lgkmcnt(0)
	ds_write_b64 v14, v[4:5] offset:6336
	v_lshlrev_b32_e32 v4, 3, v0
	v_mov_b32_e32 v5, 0
	v_lshl_add_u64 v[2:3], v[2:3], 0, v[4:5]
	s_lshl_b64 s[10:11], s[26:27], 3
	v_mov_b32_e32 v0, s11
	v_subrev_co_u32_e64 v2, s[10:11], s10, v2
	v_add_u32_e32 v13, 0x108, v8
	s_nop 0
	v_subb_co_u32_e64 v3, s[10:11], v3, v0, s[10:11]
	s_mov_b64 s[10:11], 0x108
	s_nop 0
	v_lshl_add_u64 v[2:3], v[2:3], 0, s[10:11]
	v_add_u32_e32 v7, 0x210, v8
	v_add_u32_e32 v11, 0x318, v8
	v_cndmask_b32_e32 v25, v3, v25, vcc
	v_cndmask_b32_e32 v24, v2, v24, vcc
.LBB178_67:
	v_lshlrev_b32_e32 v0, 3, v8
	s_waitcnt lgkmcnt(0)
	s_barrier
	v_lshlrev_b32_e32 v1, 3, v1
	v_lshlrev_b32_e32 v2, 3, v13
	;; [unrolled: 1-line block ×3, first 2 shown]
	ds_read_b64 v[32:33], v0
	ds_read_b64 v[34:35], v1 offset:9088
	ds_read_b64 v[36:37], v2
	ds_read_b64 v[38:39], v3 offset:9088
	v_lshlrev_b32_e32 v0, 3, v7
	v_lshlrev_b32_e32 v1, 3, v10
	;; [unrolled: 1-line block ×4, first 2 shown]
	ds_read_b64 v[40:41], v0
	ds_read_b64 v[42:43], v1 offset:9088
	ds_read_b64 v[44:45], v2
	ds_read_b64 v[46:47], v3 offset:9088
	ds_read_b128 v[8:11], v12 offset:256
	ds_read_b128 v[0:3], v12 offset:272
	ds_read2_b64 v[12:15], v30 offset1:1
	ds_read2_b64 v[4:7], v30 offset0:2 offset1:3
	s_waitcnt lgkmcnt(10)
	v_fma_f64 v[30:31], v[32:33], v[34:35], 0
	s_waitcnt lgkmcnt(8)
	v_fmac_f64_e32 v[30:31], v[36:37], v[38:39]
	s_waitcnt lgkmcnt(6)
	v_fmac_f64_e32 v[30:31], v[40:41], v[42:43]
	;; [unrolled: 2-line block ×3, first 2 shown]
	s_waitcnt lgkmcnt(0)
	s_barrier
	ds_write_b64 v29, v[30:31]
	s_waitcnt lgkmcnt(0)
	s_barrier
	s_and_saveexec_b64 s[10:11], s[8:9]
	s_cbranch_execz .LBB178_69
; %bb.68:
	v_lshlrev_b32_e32 v42, 3, v28
	ds_read2_b64 v[30:33], v42 offset1:1
	ds_read2_b64 v[34:37], v42 offset0:2 offset1:3
	ds_read2_b64 v[38:41], v42 offset0:4 offset1:5
	s_waitcnt lgkmcnt(2)
	v_add_f64 v[18:19], v[18:19], v[30:31]
	v_add_f64 v[18:19], v[18:19], v[32:33]
	ds_read2_b64 v[30:33], v42 offset0:6 offset1:7
	s_waitcnt lgkmcnt(2)
	v_add_f64 v[18:19], v[18:19], v[34:35]
	v_add_f64 v[18:19], v[18:19], v[36:37]
	s_waitcnt lgkmcnt(1)
	v_add_f64 v[18:19], v[18:19], v[38:39]
	v_add_f64 v[18:19], v[18:19], v[40:41]
	;; [unrolled: 3-line block ×3, first 2 shown]
.LBB178_69:
	s_or_b64 exec, exec, s[10:11]
	v_fma_f64 v[8:9], v[12:13], v[8:9], 0
	v_fmac_f64_e32 v[8:9], v[14:15], v[10:11]
	v_fmac_f64_e32 v[8:9], v[4:5], v[0:1]
	;; [unrolled: 1-line block ×3, first 2 shown]
	s_barrier
	ds_write_b64 v29, v[8:9]
	s_waitcnt lgkmcnt(0)
	s_barrier
	s_and_saveexec_b64 s[8:9], s[6:7]
	s_cbranch_execz .LBB178_71
; %bb.70:
	v_lshlrev_b32_e32 v14, 3, v28
	ds_read2_b64 v[0:3], v14 offset1:1
	ds_read2_b64 v[4:7], v14 offset0:2 offset1:3
	ds_read2_b64 v[8:11], v14 offset0:4 offset1:5
	s_waitcnt lgkmcnt(2)
	v_add_f64 v[0:1], v[18:19], v[0:1]
	v_add_f64 v[12:13], v[0:1], v[2:3]
	ds_read2_b64 v[0:3], v14 offset0:6 offset1:7
	s_waitcnt lgkmcnt(2)
	v_add_f64 v[4:5], v[12:13], v[4:5]
	v_add_f64 v[4:5], v[4:5], v[6:7]
	s_waitcnt lgkmcnt(1)
	v_add_f64 v[4:5], v[4:5], v[8:9]
	v_add_f64 v[4:5], v[4:5], v[10:11]
	;; [unrolled: 3-line block ×3, first 2 shown]
.LBB178_71:
	s_or_b64 exec, exec, s[8:9]
	s_load_dwordx2 s[0:1], s[0:1], 0x68
	s_mul_hi_u32 s6, s23, s22
	s_mul_i32 s40, s40, s22
	s_add_i32 s6, s6, s40
	s_mul_i32 s8, s23, s22
	s_mul_i32 s6, s6, s33
	s_mul_hi_u32 s7, s8, s33
	s_add_i32 s7, s7, s6
	s_mul_i32 s6, s8, s33
	s_lshl_b64 s[6:7], s[6:7], 3
	s_waitcnt lgkmcnt(0)
	s_add_u32 s6, s0, s6
	s_mul_i32 s0, s2, s23
	s_addc_u32 s7, s1, s7
	s_ashr_i32 s1, s0, 31
	s_lshl_b64 s[0:1], s[0:1], 3
	s_add_u32 s6, s6, s0
	v_cmp_le_i32_e32 vcc, s26, v26
	s_addc_u32 s7, s7, s1
	s_and_b64 vcc, s[34:35], vcc
	s_cmp_lt_i32 s2, 1
	v_lshlrev_b32_e32 v74, 3, v26
	s_barrier
	s_cbranch_scc1 .LBB178_78
; %bb.72:
	s_mul_i32 s0, s28, s3
	s_ashr_i32 s1, s0, 31
	s_lshl_b64 s[0:1], s[0:1], 3
	v_mov_b32_e32 v1, s1
	v_subrev_co_u32_e64 v0, s[0:1], s0, v20
	v_mov_b32_e32 v2, s31
	s_nop 0
	v_subb_co_u32_e64 v1, s[0:1], v21, v1, s[0:1]
	v_subrev_co_u32_e64 v4, s[0:1], s30, v24
	s_ashr_i32 s27, s26, 31
	s_nop 0
	v_subb_co_u32_e64 v5, s[0:1], v25, v2, s[0:1]
	v_lshlrev_b64 v[2:3], 3, v[22:23]
	v_sub_co_u32_e64 v2, s[0:1], v4, v2
	v_mul_lo_u32 v4, v17, s24
	s_nop 0
	v_subb_co_u32_e64 v3, s[0:1], v5, v3, s[0:1]
	v_lshl_add_u32 v4, v4, 2, v26
	v_ashrrev_i32_e32 v5, 31, v4
	s_movk_i32 s0, 0xff00
	v_lshl_add_u64 v[2:3], v[4:5], 3, v[2:3]
	s_mov_b32 s1, -1
	v_lshl_add_u64 v[4:5], v[2:3], 0, s[0:1]
	v_sub_co_u32_e64 v6, s[0:1], v4, v74
	v_and_b32_e32 v2, 48, v26
	s_nop 0
	v_subbrev_co_u32_e64 v7, s[0:1], 0, v5, s[0:1]
	v_lshl_add_u64 v[6:7], s[26:27], 3, v[6:7]
	v_lshl_add_u64 v[6:7], v[6:7], 0, -8
	v_and_b32_e32 v8, 15, v26
	v_cndmask_b32_e32 v4, v4, v6, vcc
	v_lshlrev_b32_e32 v6, 3, v2
	s_movk_i32 s8, 0x218
	v_lshrrev_b32_e32 v9, 4, v27
	v_mad_u32_u24 v77, v8, s8, v6
	v_or_b32_e32 v6, 0x78, v74
	v_mad_u32_u24 v78, v8, s8, v6
	v_lshlrev_b32_e32 v6, 5, v9
	v_mad_u32_u24 v79, v8, s8, v6
	v_mov_b32_e32 v6, 0x2180
	s_ashr_i32 s25, s24, 31
	v_lshl_add_u32 v80, v17, 5, v6
	s_movk_i32 s9, 0x860
	v_lshlrev_b32_e32 v6, 3, v9
	v_mov_b32_e32 v3, 0
	v_cndmask_b32_e32 v5, v5, v7, vcc
	s_lshl_b32 s3, s3, 6
	v_add_u32_e32 v75, 0x2180, v74
	v_add_u32_e32 v76, 0x2380, v74
	v_cmp_gt_u32_e64 s[0:1], 64, v27
	v_mad_u32_u24 v81, v17, s9, v74
	v_mad_u32_u24 v82, v8, s8, v6
	s_lshl_b64 s[8:9], s[24:25], 3
	s_lshl_b64 s[10:11], s[24:25], 4
	;; [unrolled: 1-line block ×3, first 2 shown]
	s_mul_hi_i32 s15, s24, 24
	s_mul_i32 s14, s24, 24
	s_lshl_b64 s[16:17], s[24:25], 7
	s_mul_hi_i32 s21, s24, 0x90
	s_mul_i32 s20, s24, 0x90
	s_mul_hi_i32 s23, s24, 0x98
	s_mul_i32 s22, s24, 0x98
	s_lshl_b64 s[26:27], s[24:25], 8
	s_mul_hi_i32 s29, s24, 0x110
	s_mul_i32 s28, s24, 0x110
	s_mul_hi_i32 s31, s24, 0x118
	s_mul_i32 s30, s24, 0x118
	;; [unrolled: 2-line block ×7, first 2 shown]
	s_mul_hi_i32 s25, s24, 0x88
	s_mulk_i32 s24, 0x88
	v_or_b32_e32 v2, v2, v8
	s_mov_b32 s44, 0
	s_branch .LBB178_74
.LBB178_73:                             ;   in Loop: Header=BB178_74 Depth=1
	s_or_b64 exec, exec, s[46:47]
	v_fmac_f64_e32 v[18:19], v[6:7], v[14:15]
	v_fmac_f64_e32 v[18:19], v[10:11], v[20:21]
	v_fmac_f64_e32 v[18:19], v[8:9], v[22:23]
	v_fmac_f64_e32 v[18:19], v[12:13], v[24:25]
	v_fmac_f64_e32 v[18:19], v[32:33], v[34:35]
	v_fmac_f64_e32 v[18:19], v[30:31], v[36:37]
	v_fmac_f64_e32 v[18:19], v[28:29], v[38:39]
	v_fmac_f64_e32 v[18:19], v[26:27], v[40:41]
	v_fmac_f64_e32 v[18:19], v[48:49], v[50:51]
	v_fmac_f64_e32 v[18:19], v[46:47], v[52:53]
	v_fmac_f64_e32 v[18:19], v[44:45], v[54:55]
	v_fmac_f64_e32 v[18:19], v[42:43], v[56:57]
	v_fmac_f64_e32 v[18:19], v[64:65], v[66:67]
	v_fmac_f64_e32 v[18:19], v[62:63], v[68:69]
	v_fmac_f64_e32 v[18:19], v[60:61], v[70:71]
	s_add_i32 s2, s2, -1
	s_add_i32 s44, s44, s3
	v_fmac_f64_e32 v[18:19], v[58:59], v[72:73]
	v_lshl_add_u64 v[4:5], v[4:5], 0, s[12:13]
	s_cmp_eq_u32 s2, 0
	v_add_u32_e32 v2, 64, v2
	s_barrier
	s_cbranch_scc1 .LBB178_78
.LBB178_74:                             ; =>This Inner Loop Header: Depth=1
	s_and_saveexec_b64 s[46:47], s[18:19]
	s_cbranch_execz .LBB178_76
; %bb.75:                               ;   in Loop: Header=BB178_74 Depth=1
	s_ashr_i32 s45, s44, 31
	v_lshl_add_u64 v[6:7], s[44:45], 3, v[0:1]
	flat_load_dwordx2 v[6:7], v[6:7]
	s_waitcnt vmcnt(0) lgkmcnt(0)
	ds_write_b64 v75, v[6:7]
.LBB178_76:                             ;   in Loop: Header=BB178_74 Depth=1
	s_or_b64 exec, exec, s[46:47]
	s_waitcnt lgkmcnt(0)
	s_barrier
	flat_load_dwordx2 v[6:7], v[4:5]
	v_lshl_add_u64 v[12:13], v[4:5], 0, s[8:9]
	v_lshl_add_u64 v[14:15], v[4:5], 0, s[10:11]
	flat_load_dwordx2 v[10:11], v[12:13]
	flat_load_dwordx2 v[8:9], v[14:15]
	v_lshl_add_u64 v[12:13], v[4:5], 0, s[14:15]
	flat_load_dwordx2 v[12:13], v[12:13]
	ds_read_b64 v[20:21], v76
	ds_read_b64 v[14:15], v80
	v_lshl_add_u64 v[34:35], v[4:5], 0, s[16:17]
	v_lshl_add_u64 v[36:37], v[4:5], 0, s[24:25]
	;; [unrolled: 1-line block ×12, first 2 shown]
	s_waitcnt vmcnt(0) lgkmcnt(0)
	v_mul_f64 v[22:23], v[6:7], v[20:21]
	ds_write_b64 v81, v[22:23]
	v_mul_f64 v[22:23], v[10:11], v[20:21]
	v_mul_f64 v[24:25], v[8:9], v[20:21]
	;; [unrolled: 1-line block ×3, first 2 shown]
	ds_read_b64 v[20:21], v80 offset:8
	ds_write_b64 v81, v[22:23] offset:536
	ds_read_b64 v[22:23], v80 offset:16
	ds_write_b64 v81, v[24:25] offset:1072
	ds_read_b64 v[24:25], v80 offset:24
	ds_write_b64 v81, v[26:27] offset:1608
	s_waitcnt lgkmcnt(0)
	s_barrier
	ds_read2_b64 v[66:69], v79 offset1:1
	ds_read2_b64 v[70:73], v79 offset0:2 offset1:3
	s_waitcnt lgkmcnt(0)
	s_barrier
	flat_load_dwordx2 v[32:33], v[34:35]
	flat_load_dwordx2 v[30:31], v[36:37]
	;; [unrolled: 1-line block ×4, first 2 shown]
	ds_read_b64 v[36:37], v76
	ds_read_b64 v[34:35], v80 offset:128
	v_add_f64 v[66:67], v[66:67], 0
	v_add_f64 v[66:67], v[66:67], v[68:69]
	;; [unrolled: 1-line block ×3, first 2 shown]
	s_waitcnt vmcnt(0) lgkmcnt(0)
	v_mul_f64 v[38:39], v[32:33], v[36:37]
	v_mul_f64 v[40:41], v[30:31], v[36:37]
	ds_write_b64 v81, v[38:39]
	v_mul_f64 v[42:43], v[28:29], v[36:37]
	v_mul_f64 v[44:45], v[26:27], v[36:37]
	ds_read_b64 v[36:37], v80 offset:136
	ds_write_b64 v81, v[40:41] offset:536
	ds_read_b64 v[38:39], v80 offset:144
	ds_write_b64 v81, v[42:43] offset:1072
	;; [unrolled: 2-line block ×3, first 2 shown]
	s_waitcnt lgkmcnt(0)
	s_barrier
	ds_read2_b64 v[84:87], v79 offset1:1
	ds_read2_b64 v[88:91], v79 offset0:2 offset1:3
	s_waitcnt lgkmcnt(0)
	s_barrier
	flat_load_dwordx2 v[48:49], v[50:51]
	flat_load_dwordx2 v[46:47], v[52:53]
	;; [unrolled: 1-line block ×4, first 2 shown]
	ds_read_b64 v[52:53], v76
	ds_read_b64 v[50:51], v80 offset:256
	s_waitcnt vmcnt(0) lgkmcnt(0)
	v_mul_f64 v[54:55], v[48:49], v[52:53]
	v_mul_f64 v[56:57], v[46:47], v[52:53]
	ds_write_b64 v81, v[54:55]
	v_mul_f64 v[58:59], v[44:45], v[52:53]
	v_mul_f64 v[60:61], v[42:43], v[52:53]
	ds_read_b64 v[52:53], v80 offset:264
	ds_write_b64 v81, v[56:57] offset:536
	ds_read_b64 v[54:55], v80 offset:272
	ds_write_b64 v81, v[58:59] offset:1072
	;; [unrolled: 2-line block ×3, first 2 shown]
	s_waitcnt lgkmcnt(0)
	s_barrier
	ds_read2_b64 v[92:95], v79 offset1:1
	ds_read2_b64 v[96:99], v79 offset0:2 offset1:3
	s_waitcnt lgkmcnt(0)
	s_barrier
	flat_load_dwordx2 v[64:65], v[100:101]
	flat_load_dwordx2 v[62:63], v[102:103]
	;; [unrolled: 1-line block ×4, first 2 shown]
	v_add_f64 v[100:101], v[66:67], v[72:73]
	v_add_f64 v[66:67], v[84:85], 0
	;; [unrolled: 1-line block ×5, first 2 shown]
	ds_read_b64 v[68:69], v76
	ds_read_b64 v[66:67], v80 offset:384
	v_add_f64 v[70:71], v[92:93], 0
	v_add_f64 v[70:71], v[70:71], v[94:95]
	;; [unrolled: 1-line block ×4, first 2 shown]
	s_waitcnt vmcnt(0) lgkmcnt(0)
	v_mul_f64 v[70:71], v[64:65], v[68:69]
	v_mul_f64 v[72:73], v[62:63], v[68:69]
	ds_write_b64 v81, v[70:71]
	v_mul_f64 v[84:85], v[60:61], v[68:69]
	v_mul_f64 v[86:87], v[58:59], v[68:69]
	ds_read_b64 v[68:69], v80 offset:392
	ds_write_b64 v81, v[72:73] offset:536
	ds_read_b64 v[70:71], v80 offset:400
	ds_write_b64 v81, v[84:85] offset:1072
	;; [unrolled: 2-line block ×3, first 2 shown]
	s_waitcnt lgkmcnt(0)
	s_barrier
	ds_read2_b64 v[84:87], v79 offset1:1
	ds_read2_b64 v[88:91], v79 offset0:2 offset1:3
	s_waitcnt lgkmcnt(0)
	s_barrier
	v_add_f64 v[84:85], v[84:85], 0
	v_add_f64 v[84:85], v[84:85], v[86:87]
	;; [unrolled: 1-line block ×4, first 2 shown]
	ds_write2_b64 v82, v[100:101], v[102:103] offset1:16
	ds_write2_b64 v82, v[92:93], v[84:85] offset0:32 offset1:48
	s_waitcnt lgkmcnt(0)
	s_barrier
	s_and_saveexec_b64 s[46:47], s[0:1]
	s_cbranch_execz .LBB178_73
; %bb.77:                               ;   in Loop: Header=BB178_74 Depth=1
	ds_read2_b64 v[84:87], v77 offset1:1
	ds_read2_b64 v[88:91], v77 offset0:2 offset1:3
	ds_read2_b64 v[92:95], v77 offset0:4 offset1:5
	;; [unrolled: 1-line block ×3, first 2 shown]
	s_waitcnt lgkmcnt(3)
	v_add_f64 v[84:85], v[84:85], v[86:87]
	s_waitcnt lgkmcnt(2)
	v_add_f64 v[84:85], v[84:85], v[88:89]
	v_add_f64 v[84:85], v[84:85], v[90:91]
	s_waitcnt lgkmcnt(1)
	v_add_f64 v[88:89], v[84:85], v[92:93]
	ds_read2_b64 v[84:87], v77 offset0:8 offset1:9
	v_add_f64 v[88:89], v[88:89], v[94:95]
	s_waitcnt lgkmcnt(1)
	v_add_f64 v[92:93], v[88:89], v[96:97]
	ds_read2_b64 v[88:91], v77 offset0:10 offset1:11
	v_add_f64 v[92:93], v[92:93], v[98:99]
	s_waitcnt lgkmcnt(1)
	v_add_f64 v[84:85], v[92:93], v[84:85]
	v_add_f64 v[92:93], v[84:85], v[86:87]
	ds_read2_b64 v[84:87], v77 offset0:12 offset1:13
	s_waitcnt lgkmcnt(1)
	v_add_f64 v[88:89], v[92:93], v[88:89]
	ds_read_b64 v[92:93], v77 offset:112
	ds_read_b64 v[94:95], v78
	v_add_f64 v[88:89], v[88:89], v[90:91]
	s_waitcnt lgkmcnt(2)
	v_add_f64 v[84:85], v[88:89], v[84:85]
	v_add_f64 v[84:85], v[84:85], v[86:87]
	s_waitcnt lgkmcnt(1)
	v_add_f64 v[84:85], v[84:85], v[92:93]
	s_waitcnt lgkmcnt(0)
	v_add_f64 v[84:85], v[84:85], v[94:95]
	v_lshl_add_u64 v[86:87], v[2:3], 3, s[6:7]
	global_store_dwordx2 v[86:87], v[84:85], off
	s_branch .LBB178_73
.LBB178_78:
	s_movk_i32 s0, 0x218
	v_mad_u32_u24 v0, v17, s0, v74
	s_or_b64 s[0:1], s[4:5], vcc
	s_xor_b64 s[0:1], s[0:1], -1
	ds_write_b64 v0, v[18:19]
	s_waitcnt lgkmcnt(0)
	s_barrier
	s_and_saveexec_b64 s[2:3], s[0:1]
	s_cbranch_execz .LBB178_80
; %bb.79:
	ds_read2_b64 v[0:3], v74 offset1:67
	ds_read2_b64 v[4:7], v74 offset0:134 offset1:201
	v_ashrrev_i32_e32 v17, 31, v16
	s_waitcnt lgkmcnt(1)
	v_add_f64 v[0:1], v[0:1], v[2:3]
	s_waitcnt lgkmcnt(0)
	v_add_f64 v[0:1], v[0:1], v[4:5]
	v_add_f64 v[0:1], v[0:1], v[6:7]
	v_lshl_add_u64 v[2:3], v[16:17], 3, s[6:7]
	global_store_dwordx2 v[2:3], v[0:1], off
.LBB178_80:
	s_endpgm
	.section	.rodata,"a",@progbits
	.p2align	6, 0x0
	.amdhsa_kernel _ZL26rocblas_hemvn_kernel_lowerILb0ELi64ELi4ELi33ELi32ELi16EidPKPKdPdEviT6_lT7_lT5_lS6_lS7_lS5_lT8_i
		.amdhsa_group_segment_fixed_size 9600
		.amdhsa_private_segment_fixed_size 0
		.amdhsa_kernarg_size 376
		.amdhsa_user_sgpr_count 2
		.amdhsa_user_sgpr_dispatch_ptr 0
		.amdhsa_user_sgpr_queue_ptr 0
		.amdhsa_user_sgpr_kernarg_segment_ptr 1
		.amdhsa_user_sgpr_dispatch_id 0
		.amdhsa_user_sgpr_kernarg_preload_length 0
		.amdhsa_user_sgpr_kernarg_preload_offset 0
		.amdhsa_user_sgpr_private_segment_size 0
		.amdhsa_uses_dynamic_stack 0
		.amdhsa_enable_private_segment 0
		.amdhsa_system_sgpr_workgroup_id_x 1
		.amdhsa_system_sgpr_workgroup_id_y 0
		.amdhsa_system_sgpr_workgroup_id_z 1
		.amdhsa_system_sgpr_workgroup_info 0
		.amdhsa_system_vgpr_workitem_id 1
		.amdhsa_next_free_vgpr 108
		.amdhsa_next_free_sgpr 48
		.amdhsa_accum_offset 108
		.amdhsa_reserve_vcc 1
		.amdhsa_float_round_mode_32 0
		.amdhsa_float_round_mode_16_64 0
		.amdhsa_float_denorm_mode_32 3
		.amdhsa_float_denorm_mode_16_64 3
		.amdhsa_dx10_clamp 1
		.amdhsa_ieee_mode 1
		.amdhsa_fp16_overflow 0
		.amdhsa_tg_split 0
		.amdhsa_exception_fp_ieee_invalid_op 0
		.amdhsa_exception_fp_denorm_src 0
		.amdhsa_exception_fp_ieee_div_zero 0
		.amdhsa_exception_fp_ieee_overflow 0
		.amdhsa_exception_fp_ieee_underflow 0
		.amdhsa_exception_fp_ieee_inexact 0
		.amdhsa_exception_int_div_zero 0
	.end_amdhsa_kernel
	.section	.text._ZL26rocblas_hemvn_kernel_lowerILb0ELi64ELi4ELi33ELi32ELi16EidPKPKdPdEviT6_lT7_lT5_lS6_lS7_lS5_lT8_i,"axG",@progbits,_ZL26rocblas_hemvn_kernel_lowerILb0ELi64ELi4ELi33ELi32ELi16EidPKPKdPdEviT6_lT7_lT5_lS6_lS7_lS5_lT8_i,comdat
.Lfunc_end178:
	.size	_ZL26rocblas_hemvn_kernel_lowerILb0ELi64ELi4ELi33ELi32ELi16EidPKPKdPdEviT6_lT7_lT5_lS6_lS7_lS5_lT8_i, .Lfunc_end178-_ZL26rocblas_hemvn_kernel_lowerILb0ELi64ELi4ELi33ELi32ELi16EidPKPKdPdEviT6_lT7_lT5_lS6_lS7_lS5_lT8_i
                                        ; -- End function
	.section	.AMDGPU.csdata,"",@progbits
; Kernel info:
; codeLenInByte = 5768
; NumSgprs: 54
; NumVgprs: 108
; NumAgprs: 0
; TotalNumVgprs: 108
; ScratchSize: 0
; MemoryBound: 0
; FloatMode: 240
; IeeeMode: 1
; LDSByteSize: 9600 bytes/workgroup (compile time only)
; SGPRBlocks: 6
; VGPRBlocks: 13
; NumSGPRsForWavesPerEU: 54
; NumVGPRsForWavesPerEU: 108
; AccumOffset: 108
; Occupancy: 4
; WaveLimiterHint : 1
; COMPUTE_PGM_RSRC2:SCRATCH_EN: 0
; COMPUTE_PGM_RSRC2:USER_SGPR: 2
; COMPUTE_PGM_RSRC2:TRAP_HANDLER: 0
; COMPUTE_PGM_RSRC2:TGID_X_EN: 1
; COMPUTE_PGM_RSRC2:TGID_Y_EN: 0
; COMPUTE_PGM_RSRC2:TGID_Z_EN: 1
; COMPUTE_PGM_RSRC2:TIDIG_COMP_CNT: 1
; COMPUTE_PGM_RSRC3_GFX90A:ACCUM_OFFSET: 26
; COMPUTE_PGM_RSRC3_GFX90A:TG_SPLIT: 0
	.section	.text._ZL36rocblas_hemvn_kernel_lower_block_sumILi64EidPKPddEviT1_lS3_lT2_lT0_lPT3_i,"axG",@progbits,_ZL36rocblas_hemvn_kernel_lower_block_sumILi64EidPKPddEviT1_lS3_lT2_lT0_lPT3_i,comdat
	.globl	_ZL36rocblas_hemvn_kernel_lower_block_sumILi64EidPKPddEviT1_lS3_lT2_lT0_lPT3_i ; -- Begin function _ZL36rocblas_hemvn_kernel_lower_block_sumILi64EidPKPddEviT1_lS3_lT2_lT0_lPT3_i
	.p2align	8
	.type	_ZL36rocblas_hemvn_kernel_lower_block_sumILi64EidPKPddEviT1_lS3_lT2_lT0_lPT3_i,@function
_ZL36rocblas_hemvn_kernel_lower_block_sumILi64EidPKPddEviT1_lS3_lT2_lT0_lPT3_i: ; @_ZL36rocblas_hemvn_kernel_lower_block_sumILi64EidPKPddEviT1_lS3_lT2_lT0_lPT3_i
; %bb.0:
	s_load_dwordx2 s[8:9], s[0:1], 0x8
	s_load_dwordx2 s[10:11], s[0:1], 0x18
	s_waitcnt lgkmcnt(0)
	v_cmp_eq_f64_e64 s[4:5], s[8:9], 0
	v_cmp_eq_f64_e64 s[6:7], s[10:11], 1.0
	s_and_b64 s[4:5], s[4:5], s[6:7]
	s_and_b64 vcc, exec, s[4:5]
	s_cbranch_vccnz .LBB179_19
; %bb.1:
	s_mov_b32 s14, s3
	s_load_dwordx4 s[4:7], s[0:1], 0x28
	s_load_dword s3, s[0:1], 0x38
	s_load_dword s16, s[0:1], 0x0
	s_mov_b32 s15, 0
	s_lshl_b64 s[12:13], s[14:15], 3
	s_waitcnt lgkmcnt(0)
	s_add_u32 s4, s4, s12
	s_addc_u32 s5, s5, s13
	s_load_dwordx2 s[4:5], s[4:5], 0x0
	s_lshl_b64 s[6:7], s[6:7], 3
	v_lshl_or_b32 v6, s2, 6, v0
	v_cmp_neq_f64_e64 s[18:19], s[8:9], 0
	s_mov_b64 s[12:13], 0
	s_waitcnt lgkmcnt(0)
	s_add_u32 s6, s4, s6
	s_addc_u32 s7, s5, s7
	s_and_b64 vcc, exec, s[18:19]
	v_cmp_gt_i32_e64 s[4:5], s16, v6
	s_cbranch_vccnz .LBB179_6
; %bb.2:
	s_mov_b64 s[18:19], 0
                                        ; implicit-def: $vgpr2_vgpr3
                                        ; implicit-def: $vgpr0_vgpr1
	s_and_saveexec_b64 s[20:21], s[4:5]
	s_cbranch_execz .LBB179_7
; %bb.3:
	v_cmp_eq_f64_e64 s[4:5], s[10:11], 0
	v_mul_lo_u32 v0, v6, s3
	v_mov_b64_e32 v[2:3], 0
	v_ashrrev_i32_e32 v1, 31, v0
	s_and_b64 vcc, exec, s[4:5]
	s_cbranch_vccnz .LBB179_5
; %bb.4:
	v_lshl_add_u64 v[2:3], v[0:1], 3, s[6:7]
	global_load_dwordx2 v[2:3], v[2:3], off
	s_waitcnt vmcnt(0)
	v_mul_f64 v[2:3], v[2:3], s[10:11]
.LBB179_5:
	s_mov_b64 s[12:13], exec
	s_or_b64 exec, exec, s[20:21]
	s_and_b64 vcc, exec, s[18:19]
	s_cbranch_vccnz .LBB179_8
	s_branch .LBB179_17
.LBB179_6:
                                        ; implicit-def: $vgpr2_vgpr3
                                        ; implicit-def: $vgpr0_vgpr1
	s_cbranch_execnz .LBB179_8
	s_branch .LBB179_17
.LBB179_7:
	s_or_b64 exec, exec, s[20:21]
	s_and_b64 vcc, exec, s[18:19]
	s_cbranch_vccz .LBB179_17
.LBB179_8:
	v_cmp_gt_i32_e32 vcc, s16, v6
                                        ; implicit-def: $vgpr2_vgpr3
                                        ; implicit-def: $vgpr0_vgpr1
	s_and_saveexec_b64 s[4:5], vcc
	s_cbranch_execz .LBB179_16
; %bb.9:
	s_load_dword s15, s[0:1], 0x58
	v_mov_b64_e32 v[4:5], 0
	s_waitcnt lgkmcnt(0)
	s_cmp_ge_i32 s2, s15
	s_cbranch_scc1 .LBB179_12
; %bb.10:
	s_ashr_i32 s17, s16, 31
	s_mul_i32 s18, s2, s16
	s_load_dwordx2 s[0:1], s[0:1], 0x48
	v_add_u32_e32 v0, s18, v6
	s_mul_hi_u32 s18, s16, s14
	s_mul_i32 s19, s17, s14
	s_add_i32 s18, s18, s19
	s_mul_i32 s14, s16, s14
	s_mul_i32 s18, s18, s15
	s_mul_hi_u32 s19, s14, s15
	s_add_i32 s19, s19, s18
	s_mul_i32 s18, s14, s15
	s_lshl_b64 s[18:19], s[18:19], 3
	s_waitcnt lgkmcnt(0)
	s_add_u32 s0, s0, s18
	v_ashrrev_i32_e32 v1, 31, v0
	s_addc_u32 s1, s1, s19
	v_lshl_add_u64 v[0:1], v[0:1], 3, s[0:1]
	s_lshl_b64 s[0:1], s[16:17], 3
	v_mov_b64_e32 v[4:5], 0
.LBB179_11:                             ; =>This Inner Loop Header: Depth=1
	global_load_dwordx2 v[2:3], v[0:1], off
	s_add_i32 s2, s2, 1
	v_lshl_add_u64 v[0:1], v[0:1], 0, s[0:1]
	s_cmp_ge_i32 s2, s15
	s_waitcnt vmcnt(0)
	v_add_f64 v[4:5], v[4:5], v[2:3]
	s_cbranch_scc0 .LBB179_11
.LBB179_12:
	v_cmp_eq_f64_e64 s[14:15], s[10:11], 0
	v_mul_lo_u32 v0, v6, s3
	s_mov_b64 s[0:1], 0
	s_and_b64 vcc, exec, s[14:15]
	v_ashrrev_i32_e32 v1, 31, v0
	s_cbranch_vccz .LBB179_20
; %bb.13:
	v_mul_f64 v[2:3], v[4:5], s[8:9]
	s_andn2_b64 vcc, exec, s[0:1]
	s_cbranch_vccnz .LBB179_15
.LBB179_14:
	v_lshl_add_u64 v[2:3], v[0:1], 3, s[6:7]
	global_load_dwordx2 v[2:3], v[2:3], off
	s_waitcnt vmcnt(0)
	v_mul_f64 v[2:3], v[2:3], s[10:11]
	v_fmac_f64_e32 v[2:3], s[8:9], v[4:5]
.LBB179_15:
	s_or_b64 s[12:13], s[12:13], exec
.LBB179_16:
	s_or_b64 exec, exec, s[4:5]
.LBB179_17:
	s_and_saveexec_b64 s[0:1], s[12:13]
	s_cbranch_execz .LBB179_19
; %bb.18:
	v_lshl_add_u64 v[0:1], v[0:1], 3, s[6:7]
	global_store_dwordx2 v[0:1], v[2:3], off
.LBB179_19:
	s_endpgm
.LBB179_20:
                                        ; implicit-def: $vgpr2_vgpr3
	s_branch .LBB179_14
	.section	.rodata,"a",@progbits
	.p2align	6, 0x0
	.amdhsa_kernel _ZL36rocblas_hemvn_kernel_lower_block_sumILi64EidPKPddEviT1_lS3_lT2_lT0_lPT3_i
		.amdhsa_group_segment_fixed_size 0
		.amdhsa_private_segment_fixed_size 0
		.amdhsa_kernarg_size 344
		.amdhsa_user_sgpr_count 2
		.amdhsa_user_sgpr_dispatch_ptr 0
		.amdhsa_user_sgpr_queue_ptr 0
		.amdhsa_user_sgpr_kernarg_segment_ptr 1
		.amdhsa_user_sgpr_dispatch_id 0
		.amdhsa_user_sgpr_kernarg_preload_length 0
		.amdhsa_user_sgpr_kernarg_preload_offset 0
		.amdhsa_user_sgpr_private_segment_size 0
		.amdhsa_uses_dynamic_stack 0
		.amdhsa_enable_private_segment 0
		.amdhsa_system_sgpr_workgroup_id_x 1
		.amdhsa_system_sgpr_workgroup_id_y 0
		.amdhsa_system_sgpr_workgroup_id_z 1
		.amdhsa_system_sgpr_workgroup_info 0
		.amdhsa_system_vgpr_workitem_id 0
		.amdhsa_next_free_vgpr 7
		.amdhsa_next_free_sgpr 22
		.amdhsa_accum_offset 8
		.amdhsa_reserve_vcc 1
		.amdhsa_float_round_mode_32 0
		.amdhsa_float_round_mode_16_64 0
		.amdhsa_float_denorm_mode_32 3
		.amdhsa_float_denorm_mode_16_64 3
		.amdhsa_dx10_clamp 1
		.amdhsa_ieee_mode 1
		.amdhsa_fp16_overflow 0
		.amdhsa_tg_split 0
		.amdhsa_exception_fp_ieee_invalid_op 0
		.amdhsa_exception_fp_denorm_src 0
		.amdhsa_exception_fp_ieee_div_zero 0
		.amdhsa_exception_fp_ieee_overflow 0
		.amdhsa_exception_fp_ieee_underflow 0
		.amdhsa_exception_fp_ieee_inexact 0
		.amdhsa_exception_int_div_zero 0
	.end_amdhsa_kernel
	.section	.text._ZL36rocblas_hemvn_kernel_lower_block_sumILi64EidPKPddEviT1_lS3_lT2_lT0_lPT3_i,"axG",@progbits,_ZL36rocblas_hemvn_kernel_lower_block_sumILi64EidPKPddEviT1_lS3_lT2_lT0_lPT3_i,comdat
.Lfunc_end179:
	.size	_ZL36rocblas_hemvn_kernel_lower_block_sumILi64EidPKPddEviT1_lS3_lT2_lT0_lPT3_i, .Lfunc_end179-_ZL36rocblas_hemvn_kernel_lower_block_sumILi64EidPKPddEviT1_lS3_lT2_lT0_lPT3_i
                                        ; -- End function
	.section	.AMDGPU.csdata,"",@progbits
; Kernel info:
; codeLenInByte = 552
; NumSgprs: 28
; NumVgprs: 7
; NumAgprs: 0
; TotalNumVgprs: 7
; ScratchSize: 0
; MemoryBound: 0
; FloatMode: 240
; IeeeMode: 1
; LDSByteSize: 0 bytes/workgroup (compile time only)
; SGPRBlocks: 3
; VGPRBlocks: 0
; NumSGPRsForWavesPerEU: 28
; NumVGPRsForWavesPerEU: 7
; AccumOffset: 8
; Occupancy: 8
; WaveLimiterHint : 1
; COMPUTE_PGM_RSRC2:SCRATCH_EN: 0
; COMPUTE_PGM_RSRC2:USER_SGPR: 2
; COMPUTE_PGM_RSRC2:TRAP_HANDLER: 0
; COMPUTE_PGM_RSRC2:TGID_X_EN: 1
; COMPUTE_PGM_RSRC2:TGID_Y_EN: 0
; COMPUTE_PGM_RSRC2:TGID_Z_EN: 1
; COMPUTE_PGM_RSRC2:TIDIG_COMP_CNT: 0
; COMPUTE_PGM_RSRC3_GFX90A:ACCUM_OFFSET: 1
; COMPUTE_PGM_RSRC3_GFX90A:TG_SPLIT: 0
	.section	.text._ZL26rocblas_hemvn_kernel_upperILb0ELi64ELi4ELi33ELi32ELi16ElPK19rocblas_complex_numIfEPKS3_PS1_EviT6_lT7_lT5_lS8_lS9_lS7_lT8_i,"axG",@progbits,_ZL26rocblas_hemvn_kernel_upperILb0ELi64ELi4ELi33ELi32ELi16ElPK19rocblas_complex_numIfEPKS3_PS1_EviT6_lT7_lT5_lS8_lS9_lS7_lT8_i,comdat
	.globl	_ZL26rocblas_hemvn_kernel_upperILb0ELi64ELi4ELi33ELi32ELi16ElPK19rocblas_complex_numIfEPKS3_PS1_EviT6_lT7_lT5_lS8_lS9_lS7_lT8_i ; -- Begin function _ZL26rocblas_hemvn_kernel_upperILb0ELi64ELi4ELi33ELi32ELi16ElPK19rocblas_complex_numIfEPKS3_PS1_EviT6_lT7_lT5_lS8_lS9_lS7_lT8_i
	.p2align	8
	.type	_ZL26rocblas_hemvn_kernel_upperILb0ELi64ELi4ELi33ELi32ELi16ElPK19rocblas_complex_numIfEPKS3_PS1_EviT6_lT7_lT5_lS8_lS9_lS7_lT8_i,@function
_ZL26rocblas_hemvn_kernel_upperILb0ELi64ELi4ELi33ELi32ELi16ElPK19rocblas_complex_numIfEPKS3_PS1_EviT6_lT7_lT5_lS8_lS9_lS7_lT8_i: ; @_ZL26rocblas_hemvn_kernel_upperILb0ELi64ELi4ELi33ELi32ELi16ElPK19rocblas_complex_numIfEPKS3_PS1_EviT6_lT7_lT5_lS8_lS9_lS7_lT8_i
; %bb.0:
	s_load_dwordx2 s[4:5], s[0:1], 0x84
	s_add_u32 s12, s0, 0x78
	s_mov_b32 s24, s3
	s_addc_u32 s13, s1, 0
	s_waitcnt lgkmcnt(0)
	s_and_b32 s3, s5, 0xffff
	s_lshr_b32 s5, s4, 16
	s_and_b32 s4, s4, 0xffff
	s_mul_i32 s4, s5, s4
	s_mul_i32 s4, s4, s3
	s_cmpk_lg_i32 s4, 0x100
	s_cbranch_scc1 .LBB180_154
; %bb.1:
	s_load_dwordx8 s[4:11], s[0:1], 0x8
	s_mov_b32 s25, 0
	s_waitcnt lgkmcnt(0)
	s_mul_i32 s3, s24, s7
	s_mul_hi_u32 s7, s24, s6
	s_add_i32 s7, s7, s3
	s_mul_i32 s6, s24, s6
	s_lshl_b64 s[6:7], s[6:7], 3
	s_add_u32 s14, s4, s6
	s_addc_u32 s15, s5, s7
	s_load_dwordx2 s[16:17], s[14:15], 0x0
	s_load_dwordx2 s[26:27], s[0:1], 0x68
	;; [unrolled: 1-line block ×3, first 2 shown]
	s_load_dwordx4 s[4:7], s[0:1], 0x58
	s_waitcnt lgkmcnt(0)
	s_or_b32 s3, s16, s17
	s_bitset0_b32 s3, 31
	s_cmp_lg_u32 s3, 0
	s_cselect_b64 s[14:15], -1, 0
	s_and_b64 vcc, exec, s[14:15]
	s_cbranch_vccnz .LBB180_4
; %bb.2:
	s_mul_i32 s3, s24, s7
	s_mul_hi_u32 s7, s24, s6
	s_add_i32 s7, s7, s3
	s_mul_i32 s6, s24, s6
	s_lshl_b64 s[6:7], s[6:7], 3
	s_add_u32 s4, s4, s6
	s_addc_u32 s5, s5, s7
	s_load_dwordx2 s[4:5], s[4:5], 0x0
	s_mov_b64 s[16:17], 0
	s_waitcnt lgkmcnt(0)
	v_cmp_eq_f32_e64 s[6:7], s4, 1.0
	v_cmp_eq_f32_e64 s[4:5], s5, 0
	s_and_b64 s[4:5], s[6:7], s[4:5]
	s_andn2_b64 vcc, exec, s[4:5]
	s_mov_b64 s[4:5], 0
                                        ; implicit-def: $sgpr6_sgpr7
	s_cbranch_vccz .LBB180_5
; %bb.3:
	s_mov_b64 s[4:5], -1
	s_mov_b64 s[6:7], 0
	s_branch .LBB180_5
.LBB180_4:
	s_mov_b64 s[16:17], -1
	s_mov_b64 s[4:5], 0
                                        ; implicit-def: $sgpr6_sgpr7
.LBB180_5:
	s_and_b64 vcc, exec, s[16:17]
	s_cbranch_vccz .LBB180_7
; %bb.6:
	s_lshl_b64 s[4:5], s[24:25], 3
	s_add_u32 s4, s8, s4
	s_addc_u32 s5, s9, s5
	s_load_dwordx2 s[4:5], s[4:5], 0x0
	s_lshl_b64 s[6:7], s[10:11], 3
	s_waitcnt lgkmcnt(0)
	s_add_u32 s6, s4, s6
	s_addc_u32 s7, s5, s7
	s_mov_b64 s[4:5], -1
.LBB180_7:
	s_andn2_b64 vcc, exec, s[4:5]
	s_cbranch_vccnz .LBB180_154
; %bb.8:
	s_load_dwordx4 s[8:11], s[0:1], 0x38
	s_load_dwordx2 s[16:17], s[0:1], 0x48
	v_cndmask_b32_e64 v1, 0, 1, s[14:15]
	v_cmp_ne_u32_e64 s[4:5], 1, v1
	s_andn2_b64 vcc, exec, s[14:15]
	s_mov_b64 s[14:15], 0
	s_cbranch_vccnz .LBB180_10
; %bb.9:
	s_lshl_b64 s[14:15], s[24:25], 3
	s_waitcnt lgkmcnt(0)
	s_add_u32 s8, s8, s14
	s_addc_u32 s9, s9, s15
	s_load_dwordx2 s[8:9], s[8:9], 0x0
	s_lshl_b64 s[10:11], s[10:11], 3
	s_waitcnt lgkmcnt(0)
	s_add_u32 s14, s8, s10
	s_addc_u32 s15, s9, s11
.LBB180_10:
	s_and_b64 vcc, exec, s[4:5]
	s_cbranch_vccnz .LBB180_154
; %bb.11:
	s_load_dword s3, s[12:13], 0x0
	s_load_dword s25, s[0:1], 0x0
	v_and_b32_e32 v122, 0x3ff, v0
	s_lshl_b32 s28, s2, 6
	v_add_u32_e32 v28, s28, v122
	s_waitcnt lgkmcnt(0)
	s_add_i32 s0, s3, -1
	s_ashr_i32 s36, s25, 31
	s_lshr_b32 s1, s36, 26
	s_add_i32 s1, s25, s1
	s_andn2_b32 s1, s1, 63
	s_sub_i32 s33, s25, s1
	v_ashrrev_i32_e32 v29, 31, v28
	v_bfe_u32 v123, v0, 10, 10
	s_cmp_eq_u32 s2, s0
	v_mul_lo_u32 v2, v29, s16
	v_mul_lo_u32 v3, v28, s17
	v_mad_u64_u32 v[0:1], s[0:1], v28, s16, 0
	v_add3_u32 v1, v1, v3, v2
	s_cselect_b32 s18, s33, 0
	v_lshl_add_u64 v[12:13], v[0:1], 3, s[14:15]
	v_cmp_eq_u32_e64 s[0:1], 0, v123
	s_and_saveexec_b64 s[4:5], s[0:1]
	s_cbranch_execz .LBB180_16
; %bb.12:
	s_cmp_lg_u32 s18, 0
	s_cselect_b64 s[8:9], -1, 0
	v_cmp_le_i32_e32 vcc, s18, v122
	v_mov_b32_e32 v0, 0x2380
	s_and_b64 s[8:9], s[8:9], vcc
	v_lshl_add_u32 v0, v122, 3, v0
	s_and_saveexec_b64 s[10:11], s[8:9]
	s_xor_b64 s[8:9], exec, s[10:11]
	s_cbranch_execz .LBB180_14
; %bb.13:
	v_mov_b32_e32 v2, 0
	v_mov_b32_e32 v3, v2
	ds_write_b64 v0, v[2:3]
                                        ; implicit-def: $vgpr0
.LBB180_14:
	s_andn2_saveexec_b64 s[8:9], s[8:9]
	s_cbranch_execz .LBB180_16
; %bb.15:
	flat_load_dwordx2 v[2:3], v[12:13]
	s_waitcnt vmcnt(0) lgkmcnt(0)
	ds_write_b64 v0, v[2:3]
.LBB180_16:
	s_or_b64 exec, exec, s[4:5]
	s_ashr_i32 s29, s28, 31
	v_lshl_add_u32 v22, v123, 6, v122
	s_lshl_b64 s[4:5], s[28:29], 3
	v_and_b32_e32 v0, 31, v122
	v_lshrrev_b32_e32 v18, 5, v22
	s_add_u32 s6, s6, s4
	v_mov_b32_e32 v1, 0
	s_addc_u32 s7, s7, s5
	v_mad_u64_u32 v[14:15], s[4:5], v18, s22, v[0:1]
	v_mov_b32_e32 v2, v15
	v_mad_u64_u32 v[2:3], s[4:5], v18, s23, v[2:3]
	s_mul_i32 s4, s28, s23
	s_mul_hi_u32 s5, s28, s22
	s_add_i32 s4, s5, s4
	s_mul_i32 s5, s29, s22
	s_add_i32 s5, s4, s5
	s_mul_i32 s4, s28, s22
	s_lshl_b64 s[4:5], s[4:5], 3
	s_add_u32 s4, s4, s6
	s_addc_u32 s5, s5, s7
	s_cmp_eq_u32 s18, 0
	s_cselect_b64 s[20:21], -1, 0
	s_cmp_lg_u32 s18, 0
	v_mov_b32_e32 v15, v2
	s_cselect_b64 s[30:31], -1, 0
	v_lshl_add_u64 v[4:5], v[14:15], 3, s[4:5]
	s_and_b64 vcc, exec, s[30:31]
	v_cmp_gt_i32_e64 s[4:5], s18, v0
	v_lshlrev_b32_e32 v2, 3, v0
	s_mul_i32 s37, s23, 0xc0
	s_cbranch_vccz .LBB180_32
; %bb.17:
	v_sub_co_u32_e32 v6, vcc, v4, v2
	s_ashr_i32 s19, s18, 31
	s_nop 0
	v_subbrev_co_u32_e32 v7, vcc, 0, v5, vcc
	v_lshl_add_u64 v[6:7], s[18:19], 3, v[6:7]
	v_lshl_add_u64 v[6:7], v[6:7], 0, -8
	v_cndmask_b32_e64 v7, v7, v5, s[4:5]
	v_cndmask_b32_e64 v6, v6, v4, s[4:5]
	v_cmp_gt_i32_e32 vcc, s18, v18
	v_mov_b32_e32 v9, 0
	s_and_saveexec_b64 s[6:7], vcc
	s_cbranch_execz .LBB180_19
; %bb.18:
	flat_load_dwordx2 v[8:9], v[6:7]
	s_waitcnt vmcnt(0) lgkmcnt(0)
	v_mov_b32_e32 v1, v8
.LBB180_19:
	s_or_b64 exec, exec, s[6:7]
	v_mul_u32_u24_e32 v3, 33, v18
	v_mov_b32_e32 v8, v1
	v_add_u32_e32 v1, 8, v18
	v_add_lshl_u32 v3, v3, v0, 3
	v_cmp_le_i32_e32 vcc, s18, v1
	ds_write_b64 v3, v[8:9]
	s_and_saveexec_b64 s[6:7], vcc
	s_xor_b64 s[6:7], exec, s[6:7]
	s_cbranch_execz .LBB180_21
; %bb.20:
	v_mul_u32_u24_e32 v1, 33, v1
	v_mov_b32_e32 v8, 0
	v_add_lshl_u32 v1, v1, v0, 3
	v_mov_b32_e32 v9, v8
	ds_write_b64 v1, v[8:9]
.LBB180_21:
	s_andn2_saveexec_b64 s[6:7], s[6:7]
	s_cbranch_execz .LBB180_23
; %bb.22:
	s_lshl_b64 s[8:9], s[22:23], 6
	v_lshl_add_u64 v[8:9], v[6:7], 0, s[8:9]
	flat_load_dwordx2 v[8:9], v[8:9]
	s_waitcnt vmcnt(0) lgkmcnt(0)
	ds_write_b64 v3, v[8:9] offset:2112
.LBB180_23:
	s_or_b64 exec, exec, s[6:7]
	v_add_u32_e32 v1, 16, v18
	v_cmp_le_i32_e32 vcc, s18, v1
	s_and_saveexec_b64 s[6:7], vcc
	s_xor_b64 s[6:7], exec, s[6:7]
	s_cbranch_execz .LBB180_25
; %bb.24:
	v_mov_b32_e32 v8, 0
	v_mov_b32_e32 v9, v8
	ds_write_b64 v3, v[8:9] offset:4224
.LBB180_25:
	s_andn2_saveexec_b64 s[6:7], s[6:7]
	s_cbranch_execz .LBB180_27
; %bb.26:
	s_lshl_b64 s[8:9], s[22:23], 7
	v_lshl_add_u64 v[8:9], v[6:7], 0, s[8:9]
	flat_load_dwordx2 v[8:9], v[8:9]
	s_waitcnt vmcnt(0) lgkmcnt(0)
	ds_write_b64 v3, v[8:9] offset:4224
.LBB180_27:
	s_or_b64 exec, exec, s[6:7]
	v_add_u32_e32 v1, 24, v18
	v_cmp_le_i32_e32 vcc, s18, v1
	s_and_saveexec_b64 s[6:7], vcc
	s_xor_b64 s[6:7], exec, s[6:7]
	s_cbranch_execz .LBB180_29
; %bb.28:
	v_mov_b32_e32 v8, 0
	v_mov_b32_e32 v9, v8
	ds_write_b64 v3, v[8:9] offset:6336
                                        ; implicit-def: $vgpr3
.LBB180_29:
	s_andn2_saveexec_b64 s[6:7], s[6:7]
	s_cbranch_execz .LBB180_31
; %bb.30:
	v_mov_b32_e32 v1, 0xc0
	v_mad_u64_u32 v[8:9], s[8:9], s22, v1, v[6:7]
	v_add_u32_e32 v9, s37, v9
	flat_load_dwordx2 v[8:9], v[8:9]
	s_waitcnt vmcnt(0) lgkmcnt(0)
	ds_write_b64 v3, v[8:9] offset:6336
.LBB180_31:
	s_or_b64 exec, exec, s[6:7]
	v_mov_b32_e32 v3, 0
	v_lshl_add_u64 v[6:7], v[6:7], 0, v[2:3]
	s_lshl_b64 s[6:7], s[18:19], 3
	v_mov_b32_e32 v1, s7
	v_subrev_co_u32_e32 v6, vcc, s6, v6
	s_nop 1
	v_subb_co_u32_e32 v7, vcc, v7, v1, vcc
	v_lshl_add_u64 v[6:7], v[6:7], 0, 8
	v_cndmask_b32_e64 v7, v7, v5, s[4:5]
	v_cndmask_b32_e64 v6, v6, v4, s[4:5]
	v_mul_u32_u24_e32 v19, 33, v18
	s_branch .LBB180_34
.LBB180_32:
                                        ; implicit-def: $vgpr6_vgpr7
	v_mul_u32_u24_e32 v19, 33, v18
	s_cbranch_execz .LBB180_34
; %bb.33:
	flat_load_dwordx2 v[6:7], v[4:5]
	v_add_lshl_u32 v1, v19, v0, 3
	s_lshl_b64 s[4:5], s[22:23], 6
	v_lshl_add_u64 v[8:9], v[4:5], 0, s[4:5]
	v_mov_b32_e32 v3, 0xc0
	s_waitcnt vmcnt(0) lgkmcnt(0)
	ds_write_b64 v1, v[6:7]
	flat_load_dwordx2 v[6:7], v[8:9]
	v_lshl_add_u64 v[8:9], v[8:9], 0, s[4:5]
	s_waitcnt vmcnt(0) lgkmcnt(0)
	ds_write_b64 v1, v[6:7] offset:2112
	flat_load_dwordx2 v[6:7], v[8:9]
	v_mad_u64_u32 v[8:9], s[4:5], s22, v3, v[4:5]
	v_add_u32_e32 v9, s37, v9
	s_waitcnt vmcnt(0) lgkmcnt(0)
	ds_write_b64 v1, v[6:7] offset:4224
	flat_load_dwordx2 v[6:7], v[8:9]
	s_waitcnt vmcnt(0) lgkmcnt(0)
	ds_write_b64 v1, v[6:7] offset:6336
	v_mov_b64_e32 v[6:7], v[4:5]
.LBB180_34:
	v_lshlrev_b32_e32 v3, 2, v18
	v_mul_u32_u24_e32 v1, 33, v0
	v_cmp_gt_u32_e64 s[4:5], v3, v0
	v_add_lshl_u32 v16, v3, v1, 3
	s_waitcnt lgkmcnt(0)
	s_barrier
	s_and_saveexec_b64 s[6:7], s[4:5]
	s_cbranch_execz .LBB180_36
; %bb.35:
	v_mul_u32_u24_e32 v4, 0x84, v18
	v_add_lshl_u32 v4, v4, v0, 3
	ds_read_b64 v[4:5], v4
	s_waitcnt lgkmcnt(0)
	ds_write_b64 v16, v[4:5]
.LBB180_36:
	s_or_b64 exec, exec, s[6:7]
	v_cmp_ge_u32_e64 s[6:7], v3, v0
	s_and_saveexec_b64 s[8:9], s[6:7]
	s_cbranch_execz .LBB180_38
; %bb.37:
	v_or_b32_e32 v4, 1, v3
	v_mul_u32_u24_e32 v4, 33, v4
	v_add_lshl_u32 v4, v4, v0, 3
	ds_read_b64 v[4:5], v4
	s_waitcnt lgkmcnt(0)
	ds_write_b64 v16, v[4:5] offset:8
.LBB180_38:
	s_or_b64 exec, exec, s[8:9]
	v_or_b32_e32 v4, 2, v3
	v_cmp_gt_u32_e64 s[8:9], v4, v0
	s_and_saveexec_b64 s[10:11], s[8:9]
	s_cbranch_execz .LBB180_40
; %bb.39:
	v_mul_u32_u24_e32 v4, 33, v4
	v_add_lshl_u32 v4, v4, v0, 3
	ds_read_b64 v[4:5], v4
	s_waitcnt lgkmcnt(0)
	ds_write_b64 v16, v[4:5] offset:16
.LBB180_40:
	s_or_b64 exec, exec, s[10:11]
	v_or_b32_e32 v4, 3, v3
	v_cmp_gt_u32_e64 s[10:11], v4, v0
	v_mad_u32_u24 v4, v4, 33, v0
	v_lshlrev_b32_e32 v25, 3, v4
	s_and_saveexec_b64 s[12:13], s[10:11]
	s_cbranch_execz .LBB180_42
; %bb.41:
	ds_read_b64 v[4:5], v25
	s_waitcnt lgkmcnt(0)
	ds_write_b64 v16, v[4:5] offset:24
.LBB180_42:
	s_or_b64 exec, exec, s[12:13]
	v_mul_u32_u24_e32 v4, 0x84, v18
	v_add_lshl_u32 v20, v4, v0, 3
	s_waitcnt lgkmcnt(0)
	s_barrier
	v_lshlrev_b32_e32 v17, 3, v3
	v_add_u32_e32 v21, 0xfffffdf0, v25
	ds_read_b64 v[4:5], v20
	ds_read_b128 v[8:11], v17 offset:9088
	ds_read2_b64 v[30:33], v21 offset1:33
	ds_read_b64 v[26:27], v25
	ds_read_b128 v[34:37], v17 offset:9104
	s_mov_b32 s14, 0
	s_mov_b32 s15, s14
	s_waitcnt lgkmcnt(3)
	v_pk_mul_f32 v[38:39], v[8:9], v[4:5] op_sel:[0,1]
	v_add_lshl_u32 v23, v18, v1, 3
	v_pk_fma_f32 v[40:41], v[8:9], v[4:5], v[38:39] op_sel:[0,0,1] op_sel_hi:[1,1,0] neg_lo:[0,0,1] neg_hi:[0,0,1]
	v_pk_fma_f32 v[4:5], v[8:9], v[4:5], v[38:39] op_sel:[0,0,1] op_sel_hi:[1,0,0]
	s_waitcnt lgkmcnt(2)
	v_pk_mul_f32 v[8:9], v[10:11], v[30:31] op_sel:[0,1]
	v_mov_b32_e32 v41, v5
	v_pk_fma_f32 v[38:39], v[10:11], v[30:31], v[8:9] op_sel:[0,0,1] op_sel_hi:[1,1,0] neg_lo:[0,0,1] neg_hi:[0,0,1]
	v_pk_fma_f32 v[8:9], v[10:11], v[30:31], v[8:9] op_sel:[0,0,1] op_sel_hi:[1,0,0]
	v_pk_add_f32 v[4:5], v[40:41], 0 op_sel_hi:[1,0]
	v_mov_b32_e32 v39, v9
	s_waitcnt lgkmcnt(0)
	v_pk_mul_f32 v[8:9], v[34:35], v[32:33] op_sel:[0,1]
	v_pk_add_f32 v[4:5], v[4:5], v[38:39]
	v_pk_fma_f32 v[10:11], v[34:35], v[32:33], v[8:9] op_sel:[0,0,1] op_sel_hi:[1,1,0] neg_lo:[0,0,1] neg_hi:[0,0,1]
	v_pk_fma_f32 v[8:9], v[34:35], v[32:33], v[8:9] op_sel:[0,0,1] op_sel_hi:[1,0,0]
	v_cmp_gt_u32_e64 s[12:13], 32, v22
	v_mov_b32_e32 v11, v9
	v_pk_mul_f32 v[8:9], v[36:37], v[26:27] op_sel:[0,1]
	v_pk_add_f32 v[4:5], v[4:5], v[10:11]
	v_pk_fma_f32 v[10:11], v[36:37], v[26:27], v[8:9] op_sel:[0,0,1] op_sel_hi:[1,1,0] neg_lo:[0,0,1] neg_hi:[0,0,1]
	v_pk_fma_f32 v[8:9], v[36:37], v[26:27], v[8:9] op_sel:[0,0,1] op_sel_hi:[1,0,0]
	v_mov_b64_e32 v[30:31], s[14:15]
	v_mov_b32_e32 v11, v9
	v_pk_add_f32 v[4:5], v[4:5], v[10:11]
	v_lshlrev_b32_e32 v24, 3, v1
	s_barrier
	ds_write_b64 v23, v[4:5]
	s_waitcnt lgkmcnt(0)
	s_barrier
	s_and_saveexec_b64 s[14:15], s[12:13]
	s_cbranch_execz .LBB180_44
; %bb.43:
	ds_read2_b64 v[8:11], v24 offset1:7
	ds_read2_b64 v[30:33], v24 offset0:1 offset1:2
	ds_read2_b64 v[34:37], v24 offset0:3 offset1:4
	s_waitcnt lgkmcnt(1)
	v_add_f32_e32 v3, v30, v8
	v_add_f32_e32 v4, v31, v9
	;; [unrolled: 1-line block ×4, first 2 shown]
	ds_read2_b64 v[30:33], v24 offset0:5 offset1:6
	s_waitcnt lgkmcnt(1)
	v_add_f32_e32 v3, v3, v34
	v_add_f32_e32 v4, v4, v35
	;; [unrolled: 1-line block ×4, first 2 shown]
	s_waitcnt lgkmcnt(0)
	v_add_f32_e32 v3, v3, v30
	v_add_f32_e32 v5, v4, v31
	v_add_f32_e32 v4, v3, v32
	v_add_f32_e32 v5, v5, v33
	v_pk_add_f32 v[30:31], v[4:5], v[10:11]
.LBB180_44:
	s_or_b64 exec, exec, s[14:15]
	s_lshl_b64 s[14:15], s[22:23], 8
	v_lshl_add_u64 v[6:7], v[6:7], 0, s[14:15]
	s_mov_b64 s[14:15], 0x100
	v_lshl_add_u64 v[4:5], v[6:7], 0, s[14:15]
	s_and_b64 vcc, exec, s[30:31]
	s_barrier
	s_cbranch_vccz .LBB180_60
; %bb.45:
	v_or_b32_e32 v3, 32, v0
	v_lshlrev_b32_e32 v8, 3, v3
	v_sub_co_u32_e32 v8, vcc, v4, v8
	s_ashr_i32 s19, s18, 31
	s_nop 0
	v_subbrev_co_u32_e32 v9, vcc, 0, v5, vcc
	v_lshl_add_u64 v[8:9], s[18:19], 3, v[8:9]
	v_lshl_add_u64 v[8:9], v[8:9], 0, -8
	v_cmp_gt_i32_e32 vcc, s18, v3
	s_sub_i32 s38, s18, 32
	v_mov_b32_e32 v10, 0
	v_cndmask_b32_e32 v9, v9, v5, vcc
	v_cndmask_b32_e32 v8, v8, v4, vcc
	v_cmp_gt_i32_e64 s[14:15], s38, v18
	v_mov_b32_e32 v11, v10
	s_and_saveexec_b64 s[34:35], s[14:15]
	s_cbranch_execz .LBB180_47
; %bb.46:
	flat_load_dwordx2 v[10:11], v[8:9]
.LBB180_47:
	s_or_b64 exec, exec, s[34:35]
	v_add_lshl_u32 v3, v19, v0, 3
	s_waitcnt vmcnt(0) lgkmcnt(0)
	ds_write_b64 v3, v[10:11]
	v_add_u32_e32 v10, 8, v18
	v_cmp_le_i32_e64 s[14:15], s38, v10
	s_and_saveexec_b64 s[34:35], s[14:15]
	s_xor_b64 s[14:15], exec, s[34:35]
	s_cbranch_execz .LBB180_49
; %bb.48:
	v_mul_u32_u24_e32 v10, 33, v10
	v_add_lshl_u32 v26, v10, v0, 3
	v_mov_b32_e32 v10, 0
	v_mov_b32_e32 v11, v10
	ds_write_b64 v26, v[10:11]
.LBB180_49:
	s_andn2_saveexec_b64 s[14:15], s[14:15]
	s_cbranch_execz .LBB180_51
; %bb.50:
	s_lshl_b64 s[34:35], s[22:23], 6
	v_lshl_add_u64 v[10:11], v[8:9], 0, s[34:35]
	flat_load_dwordx2 v[10:11], v[10:11]
	s_waitcnt vmcnt(0) lgkmcnt(0)
	ds_write_b64 v3, v[10:11] offset:2112
.LBB180_51:
	s_or_b64 exec, exec, s[14:15]
	v_add_u32_e32 v10, 16, v18
	v_cmp_le_i32_e64 s[14:15], s38, v10
	s_and_saveexec_b64 s[34:35], s[14:15]
	s_xor_b64 s[14:15], exec, s[34:35]
	s_cbranch_execz .LBB180_53
; %bb.52:
	v_mov_b32_e32 v10, 0
	v_mov_b32_e32 v11, v10
	ds_write_b64 v3, v[10:11] offset:4224
.LBB180_53:
	s_andn2_saveexec_b64 s[14:15], s[14:15]
	s_cbranch_execz .LBB180_55
; %bb.54:
	s_lshl_b64 s[34:35], s[22:23], 7
	v_lshl_add_u64 v[10:11], v[8:9], 0, s[34:35]
	flat_load_dwordx2 v[10:11], v[10:11]
	s_waitcnt vmcnt(0) lgkmcnt(0)
	ds_write_b64 v3, v[10:11] offset:4224
.LBB180_55:
	s_or_b64 exec, exec, s[14:15]
	v_add_u32_e32 v10, 24, v18
	v_cmp_le_i32_e64 s[14:15], s38, v10
	s_and_saveexec_b64 s[34:35], s[14:15]
	s_xor_b64 s[14:15], exec, s[34:35]
	s_cbranch_execz .LBB180_57
; %bb.56:
	v_mov_b32_e32 v10, 0
	v_mov_b32_e32 v11, v10
	ds_write_b64 v3, v[10:11] offset:6336
                                        ; implicit-def: $vgpr3
.LBB180_57:
	s_andn2_saveexec_b64 s[14:15], s[14:15]
	s_cbranch_execz .LBB180_59
; %bb.58:
	v_mov_b32_e32 v10, 0xc0
	v_mad_u64_u32 v[10:11], s[34:35], s22, v10, v[8:9]
	v_add_u32_e32 v11, s37, v11
	flat_load_dwordx2 v[10:11], v[10:11]
	s_waitcnt vmcnt(0) lgkmcnt(0)
	ds_write_b64 v3, v[10:11] offset:6336
.LBB180_59:
	s_or_b64 exec, exec, s[14:15]
	v_mov_b32_e32 v3, 0
	v_lshl_add_u64 v[8:9], v[8:9], 0, v[2:3]
	s_lshl_b64 s[14:15], s[18:19], 3
	v_mov_b32_e32 v3, s15
	v_subrev_co_u32_e64 v8, s[14:15], s14, v8
	s_nop 1
	v_subb_co_u32_e64 v9, s[14:15], v9, v3, s[14:15]
	s_mov_b64 s[14:15], 0x108
	s_nop 0
	v_lshl_add_u64 v[8:9], v[8:9], 0, s[14:15]
	v_cndmask_b32_e32 v9, v9, v5, vcc
	v_cndmask_b32_e32 v8, v8, v4, vcc
	s_branch .LBB180_62
.LBB180_60:
                                        ; implicit-def: $vgpr8_vgpr9
	s_cbranch_execz .LBB180_62
; %bb.61:
	flat_load_dwordx2 v[8:9], v[6:7] offset:256
	v_add_lshl_u32 v3, v19, v0, 3
	s_lshl_b64 s[14:15], s[22:23], 6
	v_lshl_add_u64 v[10:11], v[6:7], 0, s[14:15]
	s_waitcnt vmcnt(0) lgkmcnt(0)
	ds_write_b64 v3, v[8:9]
	flat_load_dwordx2 v[8:9], v[10:11] offset:256
	v_lshl_add_u64 v[10:11], v[10:11], 0, s[14:15]
	s_waitcnt vmcnt(0) lgkmcnt(0)
	ds_write_b64 v3, v[8:9] offset:2112
	flat_load_dwordx2 v[8:9], v[10:11] offset:256
	v_mov_b32_e32 v10, 0xc0
	v_mad_u64_u32 v[6:7], s[14:15], s22, v10, v[6:7]
	v_add_u32_e32 v7, s37, v7
	s_waitcnt vmcnt(0) lgkmcnt(0)
	ds_write_b64 v3, v[8:9] offset:4224
	flat_load_dwordx2 v[6:7], v[6:7] offset:256
	v_mov_b64_e32 v[8:9], v[4:5]
	s_waitcnt vmcnt(0) lgkmcnt(0)
	ds_write_b64 v3, v[6:7] offset:6336
.LBB180_62:
	s_waitcnt lgkmcnt(0)
	s_barrier
	s_and_saveexec_b64 s[14:15], s[4:5]
	s_cbranch_execnz .LBB180_85
; %bb.63:
	s_or_b64 exec, exec, s[14:15]
	s_and_saveexec_b64 s[4:5], s[6:7]
	s_cbranch_execnz .LBB180_86
.LBB180_64:
	s_or_b64 exec, exec, s[4:5]
	s_and_saveexec_b64 s[4:5], s[8:9]
	s_cbranch_execnz .LBB180_87
.LBB180_65:
	s_or_b64 exec, exec, s[4:5]
	v_add_u32_e32 v26, 0x2380, v17
	s_and_saveexec_b64 s[4:5], s[10:11]
	s_cbranch_execz .LBB180_67
.LBB180_66:
	ds_read_b64 v[4:5], v25
	s_waitcnt lgkmcnt(0)
	ds_write_b64 v16, v[4:5] offset:24
.LBB180_67:
	s_or_b64 exec, exec, s[4:5]
	s_waitcnt lgkmcnt(0)
	s_barrier
	ds_read_b64 v[10:11], v20
	ds_read_b128 v[4:7], v26 offset:256
	ds_read2_b64 v[32:35], v21 offset1:33
	ds_read_b64 v[16:17], v25
	ds_read_b128 v[36:39], v26 offset:272
	v_cmp_eq_u32_e64 s[4:5], 1, v18
	s_waitcnt lgkmcnt(3)
	v_pk_mul_f32 v[40:41], v[4:5], v[10:11] op_sel:[0,1]
	s_waitcnt lgkmcnt(0)
	v_pk_fma_f32 v[42:43], v[4:5], v[10:11], v[40:41] op_sel:[0,0,1] op_sel_hi:[1,1,0] neg_lo:[0,0,1] neg_hi:[0,0,1]
	v_pk_fma_f32 v[4:5], v[4:5], v[10:11], v[40:41] op_sel:[0,0,1] op_sel_hi:[1,0,0]
	v_pk_mul_f32 v[10:11], v[6:7], v[32:33] op_sel:[0,1]
	v_mov_b32_e32 v43, v5
	v_pk_fma_f32 v[40:41], v[6:7], v[32:33], v[10:11] op_sel:[0,0,1] op_sel_hi:[1,1,0] neg_lo:[0,0,1] neg_hi:[0,0,1]
	v_pk_fma_f32 v[6:7], v[6:7], v[32:33], v[10:11] op_sel:[0,0,1] op_sel_hi:[1,0,0]
	v_pk_add_f32 v[4:5], v[42:43], 0 op_sel_hi:[1,0]
	v_mov_b32_e32 v41, v7
	v_pk_mul_f32 v[6:7], v[36:37], v[34:35] op_sel:[0,1]
	v_pk_add_f32 v[4:5], v[4:5], v[40:41]
	v_pk_fma_f32 v[10:11], v[36:37], v[34:35], v[6:7] op_sel:[0,0,1] op_sel_hi:[1,1,0] neg_lo:[0,0,1] neg_hi:[0,0,1]
	v_pk_fma_f32 v[6:7], v[36:37], v[34:35], v[6:7] op_sel:[0,0,1] op_sel_hi:[1,0,0]
	s_barrier
	v_mov_b32_e32 v11, v7
	v_pk_mul_f32 v[6:7], v[38:39], v[16:17] op_sel:[0,1]
	v_pk_add_f32 v[4:5], v[4:5], v[10:11]
	v_pk_fma_f32 v[10:11], v[38:39], v[16:17], v[6:7] op_sel:[0,0,1] op_sel_hi:[1,1,0] neg_lo:[0,0,1] neg_hi:[0,0,1]
	v_pk_fma_f32 v[6:7], v[38:39], v[16:17], v[6:7] op_sel:[0,0,1] op_sel_hi:[1,0,0]
	s_nop 0
	v_mov_b32_e32 v11, v7
	v_pk_add_f32 v[4:5], v[4:5], v[10:11]
	ds_write_b64 v23, v[4:5]
	s_waitcnt lgkmcnt(0)
	s_barrier
	s_and_saveexec_b64 s[6:7], s[4:5]
	s_cbranch_execz .LBB180_69
; %bb.68:
	ds_read2_b64 v[4:7], v24 offset1:7
	ds_read2_b64 v[30:33], v24 offset0:1 offset1:2
	ds_read2_b64 v[34:37], v24 offset0:3 offset1:4
	s_waitcnt lgkmcnt(1)
	v_add_f32_e32 v3, v30, v4
	v_add_f32_e32 v4, v31, v5
	;; [unrolled: 1-line block ×4, first 2 shown]
	ds_read2_b64 v[30:33], v24 offset0:5 offset1:6
	s_waitcnt lgkmcnt(1)
	v_add_f32_e32 v3, v3, v34
	v_add_f32_e32 v4, v4, v35
	;; [unrolled: 1-line block ×4, first 2 shown]
	s_waitcnt lgkmcnt(0)
	v_add_f32_e32 v4, v3, v30
	v_add_f32_e32 v5, v5, v31
	v_pk_add_f32 v[4:5], v[4:5], v[32:33]
	s_nop 0
	v_pk_add_f32 v[30:31], v[4:5], v[6:7]
.LBB180_69:
	s_or_b64 exec, exec, s[6:7]
	s_movk_i32 s6, 0xff00
	s_mov_b32 s7, -1
	v_lshl_add_u64 v[4:5], v[8:9], 0, s[6:7]
	s_and_b64 vcc, exec, s[30:31]
	s_barrier
	s_cbranch_vccz .LBB180_88
; %bb.70:
	v_sub_co_u32_e32 v6, vcc, v4, v2
	s_ashr_i32 s19, s18, 31
	s_nop 0
	v_subbrev_co_u32_e32 v7, vcc, 0, v5, vcc
	v_lshl_add_u64 v[6:7], s[18:19], 3, v[6:7]
	v_lshl_add_u64 v[6:7], v[6:7], 0, -8
	v_cmp_gt_i32_e32 vcc, s18, v0
	s_sub_i32 s10, s18, 32
	v_mov_b32_e32 v8, 0
	v_cndmask_b32_e32 v7, v7, v5, vcc
	v_cndmask_b32_e32 v6, v6, v4, vcc
	v_cmp_gt_i32_e64 s[6:7], s10, v18
	v_mov_b32_e32 v9, v8
	s_and_saveexec_b64 s[8:9], s[6:7]
	s_cbranch_execz .LBB180_72
; %bb.71:
	flat_load_dwordx2 v[8:9], v[6:7]
.LBB180_72:
	s_or_b64 exec, exec, s[8:9]
	v_add_lshl_u32 v3, v19, v0, 3
	s_waitcnt vmcnt(0) lgkmcnt(0)
	ds_write_b64 v3, v[8:9]
	v_add_u32_e32 v8, 8, v18
	v_cmp_le_i32_e64 s[6:7], s10, v8
	s_and_saveexec_b64 s[8:9], s[6:7]
	s_xor_b64 s[6:7], exec, s[8:9]
	s_cbranch_execz .LBB180_74
; %bb.73:
	v_mul_u32_u24_e32 v9, 33, v8
	v_mov_b32_e32 v10, 0
	v_add_lshl_u32 v9, v9, v0, 3
	v_mov_b32_e32 v11, v10
	ds_write_b64 v9, v[10:11]
.LBB180_74:
	s_andn2_saveexec_b64 s[6:7], s[6:7]
	s_cbranch_execz .LBB180_76
; %bb.75:
	s_lshl_b64 s[8:9], s[22:23], 6
	v_lshl_add_u64 v[10:11], v[6:7], 0, s[8:9]
	flat_load_dwordx2 v[10:11], v[10:11]
	s_waitcnt vmcnt(0) lgkmcnt(0)
	ds_write_b64 v3, v[10:11] offset:2112
.LBB180_76:
	s_or_b64 exec, exec, s[6:7]
	v_add_u32_e32 v9, 16, v18
	v_cmp_le_i32_e64 s[6:7], s10, v9
	s_and_saveexec_b64 s[8:9], s[6:7]
	s_xor_b64 s[6:7], exec, s[8:9]
	s_cbranch_execz .LBB180_78
; %bb.77:
	v_mov_b32_e32 v10, 0
	v_mov_b32_e32 v11, v10
	ds_write_b64 v3, v[10:11] offset:4224
.LBB180_78:
	s_andn2_saveexec_b64 s[6:7], s[6:7]
	s_cbranch_execz .LBB180_80
; %bb.79:
	s_lshl_b64 s[8:9], s[22:23], 7
	v_lshl_add_u64 v[10:11], v[6:7], 0, s[8:9]
	flat_load_dwordx2 v[10:11], v[10:11]
	s_waitcnt vmcnt(0) lgkmcnt(0)
	ds_write_b64 v3, v[10:11] offset:4224
.LBB180_80:
	s_or_b64 exec, exec, s[6:7]
	v_add_u32_e32 v10, 24, v18
	v_cmp_le_i32_e64 s[6:7], s10, v10
	s_and_saveexec_b64 s[8:9], s[6:7]
	s_xor_b64 s[6:7], exec, s[8:9]
	s_cbranch_execz .LBB180_82
; %bb.81:
	v_mov_b32_e32 v16, 0
	v_mov_b32_e32 v17, v16
	ds_write_b64 v3, v[16:17] offset:6336
                                        ; implicit-def: $vgpr3
.LBB180_82:
	s_andn2_saveexec_b64 s[6:7], s[6:7]
	s_cbranch_execz .LBB180_84
; %bb.83:
	v_mov_b32_e32 v11, 0xc0
	v_mad_u64_u32 v[16:17], s[8:9], s22, v11, v[6:7]
	v_add_u32_e32 v17, s37, v17
	flat_load_dwordx2 v[16:17], v[16:17]
	s_waitcnt vmcnt(0) lgkmcnt(0)
	ds_write_b64 v3, v[16:17] offset:6336
.LBB180_84:
	s_or_b64 exec, exec, s[6:7]
	v_mov_b32_e32 v3, 0
	v_lshl_add_u64 v[2:3], v[6:7], 0, v[2:3]
	s_lshl_b64 s[6:7], s[18:19], 3
	v_mov_b32_e32 v6, s7
	v_subrev_co_u32_e64 v2, s[6:7], s6, v2
	s_nop 1
	v_subb_co_u32_e64 v3, s[6:7], v3, v6, s[6:7]
	v_lshl_add_u64 v[2:3], v[2:3], 0, 8
	v_cndmask_b32_e32 v17, v3, v5, vcc
	v_cndmask_b32_e32 v16, v2, v4, vcc
	s_branch .LBB180_90
.LBB180_85:
	ds_read_b64 v[4:5], v20
	s_waitcnt lgkmcnt(0)
	ds_write_b64 v16, v[4:5]
	s_or_b64 exec, exec, s[14:15]
	s_and_saveexec_b64 s[4:5], s[6:7]
	s_cbranch_execz .LBB180_64
.LBB180_86:
	ds_read_b64 v[4:5], v21
	s_waitcnt lgkmcnt(0)
	ds_write_b64 v16, v[4:5] offset:8
	s_or_b64 exec, exec, s[4:5]
	s_and_saveexec_b64 s[4:5], s[8:9]
	s_cbranch_execz .LBB180_65
.LBB180_87:
	ds_read_b64 v[4:5], v21 offset:264
	s_waitcnt lgkmcnt(0)
	ds_write_b64 v16, v[4:5] offset:16
	s_or_b64 exec, exec, s[4:5]
	v_add_u32_e32 v26, 0x2380, v17
	s_and_saveexec_b64 s[4:5], s[10:11]
	s_cbranch_execnz .LBB180_66
	s_branch .LBB180_67
.LBB180_88:
                                        ; implicit-def: $vgpr16_vgpr17
                                        ; implicit-def: $vgpr8
                                        ; implicit-def: $vgpr9
                                        ; implicit-def: $vgpr10
	s_cbranch_execz .LBB180_90
; %bb.89:
	flat_load_dwordx2 v[2:3], v[4:5]
	v_add_lshl_u32 v0, v19, v0, 3
	s_lshl_b64 s[6:7], s[22:23], 6
	v_lshl_add_u64 v[6:7], v[4:5], 0, s[6:7]
	v_add_u32_e32 v8, 8, v18
	v_add_u32_e32 v9, 16, v18
	;; [unrolled: 1-line block ×3, first 2 shown]
	v_mov_b64_e32 v[16:17], v[4:5]
	s_waitcnt vmcnt(0) lgkmcnt(0)
	ds_write_b64 v0, v[2:3]
	flat_load_dwordx2 v[2:3], v[6:7]
	v_lshl_add_u64 v[6:7], v[6:7], 0, s[6:7]
	s_waitcnt vmcnt(0) lgkmcnt(0)
	ds_write_b64 v0, v[2:3] offset:2112
	flat_load_dwordx2 v[2:3], v[6:7]
	v_mov_b32_e32 v6, 0xc0
	v_mad_u64_u32 v[6:7], s[6:7], s22, v6, v[4:5]
	v_add_u32_e32 v7, s37, v7
	s_waitcnt vmcnt(0) lgkmcnt(0)
	ds_write_b64 v0, v[2:3] offset:4224
	flat_load_dwordx2 v[2:3], v[6:7]
	s_waitcnt vmcnt(0) lgkmcnt(0)
	ds_write_b64 v0, v[2:3] offset:6336
.LBB180_90:
	v_lshlrev_b32_e32 v18, 3, v18
	v_add_lshl_u32 v19, v8, v1, 3
	v_lshlrev_b32_e32 v34, 3, v8
	v_add_lshl_u32 v27, v9, v1, 3
	;; [unrolled: 2-line block ×3, first 2 shown]
	v_lshlrev_b32_e32 v40, 3, v10
	s_waitcnt lgkmcnt(0)
	s_barrier
	ds_read2_b64 v[4:7], v21 offset1:33
	ds_read_b64 v[20:21], v20
	ds_read_b128 v[8:11], v26 offset:256
	ds_read_b64 v[32:33], v23
	ds_read_b128 v[0:3], v26 offset:272
	ds_read_b64 v[26:27], v27
	ds_read_b64 v[34:35], v34 offset:9088
	ds_read_b64 v[36:37], v19
	ds_read_b64 v[38:39], v18 offset:9088
	ds_read_b64 v[18:19], v25
	ds_read_b64 v[40:41], v40 offset:9088
	ds_read_b64 v[42:43], v42
	ds_read_b64 v[44:45], v44 offset:9088
	s_waitcnt lgkmcnt(4)
	v_pk_mul_f32 v[46:47], v[38:39], v[32:33] op_sel:[0,1]
	s_waitcnt lgkmcnt(0)
	v_pk_fma_f32 v[48:49], v[38:39], v[32:33], v[46:47] op_sel:[0,0,1] op_sel_hi:[1,1,0] neg_lo:[0,0,1] neg_hi:[0,0,1]
	v_pk_fma_f32 v[32:33], v[38:39], v[32:33], v[46:47] op_sel:[0,0,1] op_sel_hi:[1,0,0]
	v_pk_mul_f32 v[38:39], v[34:35], v[36:37] op_sel:[0,1]
	v_mov_b32_e32 v49, v33
	v_pk_fma_f32 v[46:47], v[34:35], v[36:37], v[38:39] op_sel:[0,0,1] op_sel_hi:[1,1,0] neg_lo:[0,0,1] neg_hi:[0,0,1]
	v_pk_fma_f32 v[34:35], v[34:35], v[36:37], v[38:39] op_sel:[0,0,1] op_sel_hi:[1,0,0]
	v_pk_add_f32 v[32:33], v[48:49], 0 op_sel_hi:[1,0]
	v_mov_b32_e32 v47, v35
	v_pk_mul_f32 v[34:35], v[44:45], v[26:27] op_sel:[0,1]
	v_pk_add_f32 v[32:33], v[32:33], v[46:47]
	v_pk_fma_f32 v[36:37], v[44:45], v[26:27], v[34:35] op_sel:[0,0,1] op_sel_hi:[1,1,0] neg_lo:[0,0,1] neg_hi:[0,0,1]
	v_pk_fma_f32 v[26:27], v[44:45], v[26:27], v[34:35] op_sel:[0,0,1] op_sel_hi:[1,0,0]
	s_barrier
	v_mov_b32_e32 v37, v27
	v_pk_add_f32 v[26:27], v[32:33], v[36:37]
	v_pk_mul_f32 v[32:33], v[40:41], v[42:43] op_sel:[0,1]
	s_nop 0
	v_pk_fma_f32 v[34:35], v[40:41], v[42:43], v[32:33] op_sel:[0,0,1] op_sel_hi:[1,1,0] neg_lo:[0,0,1] neg_hi:[0,0,1]
	v_pk_fma_f32 v[32:33], v[40:41], v[42:43], v[32:33] op_sel:[0,0,1] op_sel_hi:[1,0,0]
	s_nop 0
	v_mov_b32_e32 v35, v33
	v_pk_add_f32 v[26:27], v[26:27], v[34:35]
	ds_write_b64 v23, v[26:27]
	s_waitcnt lgkmcnt(0)
	s_barrier
	s_and_saveexec_b64 s[6:7], s[4:5]
	s_cbranch_execz .LBB180_92
; %bb.91:
	ds_read2_b64 v[32:35], v24 offset1:1
	ds_read2_b64 v[36:39], v24 offset0:2 offset1:3
	ds_read2_b64 v[40:43], v24 offset0:6 offset1:7
	s_waitcnt lgkmcnt(2)
	v_pk_add_f32 v[26:27], v[30:31], v[32:33]
	ds_read2_b64 v[30:33], v24 offset0:4 offset1:5
	v_pk_add_f32 v[26:27], v[26:27], v[34:35]
	s_waitcnt lgkmcnt(2)
	v_pk_add_f32 v[26:27], v[26:27], v[36:37]
	s_nop 0
	v_pk_add_f32 v[26:27], v[26:27], v[38:39]
	s_waitcnt lgkmcnt(0)
	v_pk_add_f32 v[26:27], v[26:27], v[30:31]
	s_nop 0
	v_pk_add_f32 v[26:27], v[26:27], v[32:33]
	s_nop 0
	;; [unrolled: 2-line block ×3, first 2 shown]
	v_pk_add_f32 v[30:31], v[26:27], v[42:43]
.LBB180_92:
	s_or_b64 exec, exec, s[6:7]
	v_pk_mul_f32 v[26:27], v[8:9], v[20:21] op_sel:[0,1]
	s_nop 0
	v_pk_fma_f32 v[32:33], v[8:9], v[20:21], v[26:27] op_sel:[0,0,1] op_sel_hi:[1,1,0] neg_lo:[0,0,1] neg_hi:[0,0,1]
	v_pk_fma_f32 v[8:9], v[8:9], v[20:21], v[26:27] op_sel:[0,0,1] op_sel_hi:[1,0,0]
	v_pk_mul_f32 v[20:21], v[10:11], v[4:5] op_sel:[0,1]
	v_mov_b32_e32 v33, v9
	v_pk_fma_f32 v[26:27], v[10:11], v[4:5], v[20:21] op_sel:[0,0,1] op_sel_hi:[1,1,0] neg_lo:[0,0,1] neg_hi:[0,0,1]
	v_pk_fma_f32 v[4:5], v[10:11], v[4:5], v[20:21] op_sel:[0,0,1] op_sel_hi:[1,0,0]
	v_pk_add_f32 v[8:9], v[32:33], 0 op_sel_hi:[1,0]
	v_mov_b32_e32 v27, v5
	v_pk_add_f32 v[4:5], v[8:9], v[26:27]
	v_pk_mul_f32 v[8:9], v[0:1], v[6:7] op_sel:[0,1]
	s_barrier
	v_pk_fma_f32 v[10:11], v[0:1], v[6:7], v[8:9] op_sel:[0,0,1] op_sel_hi:[1,1,0] neg_lo:[0,0,1] neg_hi:[0,0,1]
	v_pk_fma_f32 v[0:1], v[0:1], v[6:7], v[8:9] op_sel:[0,0,1] op_sel_hi:[1,0,0]
	s_nop 0
	v_mov_b32_e32 v11, v1
	v_pk_add_f32 v[0:1], v[4:5], v[10:11]
	v_pk_mul_f32 v[4:5], v[2:3], v[18:19] op_sel:[0,1]
	s_nop 0
	v_pk_fma_f32 v[6:7], v[2:3], v[18:19], v[4:5] op_sel:[0,0,1] op_sel_hi:[1,1,0] neg_lo:[0,0,1] neg_hi:[0,0,1]
	v_pk_fma_f32 v[2:3], v[2:3], v[18:19], v[4:5] op_sel:[0,0,1] op_sel_hi:[1,0,0]
	s_nop 0
	v_mov_b32_e32 v7, v3
	v_pk_add_f32 v[0:1], v[0:1], v[6:7]
	ds_write_b64 v23, v[0:1]
	s_waitcnt lgkmcnt(0)
	s_barrier
	s_and_saveexec_b64 s[4:5], s[12:13]
	s_cbranch_execz .LBB180_94
; %bb.93:
	ds_read2_b64 v[0:3], v24 offset1:1
	ds_read2_b64 v[4:7], v24 offset0:2 offset1:3
	ds_read2_b64 v[8:11], v24 offset0:4 offset1:5
	s_waitcnt lgkmcnt(2)
	v_pk_add_f32 v[0:1], v[30:31], v[0:1]
	s_nop 0
	v_pk_add_f32 v[18:19], v[0:1], v[2:3]
	ds_read2_b64 v[0:3], v24 offset0:6 offset1:7
	s_waitcnt lgkmcnt(2)
	v_pk_add_f32 v[4:5], v[18:19], v[4:5]
	s_nop 0
	v_pk_add_f32 v[4:5], v[4:5], v[6:7]
	s_waitcnt lgkmcnt(1)
	v_pk_add_f32 v[4:5], v[4:5], v[8:9]
	s_nop 0
	v_pk_add_f32 v[4:5], v[4:5], v[10:11]
	;; [unrolled: 4-line block ×3, first 2 shown]
.LBB180_94:
	s_or_b64 exec, exec, s[4:5]
	s_mul_hi_u32 s4, s25, s24
	s_mul_i32 s36, s36, s24
	s_add_i32 s4, s4, s36
	s_mul_i32 s6, s25, s24
	s_mul_i32 s4, s4, s3
	s_mul_hi_u32 s5, s6, s3
	s_add_i32 s5, s5, s4
	s_mul_i32 s4, s6, s3
	s_lshl_b64 s[4:5], s[4:5], 3
	s_add_u32 s6, s26, s4
	s_addc_u32 s7, s27, s5
	s_mul_hi_i32 s5, s25, s2
	s_mul_i32 s4, s25, s2
	s_lshl_b64 s[4:5], s[4:5], 3
	s_add_u32 s8, s6, s4
	s_addc_u32 s9, s7, s5
	s_add_i32 s4, s2, 1
	s_cmp_ge_u32 s4, s3
	v_lshlrev_b32_e32 v32, 3, v122
	s_barrier
	s_cbranch_scc1 .LBB180_152
; %bb.95:
	s_mul_i32 s4, s28, s17
	s_mul_hi_u32 s5, s28, s16
	s_add_i32 s4, s5, s4
	s_mul_i32 s5, s29, s16
	s_add_i32 s5, s4, s5
	s_mul_i32 s4, s28, s16
	s_lshl_b64 s[4:5], s[4:5], 3
	v_mov_b32_e32 v0, s5
	v_subrev_co_u32_e32 v34, vcc, s4, v12
	v_and_b32_e32 v2, 48, v122
	s_nop 0
	v_subb_co_u32_e32 v35, vcc, v13, v0, vcc
	v_and_b32_e32 v0, 15, v122
	v_lshlrev_b32_e32 v3, 3, v2
	s_movk_i32 s4, 0x218
	v_lshrrev_b32_e32 v1, 4, v22
	v_mad_u32_u24 v127, v0, s4, v3
	v_or_b32_e32 v3, 0x78, v32
	v_mad_u32_u24 v128, v0, s4, v3
	v_lshlrev_b32_e32 v3, 5, v1
	v_lshlrev_b32_e32 v6, 5, v123
	v_mad_u32_u24 v129, v0, s4, v3
	s_movk_i32 s4, 0x860
	v_add_u32_e32 v3, 0x110, v6
	v_mad_u32_u24 v134, v123, s4, v32
	v_mul_i32_i24_e32 v7, 0xffffffe8, v1
	v_or_b32_e32 v147, v2, v0
	v_mad_u64_u32 v[0:1], s[4:5], s22, v3, 0
	v_mov_b32_e32 v2, v1
	v_mad_u64_u32 v[2:3], s[4:5], s23, v3, v[2:3]
	v_mov_b32_e32 v1, v2
	v_lshlrev_b64 v[2:3], 3, v[14:15]
	v_sub_co_u32_e32 v0, vcc, v0, v2
	v_add_u32_e32 v5, 0x108, v6
	s_nop 0
	v_subb_co_u32_e32 v1, vcc, v1, v3, vcc
	v_lshl_add_u64 v[38:39], v[16:17], 0, v[0:1]
	v_mad_u64_u32 v[0:1], s[4:5], s22, v5, 0
	v_mov_b32_e32 v4, v1
	v_mad_u64_u32 v[4:5], s[4:5], s23, v5, v[4:5]
	v_mov_b32_e32 v1, v4
	v_sub_co_u32_e32 v0, vcc, v0, v2
	v_add_u32_e32 v5, 0x100, v6
	s_nop 0
	v_subb_co_u32_e32 v1, vcc, v1, v3, vcc
	v_lshl_add_u64 v[40:41], v[16:17], 0, v[0:1]
	v_mad_u64_u32 v[0:1], s[4:5], s22, v5, 0
	v_mov_b32_e32 v4, v1
	v_mad_u64_u32 v[4:5], s[4:5], s23, v5, v[4:5]
	v_mov_b32_e32 v1, v4
	;; [unrolled: 9-line block ×15, first 2 shown]
	v_sub_co_u32_e32 v0, vcc, v0, v2
	v_lshlrev_b32_e32 v124, 2, v123
	v_mov_b32_e32 v36, 0
	v_subb_co_u32_e32 v1, vcc, v1, v3, vcc
	s_add_i32 s19, s3, -2
	v_add_u32_e32 v125, 0x2180, v32
	v_add_u32_e32 v126, 0x2380, v32
	v_cmp_gt_u32_e64 s[6:7], 64, v22
	v_or_b32_e32 v130, 1, v124
	v_or_b32_e32 v131, 2, v124
	;; [unrolled: 1-line block ×3, first 2 shown]
	v_add_u32_e32 v133, 0x2180, v6
	v_add_u32_e32 v135, 16, v124
	;; [unrolled: 1-line block ×13, first 2 shown]
	s_add_i32 s26, s28, 64
	v_mov_b32_e32 v33, v36
	s_lshl_b64 s[10:11], s[22:23], 9
	v_lshl_add_u64 v[68:69], v[16:17], 0, v[0:1]
	v_add_u32_e32 v148, v129, v7
	s_branch .LBB180_97
.LBB180_96:                             ;   in Loop: Header=BB180_97 Depth=1
	s_or_b64 exec, exec, s[4:5]
	v_mul_f32_e32 v0, v79, v73
	v_fma_f32 v0, v78, v72, -v0
	v_mul_f32_e32 v2, v81, v71
	v_add_f32_e32 v0, v30, v0
	v_fma_f32 v2, v80, v70, -v2
	v_add_f32_e32 v0, v0, v2
	v_mul_f32_e32 v2, v83, v75
	v_fma_f32 v2, v82, v74, -v2
	v_mul_f32_e32 v1, v79, v72
	v_add_f32_e32 v0, v0, v2
	v_mul_f32_e32 v2, v85, v77
	v_mul_f32_e32 v3, v81, v70
	v_fma_f32 v2, v84, v76, -v2
	v_fmac_f32_e32 v1, v78, v73
	v_mul_f32_e32 v4, v83, v74
	v_add_f32_e32 v0, v0, v2
	v_add_f32_e32 v1, v31, v1
	v_fmac_f32_e32 v3, v80, v71
	v_mul_f32_e32 v2, v95, v89
	v_mul_f32_e32 v5, v85, v76
	v_add_f32_e32 v1, v1, v3
	v_fmac_f32_e32 v4, v82, v75
	v_fma_f32 v2, v94, v88, -v2
	v_add_f32_e32 v1, v1, v4
	v_fmac_f32_e32 v5, v84, v77
	v_mul_f32_e32 v6, v95, v88
	v_add_f32_e32 v0, v0, v2
	v_mul_f32_e32 v2, v97, v87
	v_add_f32_e32 v1, v1, v5
	v_fma_f32 v2, v96, v86, -v2
	v_mul_f32_e32 v7, v97, v86
	v_fmac_f32_e32 v6, v94, v89
	v_add_f32_e32 v0, v0, v2
	v_mul_f32_e32 v2, v99, v91
	v_mul_f32_e32 v3, v99, v90
	v_add_f32_e32 v1, v1, v6
	v_fmac_f32_e32 v7, v96, v87
	v_fma_f32 v2, v98, v90, -v2
	v_add_f32_e32 v1, v1, v7
	v_fmac_f32_e32 v3, v98, v91
	v_mul_f32_e32 v4, v101, v93
	v_mul_f32_e32 v5, v101, v92
	v_pk_add_f32 v[0:1], v[0:1], v[2:3]
	v_mov_b32_e32 v2, v105
	v_fma_f32 v4, v100, v92, -v4
	v_fmac_f32_e32 v5, v100, v93
	v_pk_mul_f32 v[2:3], v[110:111], v[2:3] op_sel_hi:[1,0]
	v_pk_add_f32 v[0:1], v[0:1], v[4:5]
	v_pk_fma_f32 v[4:5], v[110:111], v[104:105], v[2:3] op_sel:[0,0,1] op_sel_hi:[1,1,0] neg_lo:[0,0,1] neg_hi:[0,0,1]
	v_pk_fma_f32 v[2:3], v[110:111], v[104:105], v[2:3] op_sel:[0,0,1] op_sel_hi:[1,0,0]
	s_add_i32 s4, s2, 1
	v_mov_b32_e32 v2, v103
	v_mov_b32_e32 v5, v3
	v_pk_mul_f32 v[2:3], v[8:9], v[2:3] op_sel_hi:[1,0]
	v_pk_add_f32 v[0:1], v[0:1], v[4:5]
	v_pk_fma_f32 v[4:5], v[8:9], v[102:103], v[2:3] op_sel:[0,0,1] op_sel_hi:[1,1,0] neg_lo:[0,0,1] neg_hi:[0,0,1]
	v_pk_fma_f32 v[2:3], v[8:9], v[102:103], v[2:3] op_sel:[0,0,1] op_sel_hi:[1,0,0]
	s_add_i32 s26, s26, 64
	v_mov_b32_e32 v2, v107
	v_mov_b32_e32 v5, v3
	;; [unrolled: 7-line block ×3, first 2 shown]
	v_pk_mul_f32 v[2:3], v[114:115], v[2:3] op_sel_hi:[1,0]
	v_pk_add_f32 v[0:1], v[0:1], v[4:5]
	v_pk_fma_f32 v[4:5], v[114:115], v[108:109], v[2:3] op_sel:[0,0,1] op_sel_hi:[1,1,0] neg_lo:[0,0,1] neg_hi:[0,0,1]
	v_pk_fma_f32 v[2:3], v[114:115], v[108:109], v[2:3] op_sel:[0,0,1] op_sel_hi:[1,0,0]
	v_lshl_add_u64 v[38:39], v[38:39], 0, s[10:11]
	v_mov_b32_e32 v2, v117
	v_mov_b32_e32 v5, v3
	v_pk_mul_f32 v[2:3], v[16:17], v[2:3] op_sel_hi:[1,0]
	v_pk_add_f32 v[0:1], v[0:1], v[4:5]
	v_pk_fma_f32 v[4:5], v[16:17], v[116:117], v[2:3] op_sel:[0,0,1] op_sel_hi:[1,1,0] neg_lo:[0,0,1] neg_hi:[0,0,1]
	v_pk_fma_f32 v[2:3], v[16:17], v[116:117], v[2:3] op_sel:[0,0,1] op_sel_hi:[1,0,0]
	v_lshl_add_u64 v[40:41], v[40:41], 0, s[10:11]
	v_mov_b32_e32 v2, v113
	v_mov_b32_e32 v5, v3
	;; [unrolled: 7-line block ×4, first 2 shown]
	v_pk_mul_f32 v[2:3], v[14:15], v[2:3] op_sel_hi:[1,0]
	v_pk_add_f32 v[0:1], v[0:1], v[8:9]
	v_pk_fma_f32 v[10:11], v[14:15], v[120:121], v[2:3] op_sel:[0,0,1] op_sel_hi:[1,1,0] neg_lo:[0,0,1] neg_hi:[0,0,1]
	v_pk_fma_f32 v[2:3], v[14:15], v[120:121], v[2:3] op_sel:[0,0,1] op_sel_hi:[1,0,0]
	v_lshl_add_u64 v[46:47], v[46:47], 0, s[10:11]
	v_mov_b32_e32 v11, v3
	v_pk_add_f32 v[30:31], v[0:1], v[10:11]
	v_lshl_add_u64 v[48:49], v[48:49], 0, s[10:11]
	v_lshl_add_u64 v[50:51], v[50:51], 0, s[10:11]
	;; [unrolled: 1-line block ×11, first 2 shown]
	s_cmp_ge_u32 s2, s3
	s_mov_b32 s2, s4
	s_barrier
	s_cbranch_scc1 .LBB180_152
.LBB180_97:                             ; =>This Inner Loop Header: Depth=1
	s_cmp_eq_u32 s19, s2
	s_cselect_b32 s27, s33, 0
	s_and_saveexec_b64 s[4:5], s[0:1]
	s_cbranch_execz .LBB180_102
; %bb.98:                               ;   in Loop: Header=BB180_97 Depth=1
	s_cmp_lg_u32 s27, 0
	s_cselect_b64 s[12:13], -1, 0
	v_cmp_le_i32_e32 vcc, s27, v122
	s_and_b64 s[12:13], s[12:13], vcc
	s_and_saveexec_b64 s[14:15], s[12:13]
	s_xor_b64 s[12:13], exec, s[14:15]
	s_cbranch_execz .LBB180_100
; %bb.99:                               ;   in Loop: Header=BB180_97 Depth=1
	v_mov_b32_e32 v37, v36
	ds_write_b64 v125, v[36:37]
.LBB180_100:                            ;   in Loop: Header=BB180_97 Depth=1
	s_andn2_saveexec_b64 s[12:13], s[12:13]
	s_cbranch_execz .LBB180_102
; %bb.101:                              ;   in Loop: Header=BB180_97 Depth=1
	s_ashr_i32 s12, s26, 31
	s_mul_i32 s13, s26, s17
	s_mul_hi_u32 s14, s26, s16
	s_add_i32 s13, s14, s13
	s_mul_i32 s12, s12, s16
	s_add_i32 s13, s13, s12
	s_mul_i32 s12, s26, s16
	v_lshl_add_u64 v[0:1], s[12:13], 3, v[34:35]
	flat_load_dwordx2 v[0:1], v[0:1]
	s_waitcnt vmcnt(0) lgkmcnt(0)
	ds_write_b64 v125, v[0:1]
.LBB180_102:                            ;   in Loop: Header=BB180_97 Depth=1
	s_or_b64 exec, exec, s[4:5]
	s_cmp_eq_u32 s27, 0
	s_cselect_b64 s[12:13], -1, 0
	s_cmp_lg_u32 s27, 0
	s_cselect_b64 s[14:15], -1, 0
	v_lshl_add_u64 v[0:1], v[42:43], 0, v[32:33]
	s_and_b64 vcc, exec, s[14:15]
	s_waitcnt lgkmcnt(0)
	s_barrier
	s_cbranch_vccz .LBB180_110
; %bb.103:                              ;   in Loop: Header=BB180_97 Depth=1
	v_mov_b64_e32 v[70:71], 0
	v_cmp_gt_i32_e32 vcc, s27, v124
	v_mov_b64_e32 v[72:73], v[70:71]
	s_and_saveexec_b64 s[4:5], vcc
	s_cbranch_execz .LBB180_105
; %bb.104:                              ;   in Loop: Header=BB180_97 Depth=1
	flat_load_dwordx2 v[72:73], v[0:1]
.LBB180_105:                            ;   in Loop: Header=BB180_97 Depth=1
	s_or_b64 exec, exec, s[4:5]
	v_cmp_gt_i32_e32 vcc, s27, v130
	s_and_saveexec_b64 s[4:5], vcc
	s_cbranch_execz .LBB180_107
; %bb.106:                              ;   in Loop: Header=BB180_97 Depth=1
	v_lshl_add_u64 v[2:3], v[40:41], 0, v[32:33]
	flat_load_dwordx2 v[70:71], v[2:3]
.LBB180_107:                            ;   in Loop: Header=BB180_97 Depth=1
	s_or_b64 exec, exec, s[4:5]
	v_cmp_gt_i32_e32 vcc, s27, v131
	v_mov_b64_e32 v[74:75], 0
	s_and_saveexec_b64 s[4:5], vcc
	s_cbranch_execz .LBB180_109
; %bb.108:                              ;   in Loop: Header=BB180_97 Depth=1
	v_lshl_add_u64 v[2:3], v[38:39], 0, v[32:33]
	flat_load_dwordx2 v[74:75], v[2:3]
.LBB180_109:                            ;   in Loop: Header=BB180_97 Depth=1
	s_or_b64 exec, exec, s[4:5]
	v_cmp_gt_i32_e64 s[4:5], s27, v132
	s_mov_b64 s[22:23], 0
	s_branch .LBB180_112
.LBB180_110:                            ;   in Loop: Header=BB180_97 Depth=1
	s_mov_b64 s[4:5], 0
                                        ; implicit-def: $sgpr22_sgpr23
                                        ; implicit-def: $vgpr74_vgpr75
                                        ; implicit-def: $vgpr70_vgpr71
                                        ; implicit-def: $vgpr72_vgpr73
	s_cbranch_execz .LBB180_112
; %bb.111:                              ;   in Loop: Header=BB180_97 Depth=1
	s_waitcnt vmcnt(0) lgkmcnt(0)
	flat_load_dwordx2 v[72:73], v[0:1]
	v_lshl_add_u64 v[0:1], v[40:41], 0, v[32:33]
	flat_load_dwordx2 v[70:71], v[0:1]
	v_lshl_add_u64 v[0:1], v[38:39], 0, v[32:33]
	flat_load_dwordx2 v[74:75], v[0:1]
	s_or_b64 s[4:5], s[4:5], exec
                                        ; implicit-def: $sgpr22_sgpr23
.LBB180_112:                            ;   in Loop: Header=BB180_97 Depth=1
	v_mov_b64_e32 v[76:77], s[22:23]
	s_and_saveexec_b64 s[22:23], s[4:5]
	s_cbranch_execz .LBB180_114
; %bb.113:                              ;   in Loop: Header=BB180_97 Depth=1
	v_lshl_add_u64 v[0:1], v[44:45], 0, v[32:33]
	flat_load_dwordx2 v[76:77], v[0:1]
.LBB180_114:                            ;   in Loop: Header=BB180_97 Depth=1
	s_or_b64 exec, exec, s[22:23]
	ds_read_b64 v[0:1], v126
	ds_read_b64 v[78:79], v133
	v_cndmask_b32_e64 v8, 0, 1, s[14:15]
	v_cmp_ne_u32_e64 s[4:5], 1, v8
	s_andn2_b64 vcc, exec, s[14:15]
	s_waitcnt vmcnt(0) lgkmcnt(0)
	v_mul_f32_e32 v2, v1, v73
	v_mul_f32_e32 v3, v1, v72
	v_fma_f32 v2, v0, v72, -v2
	v_fmac_f32_e32 v3, v0, v73
	v_mul_f32_e32 v4, v1, v71
	ds_write_b64 v134, v[2:3]
	v_mul_f32_e32 v3, v1, v70
	v_fma_f32 v2, v0, v70, -v4
	v_fmac_f32_e32 v3, v0, v71
	ds_read_b64 v[80:81], v133 offset:8
	ds_write_b64 v134, v[2:3] offset:536
	v_mul_f32_e32 v2, v1, v75
	v_mul_f32_e32 v3, v1, v74
	v_fma_f32 v2, v0, v74, -v2
	v_fmac_f32_e32 v3, v0, v75
	ds_read_b64 v[82:83], v133 offset:16
	ds_write_b64 v134, v[2:3] offset:1072
	v_mul_f32_e32 v2, v1, v77
	v_mul_f32_e32 v3, v0, v77
	v_fma_f32 v2, v0, v76, -v2
	v_fmac_f32_e32 v3, v1, v76
	ds_read_b64 v[84:85], v133 offset:24
	ds_write_b64 v134, v[2:3] offset:1608
	s_waitcnt lgkmcnt(0)
	s_barrier
	ds_read2_b64 v[4:7], v129 offset1:1
	ds_read2_b64 v[0:3], v129 offset0:2 offset1:3
	v_lshl_add_u64 v[8:9], v[50:51], 0, v[32:33]
	s_waitcnt lgkmcnt(0)
	s_barrier
	s_cbranch_vccnz .LBB180_122
; %bb.115:                              ;   in Loop: Header=BB180_97 Depth=1
	v_mov_b64_e32 v[86:87], 0
	v_cmp_gt_i32_e32 vcc, s27, v135
	v_mov_b64_e32 v[88:89], v[86:87]
	s_and_saveexec_b64 s[14:15], vcc
	s_cbranch_execz .LBB180_117
; %bb.116:                              ;   in Loop: Header=BB180_97 Depth=1
	flat_load_dwordx2 v[88:89], v[8:9]
.LBB180_117:                            ;   in Loop: Header=BB180_97 Depth=1
	s_or_b64 exec, exec, s[14:15]
	v_cmp_gt_i32_e32 vcc, s27, v136
	s_and_saveexec_b64 s[14:15], vcc
	s_cbranch_execz .LBB180_119
; %bb.118:                              ;   in Loop: Header=BB180_97 Depth=1
	v_lshl_add_u64 v[10:11], v[48:49], 0, v[32:33]
	flat_load_dwordx2 v[86:87], v[10:11]
.LBB180_119:                            ;   in Loop: Header=BB180_97 Depth=1
	s_or_b64 exec, exec, s[14:15]
	v_cmp_gt_i32_e32 vcc, s27, v137
	v_mov_b64_e32 v[90:91], 0
	s_and_saveexec_b64 s[14:15], vcc
	s_cbranch_execz .LBB180_121
; %bb.120:                              ;   in Loop: Header=BB180_97 Depth=1
	v_lshl_add_u64 v[10:11], v[46:47], 0, v[32:33]
	flat_load_dwordx2 v[90:91], v[10:11]
.LBB180_121:                            ;   in Loop: Header=BB180_97 Depth=1
	s_or_b64 exec, exec, s[14:15]
	v_cmp_gt_i32_e64 s[14:15], s27, v138
	s_mov_b64 s[22:23], 0
	s_branch .LBB180_124
.LBB180_122:                            ;   in Loop: Header=BB180_97 Depth=1
	s_mov_b64 s[14:15], 0
                                        ; implicit-def: $sgpr22_sgpr23
                                        ; implicit-def: $vgpr90_vgpr91
                                        ; implicit-def: $vgpr86_vgpr87
                                        ; implicit-def: $vgpr88_vgpr89
	s_cbranch_execz .LBB180_124
; %bb.123:                              ;   in Loop: Header=BB180_97 Depth=1
	s_waitcnt vmcnt(0) lgkmcnt(0)
	flat_load_dwordx2 v[88:89], v[8:9]
	v_lshl_add_u64 v[8:9], v[48:49], 0, v[32:33]
	flat_load_dwordx2 v[86:87], v[8:9]
	v_lshl_add_u64 v[8:9], v[46:47], 0, v[32:33]
	flat_load_dwordx2 v[90:91], v[8:9]
	s_or_b64 s[14:15], s[14:15], exec
                                        ; implicit-def: $sgpr22_sgpr23
.LBB180_124:                            ;   in Loop: Header=BB180_97 Depth=1
	v_mov_b64_e32 v[92:93], s[22:23]
	s_and_saveexec_b64 s[22:23], s[14:15]
	s_cbranch_execz .LBB180_126
; %bb.125:                              ;   in Loop: Header=BB180_97 Depth=1
	v_lshl_add_u64 v[8:9], v[52:53], 0, v[32:33]
	flat_load_dwordx2 v[92:93], v[8:9]
.LBB180_126:                            ;   in Loop: Header=BB180_97 Depth=1
	s_or_b64 exec, exec, s[22:23]
	ds_read_b64 v[8:9], v126
	ds_read_b64 v[94:95], v133 offset:128
	s_and_b64 vcc, exec, s[4:5]
	s_waitcnt vmcnt(0) lgkmcnt(0)
	v_mul_f32_e32 v10, v9, v89
	v_mul_f32_e32 v11, v9, v88
	v_fma_f32 v10, v8, v88, -v10
	v_fmac_f32_e32 v11, v8, v89
	v_mul_f32_e32 v12, v9, v87
	ds_write_b64 v134, v[10:11]
	v_mul_f32_e32 v11, v9, v86
	v_fma_f32 v10, v8, v86, -v12
	v_fmac_f32_e32 v11, v8, v87
	ds_read_b64 v[96:97], v133 offset:136
	ds_write_b64 v134, v[10:11] offset:536
	v_mul_f32_e32 v10, v9, v91
	v_mul_f32_e32 v11, v9, v90
	v_fma_f32 v10, v8, v90, -v10
	v_fmac_f32_e32 v11, v8, v91
	ds_read_b64 v[98:99], v133 offset:144
	ds_write_b64 v134, v[10:11] offset:1072
	v_mul_f32_e32 v10, v9, v93
	v_mul_f32_e32 v11, v8, v93
	v_fma_f32 v10, v8, v92, -v10
	v_fmac_f32_e32 v11, v9, v92
	ds_read_b64 v[100:101], v133 offset:152
	ds_write_b64 v134, v[10:11] offset:1608
	s_waitcnt lgkmcnt(0)
	s_barrier
	ds_read2_b64 v[16:19], v129 offset1:1
	ds_read2_b64 v[12:15], v129 offset0:2 offset1:3
	v_lshl_add_u64 v[8:9], v[58:59], 0, v[32:33]
	s_waitcnt lgkmcnt(0)
	s_barrier
	s_cbranch_vccnz .LBB180_134
; %bb.127:                              ;   in Loop: Header=BB180_97 Depth=1
	v_mov_b64_e32 v[102:103], 0
	v_cmp_gt_i32_e32 vcc, s27, v139
	v_mov_b64_e32 v[104:105], v[102:103]
	s_and_saveexec_b64 s[14:15], vcc
	s_cbranch_execz .LBB180_129
; %bb.128:                              ;   in Loop: Header=BB180_97 Depth=1
	flat_load_dwordx2 v[104:105], v[8:9]
.LBB180_129:                            ;   in Loop: Header=BB180_97 Depth=1
	s_or_b64 exec, exec, s[14:15]
	v_cmp_gt_i32_e32 vcc, s27, v140
	s_and_saveexec_b64 s[14:15], vcc
	s_cbranch_execz .LBB180_131
; %bb.130:                              ;   in Loop: Header=BB180_97 Depth=1
	v_lshl_add_u64 v[10:11], v[56:57], 0, v[32:33]
	flat_load_dwordx2 v[102:103], v[10:11]
.LBB180_131:                            ;   in Loop: Header=BB180_97 Depth=1
	s_or_b64 exec, exec, s[14:15]
	v_cmp_gt_i32_e32 vcc, s27, v141
	v_mov_b64_e32 v[106:107], 0
	s_and_saveexec_b64 s[14:15], vcc
	s_cbranch_execz .LBB180_133
; %bb.132:                              ;   in Loop: Header=BB180_97 Depth=1
	v_lshl_add_u64 v[10:11], v[54:55], 0, v[32:33]
	flat_load_dwordx2 v[106:107], v[10:11]
.LBB180_133:                            ;   in Loop: Header=BB180_97 Depth=1
	s_or_b64 exec, exec, s[14:15]
	v_cmp_gt_i32_e64 s[14:15], s27, v142
	s_mov_b64 s[22:23], 0
	s_branch .LBB180_136
.LBB180_134:                            ;   in Loop: Header=BB180_97 Depth=1
	s_mov_b64 s[14:15], 0
                                        ; implicit-def: $sgpr22_sgpr23
                                        ; implicit-def: $vgpr106_vgpr107
                                        ; implicit-def: $vgpr102_vgpr103
                                        ; implicit-def: $vgpr104_vgpr105
	s_cbranch_execz .LBB180_136
; %bb.135:                              ;   in Loop: Header=BB180_97 Depth=1
	s_waitcnt vmcnt(0) lgkmcnt(0)
	flat_load_dwordx2 v[104:105], v[8:9]
	v_lshl_add_u64 v[8:9], v[56:57], 0, v[32:33]
	flat_load_dwordx2 v[102:103], v[8:9]
	v_lshl_add_u64 v[8:9], v[54:55], 0, v[32:33]
	flat_load_dwordx2 v[106:107], v[8:9]
	s_or_b64 s[14:15], s[14:15], exec
                                        ; implicit-def: $sgpr22_sgpr23
.LBB180_136:                            ;   in Loop: Header=BB180_97 Depth=1
	v_mov_b64_e32 v[108:109], s[22:23]
	s_and_saveexec_b64 s[22:23], s[14:15]
	s_cbranch_execz .LBB180_138
; %bb.137:                              ;   in Loop: Header=BB180_97 Depth=1
	v_lshl_add_u64 v[8:9], v[60:61], 0, v[32:33]
	flat_load_dwordx2 v[108:109], v[8:9]
.LBB180_138:                            ;   in Loop: Header=BB180_97 Depth=1
	s_or_b64 exec, exec, s[22:23]
	ds_read_b64 v[8:9], v126
	ds_read_b64 v[110:111], v133 offset:256
	s_and_b64 vcc, exec, s[4:5]
	v_lshl_add_u64 v[120:121], v[66:67], 0, v[32:33]
	s_waitcnt vmcnt(0) lgkmcnt(0)
	v_mul_f32_e32 v10, v9, v105
	v_mul_f32_e32 v11, v9, v104
	v_mul_f32_e32 v20, v9, v103
	v_mul_f32_e32 v21, v9, v102
	v_fma_f32 v10, v8, v104, -v10
	v_fmac_f32_e32 v11, v8, v105
	v_fma_f32 v20, v8, v102, -v20
	v_fmac_f32_e32 v21, v8, v103
	ds_write2_b64 v134, v[10:11], v[20:21] offset1:67
	v_mul_f32_e32 v10, v9, v107
	v_mul_f32_e32 v11, v9, v106
	;; [unrolled: 1-line block ×4, first 2 shown]
	v_fma_f32 v10, v8, v106, -v10
	v_fmac_f32_e32 v11, v8, v107
	v_fma_f32 v20, v8, v108, -v20
	v_fmac_f32_e32 v21, v9, v108
	ds_write2_b64 v134, v[10:11], v[20:21] offset0:134 offset1:201
	ds_read2_b64 v[8:11], v133 offset0:33 offset1:34
	ds_read_b64 v[114:115], v133 offset:280
	s_waitcnt lgkmcnt(0)
	s_barrier
	ds_read2_b64 v[24:27], v129 offset1:1
	ds_read2_b64 v[20:23], v129 offset0:2 offset1:3
	s_waitcnt lgkmcnt(0)
	s_barrier
	s_cbranch_vccnz .LBB180_146
; %bb.139:                              ;   in Loop: Header=BB180_97 Depth=1
	v_mov_b64_e32 v[112:113], 0
	v_cmp_gt_i32_e32 vcc, s27, v143
	v_mov_b64_e32 v[116:117], v[112:113]
	s_and_saveexec_b64 s[4:5], vcc
	s_cbranch_execz .LBB180_141
; %bb.140:                              ;   in Loop: Header=BB180_97 Depth=1
	flat_load_dwordx2 v[116:117], v[120:121]
.LBB180_141:                            ;   in Loop: Header=BB180_97 Depth=1
	s_or_b64 exec, exec, s[4:5]
	v_cmp_gt_i32_e32 vcc, s27, v144
	s_and_saveexec_b64 s[4:5], vcc
	s_cbranch_execz .LBB180_143
; %bb.142:                              ;   in Loop: Header=BB180_97 Depth=1
	v_lshl_add_u64 v[112:113], v[64:65], 0, v[32:33]
	flat_load_dwordx2 v[112:113], v[112:113]
.LBB180_143:                            ;   in Loop: Header=BB180_97 Depth=1
	s_or_b64 exec, exec, s[4:5]
	v_cmp_gt_i32_e32 vcc, s27, v145
	v_mov_b64_e32 v[118:119], 0
	s_and_saveexec_b64 s[4:5], vcc
	s_cbranch_execz .LBB180_145
; %bb.144:                              ;   in Loop: Header=BB180_97 Depth=1
	v_lshl_add_u64 v[118:119], v[62:63], 0, v[32:33]
	flat_load_dwordx2 v[118:119], v[118:119]
.LBB180_145:                            ;   in Loop: Header=BB180_97 Depth=1
	s_or_b64 exec, exec, s[4:5]
	v_cmp_gt_i32_e64 s[4:5], s27, v146
	s_mov_b64 s[14:15], 0
	s_branch .LBB180_148
.LBB180_146:                            ;   in Loop: Header=BB180_97 Depth=1
	s_mov_b64 s[4:5], 0
                                        ; implicit-def: $sgpr14_sgpr15
                                        ; implicit-def: $vgpr118_vgpr119
                                        ; implicit-def: $vgpr112_vgpr113
                                        ; implicit-def: $vgpr116_vgpr117
	s_cbranch_execz .LBB180_148
; %bb.147:                              ;   in Loop: Header=BB180_97 Depth=1
	s_waitcnt vmcnt(0) lgkmcnt(0)
	v_lshl_add_u64 v[112:113], v[64:65], 0, v[32:33]
	v_lshl_add_u64 v[118:119], v[62:63], 0, v[32:33]
	flat_load_dwordx2 v[116:117], v[120:121]
	s_or_b64 s[4:5], s[4:5], exec
	flat_load_dwordx2 v[112:113], v[112:113]
                                        ; implicit-def: $sgpr14_sgpr15
	s_nop 0
	flat_load_dwordx2 v[118:119], v[118:119]
.LBB180_148:                            ;   in Loop: Header=BB180_97 Depth=1
	v_mov_b64_e32 v[120:121], s[14:15]
	s_and_saveexec_b64 s[14:15], s[4:5]
	s_cbranch_execz .LBB180_150
; %bb.149:                              ;   in Loop: Header=BB180_97 Depth=1
	v_lshl_add_u64 v[120:121], v[68:69], 0, v[32:33]
	flat_load_dwordx2 v[120:121], v[120:121]
.LBB180_150:                            ;   in Loop: Header=BB180_97 Depth=1
	s_or_b64 exec, exec, s[14:15]
	v_pk_add_f32 v[24:25], v[24:25], 0 op_sel_hi:[1,0]
	v_pk_add_f32 v[16:17], v[16:17], 0 op_sel_hi:[1,0]
	v_pk_add_f32 v[24:25], v[24:25], v[26:27]
	v_pk_add_f32 v[16:17], v[16:17], v[18:19]
	;; [unrolled: 1-line block ×5, first 2 shown]
	ds_read_b64 v[20:21], v126
	v_pk_add_f32 v[26:27], v[12:13], v[14:15]
	v_pk_add_f32 v[4:5], v[4:5], 0 op_sel_hi:[1,0]
	v_cmp_gt_i32_e32 vcc, s27, v122
	v_pk_add_f32 v[150:151], v[4:5], v[6:7]
	s_waitcnt vmcnt(0) lgkmcnt(0)
	v_mul_f32_e32 v12, v21, v117
	v_mul_f32_e32 v13, v21, v116
	;; [unrolled: 1-line block ×4, first 2 shown]
	v_fma_f32 v12, v20, v116, -v12
	v_fmac_f32_e32 v13, v20, v117
	v_fma_f32 v14, v20, v112, -v14
	v_fmac_f32_e32 v15, v20, v113
	ds_write2_b64 v134, v[12:13], v[14:15] offset1:67
	v_mul_f32_e32 v12, v21, v119
	v_mul_f32_e32 v13, v21, v118
	v_mul_f32_e32 v14, v21, v121
	v_mul_f32_e32 v15, v20, v121
	v_fma_f32 v12, v20, v118, -v12
	v_fmac_f32_e32 v13, v20, v119
	v_fma_f32 v14, v20, v120, -v14
	v_fmac_f32_e32 v15, v21, v120
	ds_write2_b64 v134, v[12:13], v[14:15] offset0:134 offset1:201
	ds_read_b128 v[16:19], v133 offset:384
	ds_read_b128 v[12:15], v133 offset:400
	s_waitcnt lgkmcnt(0)
	s_barrier
	ds_read2_b64 v[20:23], v129 offset1:1
	ds_read2_b64 v[4:7], v129 offset0:2 offset1:3
	v_pk_add_f32 v[0:1], v[150:151], v[0:1]
	s_or_b64 s[4:5], s[12:13], vcc
	v_pk_add_f32 v[0:1], v[0:1], v[2:3]
	s_waitcnt lgkmcnt(1)
	v_pk_add_f32 v[2:3], v[20:21], 0 op_sel_hi:[1,0]
	s_and_b64 s[12:13], s[6:7], s[4:5]
	v_pk_add_f32 v[2:3], v[2:3], v[22:23]
	s_waitcnt lgkmcnt(0)
	v_pk_add_f32 v[2:3], v[2:3], v[4:5]
	s_barrier
	v_pk_add_f32 v[2:3], v[2:3], v[6:7]
	ds_write2_b64 v148, v[0:1], v[26:27] offset1:16
	ds_write2_b64 v148, v[24:25], v[2:3] offset0:32 offset1:48
	s_waitcnt lgkmcnt(0)
	s_barrier
	s_and_saveexec_b64 s[4:5], s[12:13]
	s_cbranch_execz .LBB180_96
; %bb.151:                              ;   in Loop: Header=BB180_97 Depth=1
	ds_read_b64 v[20:21], v127
	ds_read2_b64 v[0:3], v127 offset0:1 offset1:2
	ds_read2_b64 v[4:7], v127 offset0:3 offset1:4
	v_add_u32_e32 v22, s26, v147
	v_ashrrev_i32_e32 v23, 31, v22
	v_lshl_add_u64 v[24:25], v[22:23], 3, s[8:9]
	s_waitcnt lgkmcnt(1)
	v_add_f32_e32 v0, v0, v20
	v_add_f32_e32 v1, v1, v21
	v_add_f32_e32 v20, v0, v2
	v_add_f32_e32 v21, v1, v3
	ds_read2_b64 v[0:3], v127 offset0:5 offset1:6
	s_waitcnt lgkmcnt(1)
	v_add_f32_e32 v4, v20, v4
	v_add_f32_e32 v5, v21, v5
	;; [unrolled: 1-line block ×4, first 2 shown]
	ds_read2_b64 v[4:7], v127 offset0:7 offset1:8
	s_waitcnt lgkmcnt(1)
	v_pk_add_f32 v[0:1], v[20:21], v[0:1]
	ds_read2_b64 v[20:23], v127 offset0:9 offset1:10
	v_pk_add_f32 v[0:1], v[0:1], v[2:3]
	s_waitcnt lgkmcnt(1)
	v_pk_add_f32 v[0:1], v[0:1], v[4:5]
	s_nop 0
	v_pk_add_f32 v[4:5], v[0:1], v[6:7]
	ds_read2_b64 v[0:3], v127 offset0:11 offset1:12
	s_waitcnt lgkmcnt(1)
	v_pk_add_f32 v[20:21], v[4:5], v[20:21]
	ds_read2_b64 v[4:7], v127 offset0:13 offset1:14
	v_pk_add_f32 v[20:21], v[20:21], v[22:23]
	ds_read_b64 v[22:23], v128
	s_waitcnt lgkmcnt(2)
	v_pk_add_f32 v[0:1], v[20:21], v[0:1]
	s_nop 0
	v_pk_add_f32 v[0:1], v[0:1], v[2:3]
	s_waitcnt lgkmcnt(1)
	v_pk_add_f32 v[0:1], v[0:1], v[4:5]
	s_nop 0
	v_pk_add_f32 v[0:1], v[0:1], v[6:7]
	s_waitcnt lgkmcnt(0)
	v_pk_add_f32 v[0:1], v[0:1], v[22:23]
	global_store_dwordx2 v[24:25], v[0:1], off
	s_branch .LBB180_96
.LBB180_152:
	s_movk_i32 s2, 0x218
	v_cmp_gt_i32_e32 vcc, s18, v122
	v_mad_u32_u24 v0, v123, s2, v32
	s_or_b64 s[2:3], s[20:21], vcc
	s_and_b64 s[0:1], s[0:1], s[2:3]
	ds_write_b64 v0, v[30:31]
	s_waitcnt lgkmcnt(0)
	s_barrier
	s_and_saveexec_b64 s[2:3], s[0:1]
	s_cbranch_execz .LBB180_154
; %bb.153:
	ds_read2_b64 v[0:3], v32 offset1:67
	ds_read2_b64 v[4:7], v32 offset0:134 offset1:201
	v_lshl_add_u64 v[8:9], v[28:29], 3, s[8:9]
	s_waitcnt lgkmcnt(1)
	v_pk_add_f32 v[0:1], v[2:3], v[0:1]
	s_waitcnt lgkmcnt(0)
	v_pk_add_f32 v[0:1], v[0:1], v[4:5]
	s_nop 0
	v_pk_add_f32 v[0:1], v[0:1], v[6:7]
	global_store_dwordx2 v[8:9], v[0:1], off
.LBB180_154:
	s_endpgm
	.section	.rodata,"a",@progbits
	.p2align	6, 0x0
	.amdhsa_kernel _ZL26rocblas_hemvn_kernel_upperILb0ELi64ELi4ELi33ELi32ELi16ElPK19rocblas_complex_numIfEPKS3_PS1_EviT6_lT7_lT5_lS8_lS9_lS7_lT8_i
		.amdhsa_group_segment_fixed_size 9600
		.amdhsa_private_segment_fixed_size 0
		.amdhsa_kernarg_size 376
		.amdhsa_user_sgpr_count 2
		.amdhsa_user_sgpr_dispatch_ptr 0
		.amdhsa_user_sgpr_queue_ptr 0
		.amdhsa_user_sgpr_kernarg_segment_ptr 1
		.amdhsa_user_sgpr_dispatch_id 0
		.amdhsa_user_sgpr_kernarg_preload_length 0
		.amdhsa_user_sgpr_kernarg_preload_offset 0
		.amdhsa_user_sgpr_private_segment_size 0
		.amdhsa_uses_dynamic_stack 0
		.amdhsa_enable_private_segment 0
		.amdhsa_system_sgpr_workgroup_id_x 1
		.amdhsa_system_sgpr_workgroup_id_y 0
		.amdhsa_system_sgpr_workgroup_id_z 1
		.amdhsa_system_sgpr_workgroup_info 0
		.amdhsa_system_vgpr_workitem_id 1
		.amdhsa_next_free_vgpr 152
		.amdhsa_next_free_sgpr 39
		.amdhsa_accum_offset 152
		.amdhsa_reserve_vcc 1
		.amdhsa_float_round_mode_32 0
		.amdhsa_float_round_mode_16_64 0
		.amdhsa_float_denorm_mode_32 3
		.amdhsa_float_denorm_mode_16_64 3
		.amdhsa_dx10_clamp 1
		.amdhsa_ieee_mode 1
		.amdhsa_fp16_overflow 0
		.amdhsa_tg_split 0
		.amdhsa_exception_fp_ieee_invalid_op 0
		.amdhsa_exception_fp_denorm_src 0
		.amdhsa_exception_fp_ieee_div_zero 0
		.amdhsa_exception_fp_ieee_overflow 0
		.amdhsa_exception_fp_ieee_underflow 0
		.amdhsa_exception_fp_ieee_inexact 0
		.amdhsa_exception_int_div_zero 0
	.end_amdhsa_kernel
	.section	.text._ZL26rocblas_hemvn_kernel_upperILb0ELi64ELi4ELi33ELi32ELi16ElPK19rocblas_complex_numIfEPKS3_PS1_EviT6_lT7_lT5_lS8_lS9_lS7_lT8_i,"axG",@progbits,_ZL26rocblas_hemvn_kernel_upperILb0ELi64ELi4ELi33ELi32ELi16ElPK19rocblas_complex_numIfEPKS3_PS1_EviT6_lT7_lT5_lS8_lS9_lS7_lT8_i,comdat
.Lfunc_end180:
	.size	_ZL26rocblas_hemvn_kernel_upperILb0ELi64ELi4ELi33ELi32ELi16ElPK19rocblas_complex_numIfEPKS3_PS1_EviT6_lT7_lT5_lS8_lS9_lS7_lT8_i, .Lfunc_end180-_ZL26rocblas_hemvn_kernel_upperILb0ELi64ELi4ELi33ELi32ELi16ElPK19rocblas_complex_numIfEPKS3_PS1_EviT6_lT7_lT5_lS8_lS9_lS7_lT8_i
                                        ; -- End function
	.section	.AMDGPU.csdata,"",@progbits
; Kernel info:
; codeLenInByte = 8756
; NumSgprs: 45
; NumVgprs: 152
; NumAgprs: 0
; TotalNumVgprs: 152
; ScratchSize: 0
; MemoryBound: 1
; FloatMode: 240
; IeeeMode: 1
; LDSByteSize: 9600 bytes/workgroup (compile time only)
; SGPRBlocks: 5
; VGPRBlocks: 18
; NumSGPRsForWavesPerEU: 45
; NumVGPRsForWavesPerEU: 152
; AccumOffset: 152
; Occupancy: 3
; WaveLimiterHint : 1
; COMPUTE_PGM_RSRC2:SCRATCH_EN: 0
; COMPUTE_PGM_RSRC2:USER_SGPR: 2
; COMPUTE_PGM_RSRC2:TRAP_HANDLER: 0
; COMPUTE_PGM_RSRC2:TGID_X_EN: 1
; COMPUTE_PGM_RSRC2:TGID_Y_EN: 0
; COMPUTE_PGM_RSRC2:TGID_Z_EN: 1
; COMPUTE_PGM_RSRC2:TIDIG_COMP_CNT: 1
; COMPUTE_PGM_RSRC3_GFX90A:ACCUM_OFFSET: 37
; COMPUTE_PGM_RSRC3_GFX90A:TG_SPLIT: 0
	.section	.text._ZL26rocblas_hemvn_kernel_upperILb0ELi64ELi4ELi33ELi32ELi16EiPK19rocblas_complex_numIfEPKS3_PS1_EviT6_lT7_lT5_lS8_lS9_lS7_lT8_i,"axG",@progbits,_ZL26rocblas_hemvn_kernel_upperILb0ELi64ELi4ELi33ELi32ELi16EiPK19rocblas_complex_numIfEPKS3_PS1_EviT6_lT7_lT5_lS8_lS9_lS7_lT8_i,comdat
	.globl	_ZL26rocblas_hemvn_kernel_upperILb0ELi64ELi4ELi33ELi32ELi16EiPK19rocblas_complex_numIfEPKS3_PS1_EviT6_lT7_lT5_lS8_lS9_lS7_lT8_i ; -- Begin function _ZL26rocblas_hemvn_kernel_upperILb0ELi64ELi4ELi33ELi32ELi16EiPK19rocblas_complex_numIfEPKS3_PS1_EviT6_lT7_lT5_lS8_lS9_lS7_lT8_i
	.p2align	8
	.type	_ZL26rocblas_hemvn_kernel_upperILb0ELi64ELi4ELi33ELi32ELi16EiPK19rocblas_complex_numIfEPKS3_PS1_EviT6_lT7_lT5_lS8_lS9_lS7_lT8_i,@function
_ZL26rocblas_hemvn_kernel_upperILb0ELi64ELi4ELi33ELi32ELi16EiPK19rocblas_complex_numIfEPKS3_PS1_EviT6_lT7_lT5_lS8_lS9_lS7_lT8_i: ; @_ZL26rocblas_hemvn_kernel_upperILb0ELi64ELi4ELi33ELi32ELi16EiPK19rocblas_complex_numIfEPKS3_PS1_EviT6_lT7_lT5_lS8_lS9_lS7_lT8_i
; %bb.0:
	s_load_dwordx2 s[4:5], s[0:1], 0x84
	s_add_u32 s12, s0, 0x78
	s_mov_b32 s20, s3
	s_addc_u32 s13, s1, 0
	s_waitcnt lgkmcnt(0)
	s_and_b32 s3, s5, 0xffff
	s_lshr_b32 s5, s4, 16
	s_and_b32 s4, s4, 0xffff
	s_mul_i32 s4, s5, s4
	s_mul_i32 s4, s4, s3
	s_cmpk_lg_i32 s4, 0x100
	s_cbranch_scc1 .LBB181_154
; %bb.1:
	s_load_dwordx8 s[4:11], s[0:1], 0x8
	s_mov_b32 s21, 0
	s_waitcnt lgkmcnt(0)
	s_mul_i32 s3, s20, s7
	s_mul_hi_u32 s7, s20, s6
	s_add_i32 s7, s7, s3
	s_mul_i32 s6, s20, s6
	s_lshl_b64 s[6:7], s[6:7], 3
	s_add_u32 s14, s4, s6
	s_addc_u32 s15, s5, s7
	s_load_dwordx2 s[16:17], s[14:15], 0x0
	s_load_dwordx2 s[24:25], s[0:1], 0x68
	s_load_dwordx4 s[4:7], s[0:1], 0x58
	s_waitcnt lgkmcnt(0)
	s_or_b32 s3, s16, s17
	s_bitset0_b32 s3, 31
	s_cmp_lg_u32 s3, 0
	s_cselect_b64 s[14:15], -1, 0
	s_and_b64 vcc, exec, s[14:15]
	s_cbranch_vccnz .LBB181_4
; %bb.2:
	s_mul_i32 s3, s20, s7
	s_mul_hi_u32 s7, s20, s6
	s_add_i32 s7, s7, s3
	s_mul_i32 s6, s20, s6
	s_lshl_b64 s[6:7], s[6:7], 3
	s_add_u32 s4, s4, s6
	s_addc_u32 s5, s5, s7
	s_load_dwordx2 s[4:5], s[4:5], 0x0
	s_mov_b64 s[16:17], 0
	s_waitcnt lgkmcnt(0)
	v_cmp_eq_f32_e64 s[6:7], s4, 1.0
	v_cmp_eq_f32_e64 s[4:5], s5, 0
	s_and_b64 s[4:5], s[6:7], s[4:5]
	s_andn2_b64 vcc, exec, s[4:5]
	s_mov_b64 s[4:5], 0
                                        ; implicit-def: $sgpr6_sgpr7
	s_cbranch_vccz .LBB181_5
; %bb.3:
	s_mov_b64 s[4:5], -1
	s_mov_b64 s[6:7], 0
	s_branch .LBB181_5
.LBB181_4:
	s_mov_b64 s[16:17], -1
	s_mov_b64 s[4:5], 0
                                        ; implicit-def: $sgpr6_sgpr7
.LBB181_5:
	s_and_b64 vcc, exec, s[16:17]
	s_cbranch_vccz .LBB181_7
; %bb.6:
	s_lshl_b64 s[4:5], s[20:21], 3
	s_add_u32 s4, s8, s4
	s_addc_u32 s5, s9, s5
	s_load_dwordx2 s[4:5], s[4:5], 0x0
	s_lshl_b64 s[6:7], s[10:11], 3
	s_waitcnt lgkmcnt(0)
	s_add_u32 s6, s4, s6
	s_addc_u32 s7, s5, s7
	s_mov_b64 s[4:5], -1
.LBB181_7:
	s_andn2_b64 vcc, exec, s[4:5]
	s_cbranch_vccnz .LBB181_154
; %bb.8:
	v_cndmask_b32_e64 v1, 0, 1, s[14:15]
	v_cmp_ne_u32_e64 s[4:5], 1, v1
	s_andn2_b64 vcc, exec, s[14:15]
	s_mov_b64 s[8:9], 0
	s_cbranch_vccnz .LBB181_10
; %bb.9:
	s_load_dwordx4 s[8:11], s[0:1], 0x38
	s_lshl_b64 s[14:15], s[20:21], 3
	s_waitcnt lgkmcnt(0)
	s_add_u32 s8, s8, s14
	s_addc_u32 s9, s9, s15
	s_load_dwordx2 s[8:9], s[8:9], 0x0
	s_lshl_b64 s[10:11], s[10:11], 3
	s_waitcnt lgkmcnt(0)
	s_add_u32 s8, s8, s10
	s_addc_u32 s9, s9, s11
.LBB181_10:
	s_and_b64 vcc, exec, s[4:5]
	s_cbranch_vccnz .LBB181_154
; %bb.11:
	s_load_dword s3, s[12:13], 0x0
	s_load_dword s36, s[0:1], 0x0
	;; [unrolled: 1-line block ×3, first 2 shown]
	v_and_b32_e32 v30, 0x3ff, v0
	s_lshl_b32 s26, s2, 6
	v_add_u32_e32 v28, s26, v30
	s_waitcnt lgkmcnt(0)
	s_ashr_i32 s37, s36, 31
	s_lshr_b32 s5, s37, 26
	s_add_i32 s5, s36, s5
	s_andn2_b32 s5, s5, 63
	v_bfe_u32 v29, v0, 10, 10
	s_add_i32 s4, s3, -1
	s_sub_i32 s33, s36, s5
	v_mul_lo_u32 v0, v28, s21
	s_cmp_eq_u32 s2, s4
	v_ashrrev_i32_e32 v1, 31, v0
	s_cselect_b32 s16, s33, 0
	v_lshl_add_u64 v[14:15], v[0:1], 3, s[8:9]
	v_cmp_eq_u32_e64 s[12:13], 0, v29
	s_and_saveexec_b64 s[4:5], s[12:13]
	s_cbranch_execz .LBB181_16
; %bb.12:
	s_cmp_lg_u32 s16, 0
	s_cselect_b64 s[8:9], -1, 0
	v_cmp_le_i32_e32 vcc, s16, v30
	v_mov_b32_e32 v0, 0x2380
	s_and_b64 s[8:9], s[8:9], vcc
	v_lshl_add_u32 v0, v30, 3, v0
	s_and_saveexec_b64 s[10:11], s[8:9]
	s_xor_b64 s[8:9], exec, s[10:11]
	s_cbranch_execz .LBB181_14
; %bb.13:
	v_mov_b32_e32 v2, 0
	v_mov_b32_e32 v3, v2
	ds_write_b64 v0, v[2:3]
                                        ; implicit-def: $vgpr0
.LBB181_14:
	s_andn2_saveexec_b64 s[8:9], s[8:9]
	s_cbranch_execz .LBB181_16
; %bb.15:
	flat_load_dwordx2 v[2:3], v[14:15]
	s_waitcnt vmcnt(0) lgkmcnt(0)
	ds_write_b64 v0, v[2:3]
.LBB181_16:
	s_or_b64 exec, exec, s[4:5]
	s_load_dword s22, s[0:1], 0x28
	s_ashr_i32 s27, s26, 31
	v_lshl_add_u32 v22, v29, 6, v30
	s_lshl_b64 s[0:1], s[26:27], 3
	v_and_b32_e32 v0, 31, v30
	v_lshrrev_b32_e32 v1, 5, v22
	s_add_u32 s4, s6, s0
	s_addc_u32 s5, s7, s1
	s_waitcnt lgkmcnt(0)
	v_mad_u64_u32 v[12:13], s[0:1], v1, s22, v[0:1]
	s_mul_i32 s0, s26, s22
	s_ashr_i32 s1, s0, 31
	s_lshl_b64 s[0:1], s[0:1], 3
	s_add_u32 s0, s0, s4
	s_addc_u32 s1, s1, s5
	s_cmp_eq_u32 s16, 0
	s_cselect_b64 s[18:19], -1, 0
	s_cmp_lg_u32 s16, 0
	v_ashrrev_i32_e32 v13, 31, v12
	s_cselect_b64 s[30:31], -1, 0
	v_lshl_add_u64 v[4:5], v[12:13], 3, s[0:1]
	s_and_b64 vcc, exec, s[30:31]
	v_cmp_gt_i32_e64 s[0:1], s16, v0
	v_lshlrev_b32_e32 v2, 3, v0
	s_cbranch_vccz .LBB181_32
; %bb.17:
	v_sub_co_u32_e32 v6, vcc, v4, v2
	s_ashr_i32 s17, s16, 31
	s_nop 0
	v_subbrev_co_u32_e32 v7, vcc, 0, v5, vcc
	v_lshl_add_u64 v[6:7], s[16:17], 3, v[6:7]
	v_lshl_add_u64 v[6:7], v[6:7], 0, -8
	v_mov_b32_e32 v8, 0
	v_cndmask_b32_e64 v7, v7, v5, s[0:1]
	v_cndmask_b32_e64 v6, v6, v4, s[0:1]
	v_cmp_gt_i32_e32 vcc, s16, v1
	v_mov_b32_e32 v9, v8
	s_and_saveexec_b64 s[4:5], vcc
	s_cbranch_execz .LBB181_19
; %bb.18:
	flat_load_dwordx2 v[8:9], v[6:7]
.LBB181_19:
	s_or_b64 exec, exec, s[4:5]
	v_mul_u32_u24_e32 v3, 33, v1
	v_add_lshl_u32 v3, v3, v0, 3
	s_waitcnt vmcnt(0) lgkmcnt(0)
	ds_write_b64 v3, v[8:9]
	v_add_u32_e32 v8, 8, v1
	v_cmp_le_i32_e32 vcc, s16, v8
	s_and_saveexec_b64 s[4:5], vcc
	s_xor_b64 s[4:5], exec, s[4:5]
	s_cbranch_execz .LBB181_21
; %bb.20:
	v_mul_u32_u24_e32 v8, 33, v8
	v_add_lshl_u32 v10, v8, v0, 3
	v_mov_b32_e32 v8, 0
	v_mov_b32_e32 v9, v8
	ds_write_b64 v10, v[8:9]
.LBB181_21:
	s_andn2_saveexec_b64 s[4:5], s[4:5]
	s_cbranch_execz .LBB181_23
; %bb.22:
	s_lshl_b32 s6, s22, 3
	s_ashr_i32 s7, s6, 31
	v_lshl_add_u64 v[8:9], s[6:7], 3, v[6:7]
	flat_load_dwordx2 v[8:9], v[8:9]
	s_waitcnt vmcnt(0) lgkmcnt(0)
	ds_write_b64 v3, v[8:9] offset:2112
.LBB181_23:
	s_or_b64 exec, exec, s[4:5]
	v_add_u32_e32 v8, 16, v1
	v_cmp_le_i32_e32 vcc, s16, v8
	s_and_saveexec_b64 s[4:5], vcc
	s_xor_b64 s[4:5], exec, s[4:5]
	s_cbranch_execz .LBB181_25
; %bb.24:
	v_mov_b32_e32 v8, 0
	v_mov_b32_e32 v9, v8
	ds_write_b64 v3, v[8:9] offset:4224
.LBB181_25:
	s_andn2_saveexec_b64 s[4:5], s[4:5]
	s_cbranch_execz .LBB181_27
; %bb.26:
	s_lshl_b32 s6, s22, 4
	s_ashr_i32 s7, s6, 31
	v_lshl_add_u64 v[8:9], s[6:7], 3, v[6:7]
	flat_load_dwordx2 v[8:9], v[8:9]
	s_waitcnt vmcnt(0) lgkmcnt(0)
	ds_write_b64 v3, v[8:9] offset:4224
.LBB181_27:
	s_or_b64 exec, exec, s[4:5]
	v_add_u32_e32 v8, 24, v1
	v_cmp_le_i32_e32 vcc, s16, v8
	s_and_saveexec_b64 s[4:5], vcc
	s_xor_b64 s[4:5], exec, s[4:5]
	s_cbranch_execz .LBB181_29
; %bb.28:
	v_mov_b32_e32 v8, 0
	v_mov_b32_e32 v9, v8
	ds_write_b64 v3, v[8:9] offset:6336
                                        ; implicit-def: $vgpr3
.LBB181_29:
	s_andn2_saveexec_b64 s[4:5], s[4:5]
	s_cbranch_execz .LBB181_31
; %bb.30:
	s_mul_i32 s6, s22, 24
	s_ashr_i32 s7, s6, 31
	v_lshl_add_u64 v[8:9], s[6:7], 3, v[6:7]
	flat_load_dwordx2 v[8:9], v[8:9]
	s_waitcnt vmcnt(0) lgkmcnt(0)
	ds_write_b64 v3, v[8:9] offset:6336
.LBB181_31:
	s_or_b64 exec, exec, s[4:5]
	v_mov_b32_e32 v3, 0
	v_lshl_add_u64 v[6:7], v[6:7], 0, v[2:3]
	s_lshl_b64 s[4:5], s[16:17], 3
	v_mov_b32_e32 v3, s5
	v_subrev_co_u32_e32 v6, vcc, s4, v6
	s_nop 1
	v_subb_co_u32_e32 v7, vcc, v7, v3, vcc
	v_lshl_add_u64 v[6:7], v[6:7], 0, 8
	v_cndmask_b32_e64 v7, v7, v5, s[0:1]
	v_cndmask_b32_e64 v6, v6, v4, s[0:1]
	v_mul_u32_u24_e32 v19, 33, v1
	s_branch .LBB181_34
.LBB181_32:
                                        ; implicit-def: $vgpr6_vgpr7
	v_mul_u32_u24_e32 v19, 33, v1
	s_cbranch_execz .LBB181_34
; %bb.33:
	flat_load_dwordx2 v[6:7], v[4:5]
	s_lshl_b32 s0, s22, 3
	v_add_lshl_u32 v3, v19, v0, 3
	s_ashr_i32 s1, s0, 31
	v_lshl_add_u64 v[8:9], s[0:1], 3, v[4:5]
	s_ashr_i32 s23, s22, 31
	s_lshl_b64 s[0:1], s[22:23], 6
	s_waitcnt vmcnt(0) lgkmcnt(0)
	ds_write_b64 v3, v[6:7]
	flat_load_dwordx2 v[6:7], v[8:9]
	v_lshl_add_u64 v[8:9], v[8:9], 0, s[0:1]
	s_waitcnt vmcnt(0) lgkmcnt(0)
	ds_write_b64 v3, v[6:7] offset:2112
	flat_load_dwordx2 v[6:7], v[8:9]
	v_lshl_add_u64 v[8:9], v[8:9], 0, s[0:1]
	s_waitcnt vmcnt(0) lgkmcnt(0)
	ds_write_b64 v3, v[6:7] offset:4224
	flat_load_dwordx2 v[6:7], v[8:9]
	s_waitcnt vmcnt(0) lgkmcnt(0)
	ds_write_b64 v3, v[6:7] offset:6336
	v_mov_b64_e32 v[6:7], v[4:5]
.LBB181_34:
	v_lshlrev_b32_e32 v3, 2, v1
	v_mul_u32_u24_e32 v18, 33, v0
	v_cmp_gt_u32_e64 s[4:5], v3, v0
	v_add_lshl_u32 v16, v3, v18, 3
	s_waitcnt lgkmcnt(0)
	s_barrier
	s_and_saveexec_b64 s[0:1], s[4:5]
	s_cbranch_execz .LBB181_36
; %bb.35:
	v_mul_u32_u24_e32 v4, 0x84, v1
	v_add_lshl_u32 v4, v4, v0, 3
	ds_read_b64 v[4:5], v4
	s_waitcnt lgkmcnt(0)
	ds_write_b64 v16, v[4:5]
.LBB181_36:
	s_or_b64 exec, exec, s[0:1]
	v_cmp_ge_u32_e64 s[6:7], v3, v0
	s_and_saveexec_b64 s[0:1], s[6:7]
	s_cbranch_execz .LBB181_38
; %bb.37:
	v_or_b32_e32 v4, 1, v3
	v_mul_u32_u24_e32 v4, 33, v4
	v_add_lshl_u32 v4, v4, v0, 3
	ds_read_b64 v[4:5], v4
	s_waitcnt lgkmcnt(0)
	ds_write_b64 v16, v[4:5] offset:8
.LBB181_38:
	s_or_b64 exec, exec, s[0:1]
	v_or_b32_e32 v4, 2, v3
	v_cmp_gt_u32_e64 s[8:9], v4, v0
	s_and_saveexec_b64 s[0:1], s[8:9]
	s_cbranch_execz .LBB181_40
; %bb.39:
	v_mul_u32_u24_e32 v4, 33, v4
	v_add_lshl_u32 v4, v4, v0, 3
	ds_read_b64 v[4:5], v4
	s_waitcnt lgkmcnt(0)
	ds_write_b64 v16, v[4:5] offset:16
.LBB181_40:
	s_or_b64 exec, exec, s[0:1]
	v_or_b32_e32 v4, 3, v3
	v_cmp_gt_u32_e64 s[10:11], v4, v0
	v_mad_u32_u24 v4, v4, 33, v0
	v_lshlrev_b32_e32 v25, 3, v4
	s_and_saveexec_b64 s[0:1], s[10:11]
	s_cbranch_execz .LBB181_42
; %bb.41:
	ds_read_b64 v[4:5], v25
	s_waitcnt lgkmcnt(0)
	ds_write_b64 v16, v[4:5] offset:24
.LBB181_42:
	s_or_b64 exec, exec, s[0:1]
	v_mul_u32_u24_e32 v4, 0x84, v1
	v_add_lshl_u32 v20, v4, v0, 3
	s_waitcnt lgkmcnt(0)
	s_barrier
	v_lshlrev_b32_e32 v17, 3, v3
	v_add_u32_e32 v21, 0xfffffdf0, v25
	ds_read_b64 v[4:5], v20
	ds_read_b128 v[8:11], v17 offset:9088
	ds_read2_b64 v[32:35], v21 offset1:33
	ds_read_b64 v[26:27], v25
	ds_read_b128 v[36:39], v17 offset:9104
	s_mov_b32 s14, 0
	s_mov_b32 s15, s14
	s_waitcnt lgkmcnt(3)
	v_pk_mul_f32 v[40:41], v[8:9], v[4:5] op_sel:[0,1]
	v_add_lshl_u32 v23, v1, v18, 3
	v_pk_fma_f32 v[42:43], v[8:9], v[4:5], v[40:41] op_sel:[0,0,1] op_sel_hi:[1,1,0] neg_lo:[0,0,1] neg_hi:[0,0,1]
	v_pk_fma_f32 v[4:5], v[8:9], v[4:5], v[40:41] op_sel:[0,0,1] op_sel_hi:[1,0,0]
	s_waitcnt lgkmcnt(2)
	v_pk_mul_f32 v[8:9], v[10:11], v[32:33] op_sel:[0,1]
	v_mov_b32_e32 v43, v5
	v_pk_fma_f32 v[40:41], v[10:11], v[32:33], v[8:9] op_sel:[0,0,1] op_sel_hi:[1,1,0] neg_lo:[0,0,1] neg_hi:[0,0,1]
	v_pk_fma_f32 v[8:9], v[10:11], v[32:33], v[8:9] op_sel:[0,0,1] op_sel_hi:[1,0,0]
	v_pk_add_f32 v[4:5], v[42:43], 0 op_sel_hi:[1,0]
	v_mov_b32_e32 v41, v9
	s_waitcnt lgkmcnt(0)
	v_pk_mul_f32 v[8:9], v[36:37], v[34:35] op_sel:[0,1]
	v_pk_add_f32 v[4:5], v[4:5], v[40:41]
	v_pk_fma_f32 v[10:11], v[36:37], v[34:35], v[8:9] op_sel:[0,0,1] op_sel_hi:[1,1,0] neg_lo:[0,0,1] neg_hi:[0,0,1]
	v_pk_fma_f32 v[8:9], v[36:37], v[34:35], v[8:9] op_sel:[0,0,1] op_sel_hi:[1,0,0]
	v_cmp_gt_u32_e64 s[0:1], 32, v22
	v_mov_b32_e32 v11, v9
	v_pk_mul_f32 v[8:9], v[38:39], v[26:27] op_sel:[0,1]
	v_pk_add_f32 v[4:5], v[4:5], v[10:11]
	v_pk_fma_f32 v[10:11], v[38:39], v[26:27], v[8:9] op_sel:[0,0,1] op_sel_hi:[1,1,0] neg_lo:[0,0,1] neg_hi:[0,0,1]
	v_pk_fma_f32 v[8:9], v[38:39], v[26:27], v[8:9] op_sel:[0,0,1] op_sel_hi:[1,0,0]
	v_mov_b64_e32 v[32:33], s[14:15]
	v_mov_b32_e32 v11, v9
	v_pk_add_f32 v[4:5], v[4:5], v[10:11]
	v_lshlrev_b32_e32 v24, 3, v18
	s_barrier
	ds_write_b64 v23, v[4:5]
	s_waitcnt lgkmcnt(0)
	s_barrier
	s_and_saveexec_b64 s[14:15], s[0:1]
	s_cbranch_execz .LBB181_44
; %bb.43:
	ds_read2_b64 v[8:11], v24 offset1:7
	ds_read2_b64 v[32:35], v24 offset0:1 offset1:2
	ds_read2_b64 v[36:39], v24 offset0:3 offset1:4
	s_waitcnt lgkmcnt(1)
	v_add_f32_e32 v3, v32, v8
	v_add_f32_e32 v4, v33, v9
	v_add_f32_e32 v3, v3, v34
	v_add_f32_e32 v4, v4, v35
	ds_read2_b64 v[32:35], v24 offset0:5 offset1:6
	s_waitcnt lgkmcnt(1)
	v_add_f32_e32 v3, v3, v36
	v_add_f32_e32 v4, v4, v37
	;; [unrolled: 1-line block ×4, first 2 shown]
	s_waitcnt lgkmcnt(0)
	v_add_f32_e32 v3, v3, v32
	v_add_f32_e32 v5, v4, v33
	;; [unrolled: 1-line block ×4, first 2 shown]
	v_pk_add_f32 v[32:33], v[4:5], v[10:11]
.LBB181_44:
	s_or_b64 exec, exec, s[14:15]
	s_lshl_b32 s28, s22, 5
	s_ashr_i32 s29, s28, 31
	v_lshl_add_u64 v[6:7], s[28:29], 3, v[6:7]
	s_mov_b64 s[14:15], 0x100
	v_lshl_add_u64 v[4:5], v[6:7], 0, s[14:15]
	s_and_b64 vcc, exec, s[30:31]
	s_barrier
	s_cbranch_vccz .LBB181_60
; %bb.45:
	v_or_b32_e32 v3, 32, v0
	v_lshlrev_b32_e32 v8, 3, v3
	v_sub_co_u32_e32 v8, vcc, v4, v8
	s_ashr_i32 s17, s16, 31
	s_nop 0
	v_subbrev_co_u32_e32 v9, vcc, 0, v5, vcc
	v_lshl_add_u64 v[8:9], s[16:17], 3, v[8:9]
	v_lshl_add_u64 v[8:9], v[8:9], 0, -8
	v_cmp_gt_i32_e32 vcc, s16, v3
	s_sub_i32 s23, s16, 32
	v_mov_b32_e32 v10, 0
	v_cndmask_b32_e32 v9, v9, v5, vcc
	v_cndmask_b32_e32 v8, v8, v4, vcc
	v_cmp_gt_i32_e64 s[14:15], s23, v1
	v_mov_b32_e32 v11, v10
	s_and_saveexec_b64 s[34:35], s[14:15]
	s_cbranch_execz .LBB181_47
; %bb.46:
	flat_load_dwordx2 v[10:11], v[8:9]
.LBB181_47:
	s_or_b64 exec, exec, s[34:35]
	v_add_lshl_u32 v3, v19, v0, 3
	s_waitcnt vmcnt(0) lgkmcnt(0)
	ds_write_b64 v3, v[10:11]
	v_add_u32_e32 v10, 8, v1
	v_cmp_le_i32_e64 s[14:15], s23, v10
	s_and_saveexec_b64 s[34:35], s[14:15]
	s_xor_b64 s[14:15], exec, s[34:35]
	s_cbranch_execz .LBB181_49
; %bb.48:
	v_mul_u32_u24_e32 v10, 33, v10
	v_add_lshl_u32 v26, v10, v0, 3
	v_mov_b32_e32 v10, 0
	v_mov_b32_e32 v11, v10
	ds_write_b64 v26, v[10:11]
.LBB181_49:
	s_andn2_saveexec_b64 s[14:15], s[14:15]
	s_cbranch_execz .LBB181_51
; %bb.50:
	s_lshl_b32 s34, s22, 3
	s_ashr_i32 s35, s34, 31
	v_lshl_add_u64 v[10:11], s[34:35], 3, v[8:9]
	flat_load_dwordx2 v[10:11], v[10:11]
	s_waitcnt vmcnt(0) lgkmcnt(0)
	ds_write_b64 v3, v[10:11] offset:2112
.LBB181_51:
	s_or_b64 exec, exec, s[14:15]
	v_add_u32_e32 v10, 16, v1
	v_cmp_le_i32_e64 s[14:15], s23, v10
	s_and_saveexec_b64 s[34:35], s[14:15]
	s_xor_b64 s[14:15], exec, s[34:35]
	s_cbranch_execz .LBB181_53
; %bb.52:
	v_mul_u32_u24_e32 v10, 33, v10
	v_add_lshl_u32 v26, v10, v0, 3
	v_mov_b32_e32 v10, 0
	v_mov_b32_e32 v11, v10
	ds_write_b64 v26, v[10:11]
.LBB181_53:
	s_andn2_saveexec_b64 s[14:15], s[14:15]
	s_cbranch_execz .LBB181_55
; %bb.54:
	s_lshl_b32 s34, s22, 4
	s_ashr_i32 s35, s34, 31
	v_lshl_add_u64 v[10:11], s[34:35], 3, v[8:9]
	flat_load_dwordx2 v[10:11], v[10:11]
	s_waitcnt vmcnt(0) lgkmcnt(0)
	ds_write_b64 v3, v[10:11] offset:4224
.LBB181_55:
	s_or_b64 exec, exec, s[14:15]
	v_add_u32_e32 v10, 24, v1
	v_cmp_le_i32_e64 s[14:15], s23, v10
	s_and_saveexec_b64 s[34:35], s[14:15]
	s_xor_b64 s[14:15], exec, s[34:35]
	s_cbranch_execz .LBB181_57
; %bb.56:
	v_mov_b32_e32 v10, 0
	v_mov_b32_e32 v11, v10
	ds_write_b64 v3, v[10:11] offset:6336
                                        ; implicit-def: $vgpr3
.LBB181_57:
	s_andn2_saveexec_b64 s[14:15], s[14:15]
	s_cbranch_execz .LBB181_59
; %bb.58:
	s_mul_i32 s34, s22, 24
	s_ashr_i32 s35, s34, 31
	v_lshl_add_u64 v[10:11], s[34:35], 3, v[8:9]
	flat_load_dwordx2 v[10:11], v[10:11]
	s_waitcnt vmcnt(0) lgkmcnt(0)
	ds_write_b64 v3, v[10:11] offset:6336
.LBB181_59:
	s_or_b64 exec, exec, s[14:15]
	v_mov_b32_e32 v3, 0
	v_lshl_add_u64 v[8:9], v[8:9], 0, v[2:3]
	s_lshl_b64 s[14:15], s[16:17], 3
	v_mov_b32_e32 v3, s15
	v_subrev_co_u32_e64 v8, s[14:15], s14, v8
	s_nop 1
	v_subb_co_u32_e64 v9, s[14:15], v9, v3, s[14:15]
	s_mov_b64 s[14:15], 0x108
	s_nop 0
	v_lshl_add_u64 v[8:9], v[8:9], 0, s[14:15]
	v_cndmask_b32_e32 v9, v9, v5, vcc
	v_cndmask_b32_e32 v8, v8, v4, vcc
	s_branch .LBB181_62
.LBB181_60:
                                        ; implicit-def: $vgpr8_vgpr9
	s_cbranch_execz .LBB181_62
; %bb.61:
	flat_load_dwordx2 v[8:9], v[6:7] offset:256
	s_lshl_b32 s14, s22, 3
	v_add_lshl_u32 v3, v19, v0, 3
	s_ashr_i32 s15, s14, 31
	v_lshl_add_u64 v[6:7], s[14:15], 3, v[6:7]
	s_ashr_i32 s23, s22, 31
	s_lshl_b64 s[14:15], s[22:23], 6
	s_waitcnt vmcnt(0) lgkmcnt(0)
	ds_write_b64 v3, v[8:9]
	flat_load_dwordx2 v[8:9], v[6:7] offset:256
	v_lshl_add_u64 v[6:7], v[6:7], 0, s[14:15]
	s_waitcnt vmcnt(0) lgkmcnt(0)
	ds_write_b64 v3, v[8:9] offset:2112
	flat_load_dwordx2 v[8:9], v[6:7] offset:256
	v_lshl_add_u64 v[6:7], v[6:7], 0, s[14:15]
	s_waitcnt vmcnt(0) lgkmcnt(0)
	ds_write_b64 v3, v[8:9] offset:4224
	flat_load_dwordx2 v[6:7], v[6:7] offset:256
	v_mov_b64_e32 v[8:9], v[4:5]
	s_waitcnt vmcnt(0) lgkmcnt(0)
	ds_write_b64 v3, v[6:7] offset:6336
.LBB181_62:
	s_waitcnt lgkmcnt(0)
	s_barrier
	s_and_saveexec_b64 s[14:15], s[4:5]
	s_cbranch_execnz .LBB181_85
; %bb.63:
	s_or_b64 exec, exec, s[14:15]
	s_and_saveexec_b64 s[4:5], s[6:7]
	s_cbranch_execnz .LBB181_86
.LBB181_64:
	s_or_b64 exec, exec, s[4:5]
	s_and_saveexec_b64 s[4:5], s[8:9]
	s_cbranch_execnz .LBB181_87
.LBB181_65:
	s_or_b64 exec, exec, s[4:5]
	v_add_u32_e32 v26, 0x2380, v17
	s_and_saveexec_b64 s[4:5], s[10:11]
	s_cbranch_execz .LBB181_67
.LBB181_66:
	ds_read_b64 v[4:5], v25
	s_waitcnt lgkmcnt(0)
	ds_write_b64 v16, v[4:5] offset:24
.LBB181_67:
	s_or_b64 exec, exec, s[4:5]
	s_waitcnt lgkmcnt(0)
	s_barrier
	ds_read_b64 v[10:11], v20
	ds_read_b128 v[4:7], v26 offset:256
	ds_read2_b64 v[34:37], v21 offset1:33
	ds_read_b64 v[16:17], v25
	ds_read_b128 v[38:41], v26 offset:272
	v_cmp_eq_u32_e64 s[4:5], 1, v1
	s_waitcnt lgkmcnt(3)
	v_pk_mul_f32 v[42:43], v[4:5], v[10:11] op_sel:[0,1]
	s_waitcnt lgkmcnt(0)
	v_pk_fma_f32 v[44:45], v[4:5], v[10:11], v[42:43] op_sel:[0,0,1] op_sel_hi:[1,1,0] neg_lo:[0,0,1] neg_hi:[0,0,1]
	v_pk_fma_f32 v[4:5], v[4:5], v[10:11], v[42:43] op_sel:[0,0,1] op_sel_hi:[1,0,0]
	v_pk_mul_f32 v[10:11], v[6:7], v[34:35] op_sel:[0,1]
	v_mov_b32_e32 v45, v5
	v_pk_fma_f32 v[42:43], v[6:7], v[34:35], v[10:11] op_sel:[0,0,1] op_sel_hi:[1,1,0] neg_lo:[0,0,1] neg_hi:[0,0,1]
	v_pk_fma_f32 v[6:7], v[6:7], v[34:35], v[10:11] op_sel:[0,0,1] op_sel_hi:[1,0,0]
	v_pk_add_f32 v[4:5], v[44:45], 0 op_sel_hi:[1,0]
	v_mov_b32_e32 v43, v7
	v_pk_mul_f32 v[6:7], v[38:39], v[36:37] op_sel:[0,1]
	v_pk_add_f32 v[4:5], v[4:5], v[42:43]
	v_pk_fma_f32 v[10:11], v[38:39], v[36:37], v[6:7] op_sel:[0,0,1] op_sel_hi:[1,1,0] neg_lo:[0,0,1] neg_hi:[0,0,1]
	v_pk_fma_f32 v[6:7], v[38:39], v[36:37], v[6:7] op_sel:[0,0,1] op_sel_hi:[1,0,0]
	s_barrier
	v_mov_b32_e32 v11, v7
	v_pk_mul_f32 v[6:7], v[40:41], v[16:17] op_sel:[0,1]
	v_pk_add_f32 v[4:5], v[4:5], v[10:11]
	v_pk_fma_f32 v[10:11], v[40:41], v[16:17], v[6:7] op_sel:[0,0,1] op_sel_hi:[1,1,0] neg_lo:[0,0,1] neg_hi:[0,0,1]
	v_pk_fma_f32 v[6:7], v[40:41], v[16:17], v[6:7] op_sel:[0,0,1] op_sel_hi:[1,0,0]
	s_nop 0
	v_mov_b32_e32 v11, v7
	v_pk_add_f32 v[4:5], v[4:5], v[10:11]
	ds_write_b64 v23, v[4:5]
	s_waitcnt lgkmcnt(0)
	s_barrier
	s_and_saveexec_b64 s[6:7], s[4:5]
	s_cbranch_execz .LBB181_69
; %bb.68:
	ds_read2_b64 v[4:7], v24 offset1:7
	ds_read2_b64 v[32:35], v24 offset0:1 offset1:2
	ds_read2_b64 v[36:39], v24 offset0:3 offset1:4
	s_waitcnt lgkmcnt(1)
	v_add_f32_e32 v3, v32, v4
	v_add_f32_e32 v4, v33, v5
	;; [unrolled: 1-line block ×4, first 2 shown]
	ds_read2_b64 v[32:35], v24 offset0:5 offset1:6
	s_waitcnt lgkmcnt(1)
	v_add_f32_e32 v3, v3, v36
	v_add_f32_e32 v4, v4, v37
	;; [unrolled: 1-line block ×4, first 2 shown]
	s_waitcnt lgkmcnt(0)
	v_add_f32_e32 v4, v3, v32
	v_add_f32_e32 v5, v5, v33
	v_pk_add_f32 v[4:5], v[4:5], v[34:35]
	s_nop 0
	v_pk_add_f32 v[32:33], v[4:5], v[6:7]
.LBB181_69:
	s_or_b64 exec, exec, s[6:7]
	s_movk_i32 s6, 0xff00
	s_mov_b32 s7, -1
	v_lshl_add_u64 v[4:5], v[8:9], 0, s[6:7]
	s_and_b64 vcc, exec, s[30:31]
	s_barrier
	s_cbranch_vccz .LBB181_88
; %bb.70:
	v_sub_co_u32_e32 v6, vcc, v4, v2
	s_ashr_i32 s17, s16, 31
	s_nop 0
	v_subbrev_co_u32_e32 v7, vcc, 0, v5, vcc
	v_lshl_add_u64 v[6:7], s[16:17], 3, v[6:7]
	v_lshl_add_u64 v[6:7], v[6:7], 0, -8
	v_cmp_gt_i32_e32 vcc, s16, v0
	s_sub_i32 s10, s16, 32
	v_mov_b32_e32 v8, 0
	v_cndmask_b32_e32 v7, v7, v5, vcc
	v_cndmask_b32_e32 v6, v6, v4, vcc
	v_cmp_gt_i32_e64 s[6:7], s10, v1
	v_mov_b32_e32 v9, v8
	s_and_saveexec_b64 s[8:9], s[6:7]
	s_cbranch_execz .LBB181_72
; %bb.71:
	flat_load_dwordx2 v[8:9], v[6:7]
.LBB181_72:
	s_or_b64 exec, exec, s[8:9]
	v_add_lshl_u32 v3, v19, v0, 3
	s_waitcnt vmcnt(0) lgkmcnt(0)
	ds_write_b64 v3, v[8:9]
	v_add_u32_e32 v8, 8, v1
	v_cmp_le_i32_e64 s[6:7], s10, v8
	s_and_saveexec_b64 s[8:9], s[6:7]
	s_xor_b64 s[6:7], exec, s[8:9]
	s_cbranch_execz .LBB181_74
; %bb.73:
	v_mul_u32_u24_e32 v9, 33, v8
	v_mov_b32_e32 v10, 0
	v_add_lshl_u32 v9, v9, v0, 3
	v_mov_b32_e32 v11, v10
	ds_write_b64 v9, v[10:11]
.LBB181_74:
	s_andn2_saveexec_b64 s[6:7], s[6:7]
	s_cbranch_execz .LBB181_76
; %bb.75:
	s_lshl_b32 s8, s22, 3
	s_ashr_i32 s9, s8, 31
	v_lshl_add_u64 v[10:11], s[8:9], 3, v[6:7]
	flat_load_dwordx2 v[10:11], v[10:11]
	s_waitcnt vmcnt(0) lgkmcnt(0)
	ds_write_b64 v3, v[10:11] offset:2112
.LBB181_76:
	s_or_b64 exec, exec, s[6:7]
	v_add_u32_e32 v9, 16, v1
	v_cmp_le_i32_e64 s[6:7], s10, v9
	s_and_saveexec_b64 s[8:9], s[6:7]
	s_xor_b64 s[6:7], exec, s[8:9]
	s_cbranch_execz .LBB181_78
; %bb.77:
	v_mov_b32_e32 v10, 0
	v_mov_b32_e32 v11, v10
	ds_write_b64 v3, v[10:11] offset:4224
.LBB181_78:
	s_andn2_saveexec_b64 s[6:7], s[6:7]
	s_cbranch_execz .LBB181_80
; %bb.79:
	s_lshl_b32 s8, s22, 4
	s_ashr_i32 s9, s8, 31
	v_lshl_add_u64 v[10:11], s[8:9], 3, v[6:7]
	flat_load_dwordx2 v[10:11], v[10:11]
	s_waitcnt vmcnt(0) lgkmcnt(0)
	ds_write_b64 v3, v[10:11] offset:4224
.LBB181_80:
	s_or_b64 exec, exec, s[6:7]
	v_add_u32_e32 v10, 24, v1
	v_cmp_le_i32_e64 s[6:7], s10, v10
	s_and_saveexec_b64 s[8:9], s[6:7]
	s_xor_b64 s[6:7], exec, s[8:9]
	s_cbranch_execz .LBB181_82
; %bb.81:
	v_mov_b32_e32 v16, 0
	v_mov_b32_e32 v17, v16
	ds_write_b64 v3, v[16:17] offset:6336
                                        ; implicit-def: $vgpr3
.LBB181_82:
	s_andn2_saveexec_b64 s[6:7], s[6:7]
	s_cbranch_execz .LBB181_84
; %bb.83:
	s_mul_i32 s8, s22, 24
	s_ashr_i32 s9, s8, 31
	v_lshl_add_u64 v[16:17], s[8:9], 3, v[6:7]
	flat_load_dwordx2 v[16:17], v[16:17]
	s_waitcnt vmcnt(0) lgkmcnt(0)
	ds_write_b64 v3, v[16:17] offset:6336
.LBB181_84:
	s_or_b64 exec, exec, s[6:7]
	v_mov_b32_e32 v3, 0
	v_lshl_add_u64 v[2:3], v[6:7], 0, v[2:3]
	s_lshl_b64 s[6:7], s[16:17], 3
	v_mov_b32_e32 v6, s7
	v_subrev_co_u32_e64 v2, s[6:7], s6, v2
	s_nop 1
	v_subb_co_u32_e64 v3, s[6:7], v3, v6, s[6:7]
	v_lshl_add_u64 v[2:3], v[2:3], 0, 8
	v_cndmask_b32_e32 v17, v3, v5, vcc
	v_cndmask_b32_e32 v16, v2, v4, vcc
	s_branch .LBB181_90
.LBB181_85:
	ds_read_b64 v[4:5], v20
	s_waitcnt lgkmcnt(0)
	ds_write_b64 v16, v[4:5]
	s_or_b64 exec, exec, s[14:15]
	s_and_saveexec_b64 s[4:5], s[6:7]
	s_cbranch_execz .LBB181_64
.LBB181_86:
	ds_read_b64 v[4:5], v21
	s_waitcnt lgkmcnt(0)
	ds_write_b64 v16, v[4:5] offset:8
	s_or_b64 exec, exec, s[4:5]
	s_and_saveexec_b64 s[4:5], s[8:9]
	s_cbranch_execz .LBB181_65
.LBB181_87:
	ds_read_b64 v[4:5], v21 offset:264
	s_waitcnt lgkmcnt(0)
	ds_write_b64 v16, v[4:5] offset:16
	s_or_b64 exec, exec, s[4:5]
	v_add_u32_e32 v26, 0x2380, v17
	s_and_saveexec_b64 s[4:5], s[10:11]
	s_cbranch_execnz .LBB181_66
	s_branch .LBB181_67
.LBB181_88:
                                        ; implicit-def: $vgpr16_vgpr17
                                        ; implicit-def: $vgpr8
                                        ; implicit-def: $vgpr9
                                        ; implicit-def: $vgpr10
	s_cbranch_execz .LBB181_90
; %bb.89:
	flat_load_dwordx2 v[2:3], v[4:5]
	s_lshl_b32 s6, s22, 3
	v_add_lshl_u32 v0, v19, v0, 3
	s_ashr_i32 s7, s6, 31
	v_lshl_add_u64 v[6:7], s[6:7], 3, v[4:5]
	s_ashr_i32 s23, s22, 31
	s_lshl_b64 s[6:7], s[22:23], 6
	v_add_u32_e32 v8, 8, v1
	v_add_u32_e32 v9, 16, v1
	;; [unrolled: 1-line block ×3, first 2 shown]
	v_mov_b64_e32 v[16:17], v[4:5]
	s_waitcnt vmcnt(0) lgkmcnt(0)
	ds_write_b64 v0, v[2:3]
	flat_load_dwordx2 v[2:3], v[6:7]
	v_lshl_add_u64 v[6:7], v[6:7], 0, s[6:7]
	s_waitcnt vmcnt(0) lgkmcnt(0)
	ds_write_b64 v0, v[2:3] offset:2112
	flat_load_dwordx2 v[2:3], v[6:7]
	v_lshl_add_u64 v[6:7], v[6:7], 0, s[6:7]
	s_waitcnt vmcnt(0) lgkmcnt(0)
	ds_write_b64 v0, v[2:3] offset:4224
	flat_load_dwordx2 v[2:3], v[6:7]
	s_waitcnt vmcnt(0) lgkmcnt(0)
	ds_write_b64 v0, v[2:3] offset:6336
.LBB181_90:
	v_lshlrev_b32_e32 v19, 3, v1
	v_lshlrev_b32_e32 v36, 3, v8
	v_add_lshl_u32 v27, v9, v18, 3
	v_lshlrev_b32_e32 v46, 3, v9
	v_add_lshl_u32 v44, v10, v18, 3
	v_lshlrev_b32_e32 v42, 3, v10
	s_waitcnt lgkmcnt(0)
	s_barrier
	v_add_lshl_u32 v31, v8, v18, 3
	ds_read2_b64 v[4:7], v21 offset1:33
	ds_read_b64 v[20:21], v20
	ds_read_b128 v[8:11], v26 offset:256
	ds_read_b64 v[34:35], v23
	ds_read_b128 v[0:3], v26 offset:272
	ds_read_b64 v[26:27], v27
	ds_read_b64 v[36:37], v36 offset:9088
	ds_read_b64 v[38:39], v31
	ds_read_b64 v[40:41], v19 offset:9088
	;; [unrolled: 2-line block ×4, first 2 shown]
	s_waitcnt lgkmcnt(4)
	v_pk_mul_f32 v[48:49], v[40:41], v[34:35] op_sel:[0,1]
	s_waitcnt lgkmcnt(0)
	v_pk_fma_f32 v[50:51], v[40:41], v[34:35], v[48:49] op_sel:[0,0,1] op_sel_hi:[1,1,0] neg_lo:[0,0,1] neg_hi:[0,0,1]
	v_pk_fma_f32 v[34:35], v[40:41], v[34:35], v[48:49] op_sel:[0,0,1] op_sel_hi:[1,0,0]
	v_pk_mul_f32 v[40:41], v[36:37], v[38:39] op_sel:[0,1]
	v_mov_b32_e32 v51, v35
	v_pk_fma_f32 v[48:49], v[36:37], v[38:39], v[40:41] op_sel:[0,0,1] op_sel_hi:[1,1,0] neg_lo:[0,0,1] neg_hi:[0,0,1]
	v_pk_fma_f32 v[36:37], v[36:37], v[38:39], v[40:41] op_sel:[0,0,1] op_sel_hi:[1,0,0]
	v_pk_add_f32 v[34:35], v[50:51], 0 op_sel_hi:[1,0]
	v_mov_b32_e32 v49, v37
	v_pk_mul_f32 v[36:37], v[46:47], v[26:27] op_sel:[0,1]
	v_pk_add_f32 v[34:35], v[34:35], v[48:49]
	v_pk_fma_f32 v[38:39], v[46:47], v[26:27], v[36:37] op_sel:[0,0,1] op_sel_hi:[1,1,0] neg_lo:[0,0,1] neg_hi:[0,0,1]
	v_pk_fma_f32 v[26:27], v[46:47], v[26:27], v[36:37] op_sel:[0,0,1] op_sel_hi:[1,0,0]
	s_barrier
	v_mov_b32_e32 v39, v27
	v_pk_add_f32 v[26:27], v[34:35], v[38:39]
	v_pk_mul_f32 v[34:35], v[42:43], v[44:45] op_sel:[0,1]
	s_nop 0
	v_pk_fma_f32 v[36:37], v[42:43], v[44:45], v[34:35] op_sel:[0,0,1] op_sel_hi:[1,1,0] neg_lo:[0,0,1] neg_hi:[0,0,1]
	v_pk_fma_f32 v[34:35], v[42:43], v[44:45], v[34:35] op_sel:[0,0,1] op_sel_hi:[1,0,0]
	s_nop 0
	v_mov_b32_e32 v37, v35
	v_pk_add_f32 v[26:27], v[26:27], v[36:37]
	ds_write_b64 v23, v[26:27]
	s_waitcnt lgkmcnt(0)
	s_barrier
	s_and_saveexec_b64 s[6:7], s[4:5]
	s_cbranch_execz .LBB181_92
; %bb.91:
	ds_read2_b64 v[34:37], v24 offset1:1
	ds_read2_b64 v[38:41], v24 offset0:2 offset1:3
	ds_read2_b64 v[42:45], v24 offset0:6 offset1:7
	s_waitcnt lgkmcnt(2)
	v_pk_add_f32 v[26:27], v[32:33], v[34:35]
	ds_read2_b64 v[32:35], v24 offset0:4 offset1:5
	v_pk_add_f32 v[26:27], v[26:27], v[36:37]
	s_waitcnt lgkmcnt(2)
	v_pk_add_f32 v[26:27], v[26:27], v[38:39]
	s_nop 0
	v_pk_add_f32 v[26:27], v[26:27], v[40:41]
	s_waitcnt lgkmcnt(0)
	v_pk_add_f32 v[26:27], v[26:27], v[32:33]
	s_nop 0
	v_pk_add_f32 v[26:27], v[26:27], v[34:35]
	s_nop 0
	;; [unrolled: 2-line block ×3, first 2 shown]
	v_pk_add_f32 v[32:33], v[26:27], v[44:45]
.LBB181_92:
	s_or_b64 exec, exec, s[6:7]
	v_pk_mul_f32 v[26:27], v[8:9], v[20:21] op_sel:[0,1]
	s_nop 0
	v_pk_fma_f32 v[34:35], v[8:9], v[20:21], v[26:27] op_sel:[0,0,1] op_sel_hi:[1,1,0] neg_lo:[0,0,1] neg_hi:[0,0,1]
	v_pk_fma_f32 v[8:9], v[8:9], v[20:21], v[26:27] op_sel:[0,0,1] op_sel_hi:[1,0,0]
	v_pk_mul_f32 v[20:21], v[10:11], v[4:5] op_sel:[0,1]
	v_mov_b32_e32 v35, v9
	v_pk_fma_f32 v[26:27], v[10:11], v[4:5], v[20:21] op_sel:[0,0,1] op_sel_hi:[1,1,0] neg_lo:[0,0,1] neg_hi:[0,0,1]
	v_pk_fma_f32 v[4:5], v[10:11], v[4:5], v[20:21] op_sel:[0,0,1] op_sel_hi:[1,0,0]
	v_pk_add_f32 v[8:9], v[34:35], 0 op_sel_hi:[1,0]
	v_mov_b32_e32 v27, v5
	v_pk_add_f32 v[4:5], v[8:9], v[26:27]
	v_pk_mul_f32 v[8:9], v[0:1], v[6:7] op_sel:[0,1]
	s_barrier
	v_pk_fma_f32 v[10:11], v[0:1], v[6:7], v[8:9] op_sel:[0,0,1] op_sel_hi:[1,1,0] neg_lo:[0,0,1] neg_hi:[0,0,1]
	v_pk_fma_f32 v[0:1], v[0:1], v[6:7], v[8:9] op_sel:[0,0,1] op_sel_hi:[1,0,0]
	s_nop 0
	v_mov_b32_e32 v11, v1
	v_pk_add_f32 v[0:1], v[4:5], v[10:11]
	v_pk_mul_f32 v[4:5], v[2:3], v[18:19] op_sel:[0,1]
	s_nop 0
	v_pk_fma_f32 v[6:7], v[2:3], v[18:19], v[4:5] op_sel:[0,0,1] op_sel_hi:[1,1,0] neg_lo:[0,0,1] neg_hi:[0,0,1]
	v_pk_fma_f32 v[2:3], v[2:3], v[18:19], v[4:5] op_sel:[0,0,1] op_sel_hi:[1,0,0]
	s_nop 0
	v_mov_b32_e32 v7, v3
	v_pk_add_f32 v[0:1], v[0:1], v[6:7]
	ds_write_b64 v23, v[0:1]
	s_waitcnt lgkmcnt(0)
	s_barrier
	s_and_saveexec_b64 s[4:5], s[0:1]
	s_cbranch_execz .LBB181_94
; %bb.93:
	ds_read2_b64 v[0:3], v24 offset1:1
	ds_read2_b64 v[4:7], v24 offset0:2 offset1:3
	ds_read2_b64 v[8:11], v24 offset0:4 offset1:5
	s_waitcnt lgkmcnt(2)
	v_pk_add_f32 v[0:1], v[32:33], v[0:1]
	s_nop 0
	v_pk_add_f32 v[18:19], v[0:1], v[2:3]
	ds_read2_b64 v[0:3], v24 offset0:6 offset1:7
	s_waitcnt lgkmcnt(2)
	v_pk_add_f32 v[4:5], v[18:19], v[4:5]
	s_nop 0
	v_pk_add_f32 v[4:5], v[4:5], v[6:7]
	s_waitcnt lgkmcnt(1)
	v_pk_add_f32 v[4:5], v[4:5], v[8:9]
	s_nop 0
	v_pk_add_f32 v[4:5], v[4:5], v[10:11]
	;; [unrolled: 4-line block ×3, first 2 shown]
.LBB181_94:
	s_or_b64 exec, exec, s[4:5]
	s_mul_hi_u32 s0, s36, s20
	s_mul_i32 s37, s37, s20
	s_add_i32 s0, s0, s37
	s_mul_i32 s4, s36, s20
	s_mul_i32 s0, s0, s3
	s_mul_hi_u32 s1, s4, s3
	s_add_i32 s1, s1, s0
	s_mul_i32 s0, s4, s3
	s_lshl_b64 s[0:1], s[0:1], 3
	s_add_u32 s4, s24, s0
	s_addc_u32 s5, s25, s1
	s_mul_hi_i32 s1, s36, s2
	s_mul_i32 s0, s36, s2
	s_lshl_b64 s[0:1], s[0:1], 3
	s_add_u32 s6, s4, s0
	s_addc_u32 s7, s5, s1
	s_add_i32 s8, s2, 1
	s_cmp_ge_u32 s8, s3
	v_lshlrev_b32_e32 v31, 3, v30
	s_barrier
	s_cbranch_scc1 .LBB181_152
; %bb.95:
	s_mul_i32 s0, s26, s21
	v_and_b32_e32 v4, 48, v30
	s_ashr_i32 s1, s0, 31
	v_and_b32_e32 v2, 15, v30
	v_lshlrev_b32_e32 v5, 3, v4
	s_movk_i32 s9, 0x218
	s_lshl_b64 s[0:1], s[0:1], 3
	v_lshrrev_b32_e32 v3, 4, v22
	s_lshl_b32 s27, s21, 6
	s_lshl_b32 s4, s22, 4
	v_mad_u32_u24 v137, v2, s9, v5
	v_or_b32_e32 v5, 0x78, v31
	s_ashr_i32 s23, s22, 31
	s_lshl_b32 s24, s22, 1
	s_mul_i32 s30, s22, 3
	s_mul_i32 s21, s21, s8
	v_lshlrev_b32_e32 v134, 2, v29
	v_mov_b32_e32 v0, s1
	v_subrev_co_u32_e32 v34, vcc, s0, v14
	s_add_i32 s17, s3, -2
	s_ashr_i32 s5, s4, 31
	v_mad_u32_u24 v138, v2, s9, v5
	v_lshlrev_b32_e32 v5, 5, v3
	s_ashr_i32 s25, s24, 31
	v_mul_i32_i24_e32 v6, 0xffffffe8, v3
	s_ashr_i32 s31, s30, 31
	s_lshl_b64 s[14:15], s[22:23], 3
	s_lshl_b32 s8, s21, 6
	v_add_u32_e32 v3, s26, v4
	s_lshl_b64 s[20:21], s[22:23], 4
	s_lshl_b64 s[34:35], s[28:29], 3
	v_subb_co_u32_e32 v35, vcc, v15, v0, vcc
	v_mad_u64_u32 v[0:1], s[0:1], v134, s22, v[30:31]
	v_mad_u32_u24 v139, v2, s9, v5
	v_add3_u32 v36, v3, v2, 64
	v_lshlrev_b64 v[2:3], 3, v[12:13]
	s_add_u32 s36, s20, s34
	v_ashrrev_i32_e32 v1, 31, v0
	v_sub_co_u32_e32 v38, vcc, 0, v2
	s_addc_u32 s37, s21, s35
	s_lshl_b64 s[10:11], s[4:5], 5
	v_mov_b32_e32 v5, 0x2180
	v_subb_co_u32_e32 v39, vcc, 0, v3, vcc
	v_lshlrev_b64 v[2:3], 3, v[0:1]
	s_add_u32 s38, s14, s34
	v_lshl_add_u32 v143, v29, 5, v5
	v_lshl_add_u64 v[4:5], s[36:37], 0, v[2:3]
	s_addc_u32 s39, s15, s35
	s_lshl_b64 s[24:25], s[24:25], 3
	v_lshl_add_u64 v[40:41], v[16:17], 0, v[4:5]
	v_lshl_add_u64 v[4:5], s[38:39], 0, v[2:3]
	s_add_u32 s40, s34, s24
	v_lshl_add_u64 v[42:43], v[16:17], 0, v[4:5]
	v_lshl_add_u64 v[4:5], s[34:35], 0, v[2:3]
	s_addc_u32 s41, s35, s25
	s_lshl_b64 s[30:31], s[30:31], 3
	v_lshl_add_u64 v[44:45], v[16:17], 0, v[4:5]
	v_lshl_add_u64 v[4:5], s[40:41], 0, v[2:3]
	s_add_u32 s40, s34, s30
	s_addc_u32 s41, s35, s31
	v_lshl_add_u64 v[46:47], v[16:17], 0, v[4:5]
	v_lshl_add_u64 v[4:5], s[40:41], 0, v[2:3]
	s_lshl_b64 s[40:41], s[4:5], 3
	s_add_u32 s42, s36, s40
	s_addc_u32 s43, s37, s41
	s_add_u32 s38, s38, s40
	v_lshl_add_u64 v[48:49], v[16:17], 0, v[4:5]
	v_lshl_add_u64 v[4:5], s[42:43], 0, v[2:3]
	s_addc_u32 s39, s39, s41
	v_lshl_add_u64 v[50:51], v[16:17], 0, v[4:5]
	v_lshl_add_u64 v[4:5], s[38:39], 0, v[2:3]
	s_add_u32 s38, s34, s40
	s_addc_u32 s39, s35, s41
	s_add_u32 s40, s38, s24
	s_addc_u32 s41, s39, s25
	v_lshl_add_u64 v[52:53], v[16:17], 0, v[4:5]
	v_lshl_add_u64 v[4:5], s[38:39], 0, v[2:3]
	s_add_u32 s38, s38, s30
	v_lshl_add_u64 v[54:55], v[16:17], 0, v[4:5]
	v_lshl_add_u64 v[4:5], s[40:41], 0, v[2:3]
	s_addc_u32 s39, s39, s31
	v_lshl_add_u64 v[56:57], v[16:17], 0, v[4:5]
	v_lshl_add_u64 v[4:5], s[38:39], 0, v[2:3]
	s_lshl_b64 s[38:39], s[4:5], 4
	s_add_u32 s36, s36, s38
	s_addc_u32 s37, s37, s39
	s_add_u32 s34, s38, s34
	s_addc_u32 s35, s39, s35
	v_lshl_add_u64 v[58:59], v[16:17], 0, v[4:5]
	v_lshl_add_u64 v[4:5], s[36:37], 0, v[2:3]
	s_add_u32 s36, s34, s14
	s_addc_u32 s37, s35, s15
	v_lshl_add_u64 v[60:61], v[16:17], 0, v[4:5]
	v_lshl_add_u64 v[4:5], s[36:37], 0, v[2:3]
	;; [unrolled: 4-line block ×3, first 2 shown]
	s_add_u32 s34, s34, s30
	s_movk_i32 s9, 0x860
	s_addc_u32 s35, s35, s31
	s_mul_i32 s5, s22, 0x180
	v_mad_u32_u24 v144, v29, s9, v31
	s_mul_hi_i32 s9, s4, 24
	s_add_u32 s20, s5, s20
	v_lshl_add_u64 v[0:1], s[28:29], 0, v[0:1]
	v_lshl_add_u64 v[64:65], v[16:17], 0, v[4:5]
	;; [unrolled: 1-line block ×4, first 2 shown]
	s_addc_u32 s21, s9, s21
	v_lshlrev_b64 v[0:1], 3, v[0:1]
	v_lshl_add_u64 v[68:69], v[16:17], 0, v[2:3]
	v_lshl_add_u64 v[2:3], s[20:21], 0, v[0:1]
	v_mad_i64_i32 v[0:1], s[4:5], s4, 24, v[0:1]
	v_lshl_add_u64 v[70:71], v[16:17], 0, v[2:3]
	v_lshl_add_u64 v[2:3], v[0:1], 0, s[14:15]
	;; [unrolled: 1-line block ×6, first 2 shown]
	v_add_u32_e32 v135, 0x2180, v31
	v_add_u32_e32 v136, 0x2380, v31
	v_cmp_gt_u32_e64 s[0:1], 64, v22
	v_or_b32_e32 v140, 1, v134
	v_or_b32_e32 v141, 2, v134
	;; [unrolled: 1-line block ×3, first 2 shown]
	v_add_u32_e32 v145, 16, v134
	v_add_u32_e32 v146, 17, v134
	;; [unrolled: 1-line block ×12, first 2 shown]
	v_lshl_add_u64 v[66:67], v[16:17], 0, v[4:5]
	v_lshl_add_u64 v[76:77], v[16:17], 0, v[2:3]
	;; [unrolled: 1-line block ×3, first 2 shown]
	v_add_u32_e32 v157, v139, v6
	v_mov_b32_e32 v80, 0
	s_branch .LBB181_97
.LBB181_96:                             ;   in Loop: Header=BB181_97 Depth=1
	s_or_b64 exec, exec, s[4:5]
	v_mul_f32_e32 v0, v91, v85
	v_fma_f32 v0, v90, v84, -v0
	v_mul_f32_e32 v2, v93, v83
	v_add_f32_e32 v0, v32, v0
	v_fma_f32 v2, v92, v82, -v2
	v_add_f32_e32 v0, v0, v2
	v_mul_f32_e32 v2, v95, v87
	v_fma_f32 v2, v94, v86, -v2
	v_mul_f32_e32 v1, v91, v84
	v_add_f32_e32 v0, v0, v2
	v_mul_f32_e32 v2, v97, v89
	v_mul_f32_e32 v3, v93, v82
	v_fma_f32 v2, v96, v88, -v2
	v_fmac_f32_e32 v1, v90, v85
	v_mul_f32_e32 v4, v95, v86
	v_add_f32_e32 v0, v0, v2
	v_add_f32_e32 v1, v33, v1
	v_fmac_f32_e32 v3, v92, v83
	v_mul_f32_e32 v2, v107, v101
	v_mul_f32_e32 v5, v97, v88
	v_add_f32_e32 v1, v1, v3
	v_fmac_f32_e32 v4, v94, v87
	v_fma_f32 v2, v106, v100, -v2
	v_add_f32_e32 v1, v1, v4
	v_fmac_f32_e32 v5, v96, v89
	v_mul_f32_e32 v6, v107, v100
	v_add_f32_e32 v0, v0, v2
	v_mul_f32_e32 v2, v109, v99
	v_add_f32_e32 v1, v1, v5
	v_fma_f32 v2, v108, v98, -v2
	v_mul_f32_e32 v7, v109, v98
	v_fmac_f32_e32 v6, v106, v101
	v_add_f32_e32 v0, v0, v2
	v_mul_f32_e32 v2, v111, v103
	v_mul_f32_e32 v3, v111, v102
	v_add_f32_e32 v1, v1, v6
	v_fmac_f32_e32 v7, v108, v99
	v_fma_f32 v2, v110, v102, -v2
	v_add_f32_e32 v1, v1, v7
	v_fmac_f32_e32 v3, v110, v103
	v_mul_f32_e32 v4, v113, v105
	v_mul_f32_e32 v5, v113, v104
	v_pk_add_f32 v[0:1], v[0:1], v[2:3]
	v_mov_b32_e32 v2, v117
	v_fma_f32 v4, v112, v104, -v4
	v_fmac_f32_e32 v5, v112, v105
	v_pk_mul_f32 v[2:3], v[122:123], v[2:3] op_sel_hi:[1,0]
	v_pk_add_f32 v[0:1], v[0:1], v[4:5]
	v_pk_fma_f32 v[4:5], v[122:123], v[116:117], v[2:3] op_sel:[0,0,1] op_sel_hi:[1,1,0] neg_lo:[0,0,1] neg_hi:[0,0,1]
	v_pk_fma_f32 v[2:3], v[122:123], v[116:117], v[2:3] op_sel:[0,0,1] op_sel_hi:[1,0,0]
	s_add_i32 s4, s2, 1
	v_mov_b32_e32 v2, v115
	v_mov_b32_e32 v5, v3
	v_pk_mul_f32 v[2:3], v[8:9], v[2:3] op_sel_hi:[1,0]
	v_pk_add_f32 v[0:1], v[0:1], v[4:5]
	v_pk_fma_f32 v[4:5], v[8:9], v[114:115], v[2:3] op_sel:[0,0,1] op_sel_hi:[1,1,0] neg_lo:[0,0,1] neg_hi:[0,0,1]
	v_pk_fma_f32 v[2:3], v[8:9], v[114:115], v[2:3] op_sel:[0,0,1] op_sel_hi:[1,0,0]
	s_add_i32 s8, s8, s27
	v_mov_b32_e32 v2, v119
	v_mov_b32_e32 v5, v3
	;; [unrolled: 7-line block ×3, first 2 shown]
	v_pk_mul_f32 v[2:3], v[126:127], v[2:3] op_sel_hi:[1,0]
	v_pk_add_f32 v[0:1], v[0:1], v[4:5]
	v_pk_fma_f32 v[4:5], v[126:127], v[120:121], v[2:3] op_sel:[0,0,1] op_sel_hi:[1,1,0] neg_lo:[0,0,1] neg_hi:[0,0,1]
	v_pk_fma_f32 v[2:3], v[126:127], v[120:121], v[2:3] op_sel:[0,0,1] op_sel_hi:[1,0,0]
	v_add_u32_e32 v36, 64, v36
	v_mov_b32_e32 v2, v129
	v_mov_b32_e32 v5, v3
	v_pk_mul_f32 v[2:3], v[16:17], v[2:3] op_sel_hi:[1,0]
	v_pk_add_f32 v[0:1], v[0:1], v[4:5]
	v_pk_fma_f32 v[4:5], v[16:17], v[128:129], v[2:3] op_sel:[0,0,1] op_sel_hi:[1,1,0] neg_lo:[0,0,1] neg_hi:[0,0,1]
	v_pk_fma_f32 v[2:3], v[16:17], v[128:129], v[2:3] op_sel:[0,0,1] op_sel_hi:[1,0,0]
	v_lshl_add_u64 v[40:41], v[40:41], 0, s[10:11]
	v_mov_b32_e32 v2, v125
	v_mov_b32_e32 v5, v3
	v_pk_mul_f32 v[2:3], v[18:19], v[2:3] op_sel_hi:[1,0]
	v_pk_add_f32 v[0:1], v[0:1], v[4:5]
	v_pk_fma_f32 v[6:7], v[18:19], v[124:125], v[2:3] op_sel:[0,0,1] op_sel_hi:[1,1,0] neg_lo:[0,0,1] neg_hi:[0,0,1]
	v_pk_fma_f32 v[2:3], v[18:19], v[124:125], v[2:3] op_sel:[0,0,1] op_sel_hi:[1,0,0]
	v_lshl_add_u64 v[42:43], v[42:43], 0, s[10:11]
	v_mov_b32_e32 v2, v131
	v_mov_b32_e32 v7, v3
	v_pk_mul_f32 v[2:3], v[12:13], v[2:3] op_sel_hi:[1,0]
	v_pk_add_f32 v[0:1], v[0:1], v[6:7]
	v_pk_fma_f32 v[8:9], v[12:13], v[130:131], v[2:3] op_sel:[0,0,1] op_sel_hi:[1,1,0] neg_lo:[0,0,1] neg_hi:[0,0,1]
	v_pk_fma_f32 v[2:3], v[12:13], v[130:131], v[2:3] op_sel:[0,0,1] op_sel_hi:[1,0,0]
	v_lshl_add_u64 v[44:45], v[44:45], 0, s[10:11]
	v_mov_b32_e32 v2, v133
	v_mov_b32_e32 v9, v3
	v_pk_mul_f32 v[2:3], v[14:15], v[2:3] op_sel_hi:[1,0]
	v_pk_add_f32 v[0:1], v[0:1], v[8:9]
	v_pk_fma_f32 v[10:11], v[14:15], v[132:133], v[2:3] op_sel:[0,0,1] op_sel_hi:[1,1,0] neg_lo:[0,0,1] neg_hi:[0,0,1]
	v_pk_fma_f32 v[2:3], v[14:15], v[132:133], v[2:3] op_sel:[0,0,1] op_sel_hi:[1,0,0]
	v_lshl_add_u64 v[46:47], v[46:47], 0, s[10:11]
	v_mov_b32_e32 v11, v3
	v_pk_add_f32 v[32:33], v[0:1], v[10:11]
	v_lshl_add_u64 v[48:49], v[48:49], 0, s[10:11]
	v_lshl_add_u64 v[50:51], v[50:51], 0, s[10:11]
	;; [unrolled: 1-line block ×16, first 2 shown]
	s_cmp_ge_u32 s2, s3
	s_mov_b32 s2, s4
	s_barrier
	s_cbranch_scc1 .LBB181_152
.LBB181_97:                             ; =>This Inner Loop Header: Depth=1
	s_cmp_eq_u32 s17, s2
	s_cselect_b32 s26, s33, 0
	s_and_saveexec_b64 s[4:5], s[12:13]
	s_cbranch_execz .LBB181_102
; %bb.98:                               ;   in Loop: Header=BB181_97 Depth=1
	s_cmp_lg_u32 s26, 0
	s_cselect_b64 s[14:15], -1, 0
	v_cmp_le_i32_e32 vcc, s26, v30
	s_and_b64 s[14:15], s[14:15], vcc
	s_and_saveexec_b64 s[20:21], s[14:15]
	s_xor_b64 s[14:15], exec, s[20:21]
	s_cbranch_execz .LBB181_100
; %bb.99:                               ;   in Loop: Header=BB181_97 Depth=1
	v_mov_b32_e32 v81, v80
	ds_write_b64 v135, v[80:81]
.LBB181_100:                            ;   in Loop: Header=BB181_97 Depth=1
	s_andn2_saveexec_b64 s[14:15], s[14:15]
	s_cbranch_execz .LBB181_102
; %bb.101:                              ;   in Loop: Header=BB181_97 Depth=1
	s_ashr_i32 s9, s8, 31
	v_lshl_add_u64 v[0:1], s[8:9], 3, v[34:35]
	flat_load_dwordx2 v[0:1], v[0:1]
	s_waitcnt vmcnt(0) lgkmcnt(0)
	ds_write_b64 v135, v[0:1]
.LBB181_102:                            ;   in Loop: Header=BB181_97 Depth=1
	s_or_b64 exec, exec, s[4:5]
	s_cmp_eq_u32 s26, 0
	s_cselect_b64 s[14:15], -1, 0
	s_cmp_lg_u32 s26, 0
	s_cselect_b64 s[20:21], -1, 0
	v_lshl_add_u64 v[0:1], v[44:45], 0, v[38:39]
	s_and_b64 vcc, exec, s[20:21]
	s_waitcnt lgkmcnt(0)
	s_barrier
	s_cbranch_vccz .LBB181_110
; %bb.103:                              ;   in Loop: Header=BB181_97 Depth=1
	v_mov_b64_e32 v[82:83], 0
	v_cmp_gt_i32_e32 vcc, s26, v134
	v_mov_b64_e32 v[84:85], v[82:83]
	s_and_saveexec_b64 s[4:5], vcc
	s_cbranch_execz .LBB181_105
; %bb.104:                              ;   in Loop: Header=BB181_97 Depth=1
	flat_load_dwordx2 v[84:85], v[0:1]
.LBB181_105:                            ;   in Loop: Header=BB181_97 Depth=1
	s_or_b64 exec, exec, s[4:5]
	v_cmp_gt_i32_e32 vcc, s26, v140
	s_and_saveexec_b64 s[4:5], vcc
	s_cbranch_execz .LBB181_107
; %bb.106:                              ;   in Loop: Header=BB181_97 Depth=1
	v_lshl_add_u64 v[2:3], v[42:43], 0, v[38:39]
	flat_load_dwordx2 v[82:83], v[2:3]
.LBB181_107:                            ;   in Loop: Header=BB181_97 Depth=1
	s_or_b64 exec, exec, s[4:5]
	v_cmp_gt_i32_e32 vcc, s26, v141
	v_mov_b64_e32 v[86:87], 0
	s_and_saveexec_b64 s[4:5], vcc
	s_cbranch_execz .LBB181_109
; %bb.108:                              ;   in Loop: Header=BB181_97 Depth=1
	v_lshl_add_u64 v[2:3], v[46:47], 0, v[38:39]
	flat_load_dwordx2 v[86:87], v[2:3]
.LBB181_109:                            ;   in Loop: Header=BB181_97 Depth=1
	s_or_b64 exec, exec, s[4:5]
	v_cmp_gt_i32_e64 s[4:5], s26, v142
	s_mov_b64 s[22:23], 0
	s_branch .LBB181_112
.LBB181_110:                            ;   in Loop: Header=BB181_97 Depth=1
	s_mov_b64 s[4:5], 0
                                        ; implicit-def: $sgpr22_sgpr23
                                        ; implicit-def: $vgpr86_vgpr87
                                        ; implicit-def: $vgpr82_vgpr83
                                        ; implicit-def: $vgpr84_vgpr85
	s_cbranch_execz .LBB181_112
; %bb.111:                              ;   in Loop: Header=BB181_97 Depth=1
	s_waitcnt vmcnt(0) lgkmcnt(0)
	flat_load_dwordx2 v[84:85], v[0:1]
	v_lshl_add_u64 v[0:1], v[42:43], 0, v[38:39]
	flat_load_dwordx2 v[82:83], v[0:1]
	v_lshl_add_u64 v[0:1], v[40:41], 0, v[38:39]
	flat_load_dwordx2 v[86:87], v[0:1]
	s_or_b64 s[4:5], s[4:5], exec
                                        ; implicit-def: $sgpr22_sgpr23
.LBB181_112:                            ;   in Loop: Header=BB181_97 Depth=1
	v_mov_b64_e32 v[88:89], s[22:23]
	s_and_saveexec_b64 s[22:23], s[4:5]
	s_cbranch_execz .LBB181_114
; %bb.113:                              ;   in Loop: Header=BB181_97 Depth=1
	v_lshl_add_u64 v[0:1], v[48:49], 0, v[38:39]
	flat_load_dwordx2 v[88:89], v[0:1]
.LBB181_114:                            ;   in Loop: Header=BB181_97 Depth=1
	s_or_b64 exec, exec, s[22:23]
	ds_read_b64 v[0:1], v136
	ds_read_b64 v[90:91], v143
	v_cndmask_b32_e64 v8, 0, 1, s[20:21]
	v_cmp_ne_u32_e64 s[4:5], 1, v8
	s_andn2_b64 vcc, exec, s[20:21]
	s_waitcnt vmcnt(0) lgkmcnt(0)
	v_mul_f32_e32 v2, v1, v85
	v_mul_f32_e32 v3, v1, v84
	v_fma_f32 v2, v0, v84, -v2
	v_fmac_f32_e32 v3, v0, v85
	v_mul_f32_e32 v4, v1, v83
	ds_write_b64 v144, v[2:3]
	v_mul_f32_e32 v3, v1, v82
	v_fma_f32 v2, v0, v82, -v4
	v_fmac_f32_e32 v3, v0, v83
	ds_read_b64 v[92:93], v143 offset:8
	ds_write_b64 v144, v[2:3] offset:536
	v_mul_f32_e32 v2, v1, v87
	v_mul_f32_e32 v3, v1, v86
	v_fma_f32 v2, v0, v86, -v2
	v_fmac_f32_e32 v3, v0, v87
	ds_read_b64 v[94:95], v143 offset:16
	ds_write_b64 v144, v[2:3] offset:1072
	v_mul_f32_e32 v2, v1, v89
	v_mul_f32_e32 v3, v0, v89
	v_fma_f32 v2, v0, v88, -v2
	v_fmac_f32_e32 v3, v1, v88
	ds_read_b64 v[96:97], v143 offset:24
	ds_write_b64 v144, v[2:3] offset:1608
	s_waitcnt lgkmcnt(0)
	s_barrier
	ds_read2_b64 v[4:7], v139 offset1:1
	ds_read2_b64 v[0:3], v139 offset0:2 offset1:3
	v_lshl_add_u64 v[8:9], v[54:55], 0, v[38:39]
	s_waitcnt lgkmcnt(0)
	s_barrier
	s_cbranch_vccnz .LBB181_122
; %bb.115:                              ;   in Loop: Header=BB181_97 Depth=1
	v_mov_b64_e32 v[98:99], 0
	v_cmp_gt_i32_e32 vcc, s26, v145
	v_mov_b64_e32 v[100:101], v[98:99]
	s_and_saveexec_b64 s[20:21], vcc
	s_cbranch_execz .LBB181_117
; %bb.116:                              ;   in Loop: Header=BB181_97 Depth=1
	flat_load_dwordx2 v[100:101], v[8:9]
.LBB181_117:                            ;   in Loop: Header=BB181_97 Depth=1
	s_or_b64 exec, exec, s[20:21]
	v_cmp_gt_i32_e32 vcc, s26, v146
	s_and_saveexec_b64 s[20:21], vcc
	s_cbranch_execz .LBB181_119
; %bb.118:                              ;   in Loop: Header=BB181_97 Depth=1
	v_lshl_add_u64 v[10:11], v[52:53], 0, v[38:39]
	flat_load_dwordx2 v[98:99], v[10:11]
.LBB181_119:                            ;   in Loop: Header=BB181_97 Depth=1
	s_or_b64 exec, exec, s[20:21]
	v_cmp_gt_i32_e32 vcc, s26, v147
	v_mov_b64_e32 v[102:103], 0
	s_and_saveexec_b64 s[20:21], vcc
	s_cbranch_execz .LBB181_121
; %bb.120:                              ;   in Loop: Header=BB181_97 Depth=1
	v_lshl_add_u64 v[10:11], v[56:57], 0, v[38:39]
	flat_load_dwordx2 v[102:103], v[10:11]
.LBB181_121:                            ;   in Loop: Header=BB181_97 Depth=1
	s_or_b64 exec, exec, s[20:21]
	v_cmp_gt_i32_e64 s[20:21], s26, v148
	s_mov_b64 s[22:23], 0
	s_branch .LBB181_124
.LBB181_122:                            ;   in Loop: Header=BB181_97 Depth=1
	s_mov_b64 s[20:21], 0
                                        ; implicit-def: $sgpr22_sgpr23
                                        ; implicit-def: $vgpr102_vgpr103
                                        ; implicit-def: $vgpr98_vgpr99
                                        ; implicit-def: $vgpr100_vgpr101
	s_cbranch_execz .LBB181_124
; %bb.123:                              ;   in Loop: Header=BB181_97 Depth=1
	s_waitcnt vmcnt(0) lgkmcnt(0)
	flat_load_dwordx2 v[100:101], v[8:9]
	v_lshl_add_u64 v[8:9], v[52:53], 0, v[38:39]
	flat_load_dwordx2 v[98:99], v[8:9]
	v_lshl_add_u64 v[8:9], v[50:51], 0, v[38:39]
	flat_load_dwordx2 v[102:103], v[8:9]
	s_or_b64 s[20:21], s[20:21], exec
                                        ; implicit-def: $sgpr22_sgpr23
.LBB181_124:                            ;   in Loop: Header=BB181_97 Depth=1
	v_mov_b64_e32 v[104:105], s[22:23]
	s_and_saveexec_b64 s[22:23], s[20:21]
	s_cbranch_execz .LBB181_126
; %bb.125:                              ;   in Loop: Header=BB181_97 Depth=1
	v_lshl_add_u64 v[8:9], v[58:59], 0, v[38:39]
	flat_load_dwordx2 v[104:105], v[8:9]
.LBB181_126:                            ;   in Loop: Header=BB181_97 Depth=1
	s_or_b64 exec, exec, s[22:23]
	ds_read_b64 v[8:9], v136
	ds_read_b64 v[106:107], v143 offset:128
	s_and_b64 vcc, exec, s[4:5]
	s_waitcnt vmcnt(0) lgkmcnt(0)
	v_mul_f32_e32 v10, v9, v101
	v_mul_f32_e32 v11, v9, v100
	v_fma_f32 v10, v8, v100, -v10
	v_fmac_f32_e32 v11, v8, v101
	v_mul_f32_e32 v12, v9, v99
	ds_write_b64 v144, v[10:11]
	v_mul_f32_e32 v11, v9, v98
	v_fma_f32 v10, v8, v98, -v12
	v_fmac_f32_e32 v11, v8, v99
	ds_read_b64 v[108:109], v143 offset:136
	ds_write_b64 v144, v[10:11] offset:536
	v_mul_f32_e32 v10, v9, v103
	v_mul_f32_e32 v11, v9, v102
	v_fma_f32 v10, v8, v102, -v10
	v_fmac_f32_e32 v11, v8, v103
	ds_read_b64 v[110:111], v143 offset:144
	ds_write_b64 v144, v[10:11] offset:1072
	v_mul_f32_e32 v10, v9, v105
	v_mul_f32_e32 v11, v8, v105
	v_fma_f32 v10, v8, v104, -v10
	v_fmac_f32_e32 v11, v9, v104
	ds_read_b64 v[112:113], v143 offset:152
	ds_write_b64 v144, v[10:11] offset:1608
	s_waitcnt lgkmcnt(0)
	s_barrier
	ds_read2_b64 v[16:19], v139 offset1:1
	ds_read2_b64 v[12:15], v139 offset0:2 offset1:3
	v_lshl_add_u64 v[8:9], v[64:65], 0, v[38:39]
	s_waitcnt lgkmcnt(0)
	s_barrier
	s_cbranch_vccnz .LBB181_134
; %bb.127:                              ;   in Loop: Header=BB181_97 Depth=1
	v_mov_b64_e32 v[114:115], 0
	v_cmp_gt_i32_e32 vcc, s26, v149
	v_mov_b64_e32 v[116:117], v[114:115]
	s_and_saveexec_b64 s[20:21], vcc
	s_cbranch_execz .LBB181_129
; %bb.128:                              ;   in Loop: Header=BB181_97 Depth=1
	flat_load_dwordx2 v[116:117], v[8:9]
.LBB181_129:                            ;   in Loop: Header=BB181_97 Depth=1
	s_or_b64 exec, exec, s[20:21]
	v_cmp_gt_i32_e32 vcc, s26, v150
	s_and_saveexec_b64 s[20:21], vcc
	s_cbranch_execz .LBB181_131
; %bb.130:                              ;   in Loop: Header=BB181_97 Depth=1
	v_lshl_add_u64 v[10:11], v[62:63], 0, v[38:39]
	flat_load_dwordx2 v[114:115], v[10:11]
.LBB181_131:                            ;   in Loop: Header=BB181_97 Depth=1
	s_or_b64 exec, exec, s[20:21]
	v_cmp_gt_i32_e32 vcc, s26, v151
	v_mov_b64_e32 v[118:119], 0
	s_and_saveexec_b64 s[20:21], vcc
	s_cbranch_execz .LBB181_133
; %bb.132:                              ;   in Loop: Header=BB181_97 Depth=1
	v_lshl_add_u64 v[10:11], v[66:67], 0, v[38:39]
	flat_load_dwordx2 v[118:119], v[10:11]
.LBB181_133:                            ;   in Loop: Header=BB181_97 Depth=1
	s_or_b64 exec, exec, s[20:21]
	v_cmp_gt_i32_e64 s[20:21], s26, v152
	s_mov_b64 s[22:23], 0
	s_branch .LBB181_136
.LBB181_134:                            ;   in Loop: Header=BB181_97 Depth=1
	s_mov_b64 s[20:21], 0
                                        ; implicit-def: $sgpr22_sgpr23
                                        ; implicit-def: $vgpr118_vgpr119
                                        ; implicit-def: $vgpr114_vgpr115
                                        ; implicit-def: $vgpr116_vgpr117
	s_cbranch_execz .LBB181_136
; %bb.135:                              ;   in Loop: Header=BB181_97 Depth=1
	s_waitcnt vmcnt(0) lgkmcnt(0)
	flat_load_dwordx2 v[116:117], v[8:9]
	v_lshl_add_u64 v[8:9], v[62:63], 0, v[38:39]
	flat_load_dwordx2 v[114:115], v[8:9]
	v_lshl_add_u64 v[8:9], v[60:61], 0, v[38:39]
	flat_load_dwordx2 v[118:119], v[8:9]
	s_or_b64 s[20:21], s[20:21], exec
                                        ; implicit-def: $sgpr22_sgpr23
.LBB181_136:                            ;   in Loop: Header=BB181_97 Depth=1
	v_mov_b64_e32 v[120:121], s[22:23]
	s_and_saveexec_b64 s[22:23], s[20:21]
	s_cbranch_execz .LBB181_138
; %bb.137:                              ;   in Loop: Header=BB181_97 Depth=1
	v_lshl_add_u64 v[8:9], v[68:69], 0, v[38:39]
	flat_load_dwordx2 v[120:121], v[8:9]
.LBB181_138:                            ;   in Loop: Header=BB181_97 Depth=1
	s_or_b64 exec, exec, s[22:23]
	ds_read_b64 v[8:9], v136
	ds_read_b64 v[122:123], v143 offset:256
	s_and_b64 vcc, exec, s[4:5]
	v_lshl_add_u64 v[132:133], v[74:75], 0, v[38:39]
	s_waitcnt vmcnt(0) lgkmcnt(0)
	v_mul_f32_e32 v10, v9, v117
	v_mul_f32_e32 v11, v9, v116
	;; [unrolled: 1-line block ×4, first 2 shown]
	v_fma_f32 v10, v8, v116, -v10
	v_fmac_f32_e32 v11, v8, v117
	v_fma_f32 v20, v8, v114, -v20
	v_fmac_f32_e32 v21, v8, v115
	ds_write2_b64 v144, v[10:11], v[20:21] offset1:67
	v_mul_f32_e32 v10, v9, v119
	v_mul_f32_e32 v11, v9, v118
	;; [unrolled: 1-line block ×4, first 2 shown]
	v_fma_f32 v10, v8, v118, -v10
	v_fmac_f32_e32 v11, v8, v119
	v_fma_f32 v20, v8, v120, -v20
	v_fmac_f32_e32 v21, v9, v120
	ds_write2_b64 v144, v[10:11], v[20:21] offset0:134 offset1:201
	ds_read2_b64 v[8:11], v143 offset0:33 offset1:34
	ds_read_b64 v[126:127], v143 offset:280
	s_waitcnt lgkmcnt(0)
	s_barrier
	ds_read2_b64 v[24:27], v139 offset1:1
	ds_read2_b64 v[20:23], v139 offset0:2 offset1:3
	s_waitcnt lgkmcnt(0)
	s_barrier
	s_cbranch_vccnz .LBB181_146
; %bb.139:                              ;   in Loop: Header=BB181_97 Depth=1
	v_mov_b64_e32 v[124:125], 0
	v_cmp_gt_i32_e32 vcc, s26, v153
	v_mov_b64_e32 v[128:129], v[124:125]
	s_and_saveexec_b64 s[4:5], vcc
	s_cbranch_execz .LBB181_141
; %bb.140:                              ;   in Loop: Header=BB181_97 Depth=1
	flat_load_dwordx2 v[128:129], v[132:133]
.LBB181_141:                            ;   in Loop: Header=BB181_97 Depth=1
	s_or_b64 exec, exec, s[4:5]
	v_cmp_gt_i32_e32 vcc, s26, v154
	s_and_saveexec_b64 s[4:5], vcc
	s_cbranch_execz .LBB181_143
; %bb.142:                              ;   in Loop: Header=BB181_97 Depth=1
	v_lshl_add_u64 v[124:125], v[72:73], 0, v[38:39]
	flat_load_dwordx2 v[124:125], v[124:125]
.LBB181_143:                            ;   in Loop: Header=BB181_97 Depth=1
	s_or_b64 exec, exec, s[4:5]
	v_cmp_gt_i32_e32 vcc, s26, v155
	v_mov_b64_e32 v[130:131], 0
	s_and_saveexec_b64 s[4:5], vcc
	s_cbranch_execz .LBB181_145
; %bb.144:                              ;   in Loop: Header=BB181_97 Depth=1
	v_lshl_add_u64 v[130:131], v[76:77], 0, v[38:39]
	flat_load_dwordx2 v[130:131], v[130:131]
.LBB181_145:                            ;   in Loop: Header=BB181_97 Depth=1
	s_or_b64 exec, exec, s[4:5]
	v_cmp_gt_i32_e64 s[4:5], s26, v156
	s_mov_b64 s[20:21], 0
	s_branch .LBB181_148
.LBB181_146:                            ;   in Loop: Header=BB181_97 Depth=1
	s_mov_b64 s[4:5], 0
                                        ; implicit-def: $sgpr20_sgpr21
                                        ; implicit-def: $vgpr130_vgpr131
                                        ; implicit-def: $vgpr124_vgpr125
                                        ; implicit-def: $vgpr128_vgpr129
	s_cbranch_execz .LBB181_148
; %bb.147:                              ;   in Loop: Header=BB181_97 Depth=1
	s_waitcnt vmcnt(0) lgkmcnt(0)
	v_lshl_add_u64 v[124:125], v[72:73], 0, v[38:39]
	v_lshl_add_u64 v[130:131], v[70:71], 0, v[38:39]
	flat_load_dwordx2 v[128:129], v[132:133]
	s_or_b64 s[4:5], s[4:5], exec
	flat_load_dwordx2 v[124:125], v[124:125]
                                        ; implicit-def: $sgpr20_sgpr21
	s_nop 0
	flat_load_dwordx2 v[130:131], v[130:131]
.LBB181_148:                            ;   in Loop: Header=BB181_97 Depth=1
	v_mov_b64_e32 v[132:133], s[20:21]
	s_and_saveexec_b64 s[20:21], s[4:5]
	s_cbranch_execz .LBB181_150
; %bb.149:                              ;   in Loop: Header=BB181_97 Depth=1
	v_lshl_add_u64 v[132:133], v[78:79], 0, v[38:39]
	flat_load_dwordx2 v[132:133], v[132:133]
.LBB181_150:                            ;   in Loop: Header=BB181_97 Depth=1
	s_or_b64 exec, exec, s[20:21]
	v_pk_add_f32 v[24:25], v[24:25], 0 op_sel_hi:[1,0]
	v_pk_add_f32 v[16:17], v[16:17], 0 op_sel_hi:[1,0]
	v_pk_add_f32 v[24:25], v[24:25], v[26:27]
	v_pk_add_f32 v[16:17], v[16:17], v[18:19]
	;; [unrolled: 1-line block ×5, first 2 shown]
	ds_read_b64 v[20:21], v136
	v_pk_add_f32 v[26:27], v[12:13], v[14:15]
	v_pk_add_f32 v[4:5], v[4:5], 0 op_sel_hi:[1,0]
	v_cmp_gt_i32_e32 vcc, s26, v30
	v_pk_add_f32 v[158:159], v[4:5], v[6:7]
	s_waitcnt vmcnt(0) lgkmcnt(0)
	v_mul_f32_e32 v12, v21, v129
	v_mul_f32_e32 v13, v21, v128
	;; [unrolled: 1-line block ×4, first 2 shown]
	v_fma_f32 v12, v20, v128, -v12
	v_fmac_f32_e32 v13, v20, v129
	v_fma_f32 v14, v20, v124, -v14
	v_fmac_f32_e32 v15, v20, v125
	ds_write2_b64 v144, v[12:13], v[14:15] offset1:67
	v_mul_f32_e32 v12, v21, v131
	v_mul_f32_e32 v13, v21, v130
	;; [unrolled: 1-line block ×4, first 2 shown]
	v_fma_f32 v12, v20, v130, -v12
	v_fmac_f32_e32 v13, v20, v131
	v_fma_f32 v14, v20, v132, -v14
	v_fmac_f32_e32 v15, v21, v132
	ds_write2_b64 v144, v[12:13], v[14:15] offset0:134 offset1:201
	ds_read_b128 v[16:19], v143 offset:384
	ds_read_b128 v[12:15], v143 offset:400
	s_waitcnt lgkmcnt(0)
	s_barrier
	ds_read2_b64 v[20:23], v139 offset1:1
	ds_read2_b64 v[4:7], v139 offset0:2 offset1:3
	v_pk_add_f32 v[0:1], v[158:159], v[0:1]
	s_or_b64 s[4:5], s[14:15], vcc
	v_pk_add_f32 v[0:1], v[0:1], v[2:3]
	s_waitcnt lgkmcnt(1)
	v_pk_add_f32 v[2:3], v[20:21], 0 op_sel_hi:[1,0]
	s_and_b64 s[14:15], s[0:1], s[4:5]
	v_pk_add_f32 v[2:3], v[2:3], v[22:23]
	s_waitcnt lgkmcnt(0)
	v_pk_add_f32 v[2:3], v[2:3], v[4:5]
	s_barrier
	v_pk_add_f32 v[2:3], v[2:3], v[6:7]
	ds_write2_b64 v157, v[0:1], v[26:27] offset1:16
	ds_write2_b64 v157, v[24:25], v[2:3] offset0:32 offset1:48
	s_waitcnt lgkmcnt(0)
	s_barrier
	s_and_saveexec_b64 s[4:5], s[14:15]
	s_cbranch_execz .LBB181_96
; %bb.151:                              ;   in Loop: Header=BB181_97 Depth=1
	ds_read_b64 v[20:21], v137
	ds_read2_b64 v[0:3], v137 offset0:1 offset1:2
	ds_read2_b64 v[4:7], v137 offset0:3 offset1:4
	v_ashrrev_i32_e32 v37, 31, v36
	v_lshl_add_u64 v[24:25], v[36:37], 3, s[6:7]
	s_waitcnt lgkmcnt(1)
	v_add_f32_e32 v0, v0, v20
	v_add_f32_e32 v1, v1, v21
	;; [unrolled: 1-line block ×4, first 2 shown]
	ds_read2_b64 v[0:3], v137 offset0:5 offset1:6
	s_waitcnt lgkmcnt(1)
	v_add_f32_e32 v4, v20, v4
	v_add_f32_e32 v5, v21, v5
	;; [unrolled: 1-line block ×4, first 2 shown]
	ds_read2_b64 v[4:7], v137 offset0:7 offset1:8
	s_waitcnt lgkmcnt(1)
	v_pk_add_f32 v[0:1], v[20:21], v[0:1]
	ds_read2_b64 v[20:23], v137 offset0:9 offset1:10
	v_pk_add_f32 v[0:1], v[0:1], v[2:3]
	s_waitcnt lgkmcnt(1)
	v_pk_add_f32 v[0:1], v[0:1], v[4:5]
	s_nop 0
	v_pk_add_f32 v[4:5], v[0:1], v[6:7]
	ds_read2_b64 v[0:3], v137 offset0:11 offset1:12
	s_waitcnt lgkmcnt(1)
	v_pk_add_f32 v[20:21], v[4:5], v[20:21]
	ds_read2_b64 v[4:7], v137 offset0:13 offset1:14
	v_pk_add_f32 v[20:21], v[20:21], v[22:23]
	ds_read_b64 v[22:23], v138
	s_waitcnt lgkmcnt(2)
	v_pk_add_f32 v[0:1], v[20:21], v[0:1]
	s_nop 0
	v_pk_add_f32 v[0:1], v[0:1], v[2:3]
	s_waitcnt lgkmcnt(1)
	v_pk_add_f32 v[0:1], v[0:1], v[4:5]
	s_nop 0
	v_pk_add_f32 v[0:1], v[0:1], v[6:7]
	s_waitcnt lgkmcnt(0)
	v_pk_add_f32 v[0:1], v[0:1], v[22:23]
	global_store_dwordx2 v[24:25], v[0:1], off
	s_branch .LBB181_96
.LBB181_152:
	s_movk_i32 s0, 0x218
	v_cmp_gt_i32_e32 vcc, s16, v30
	v_mad_u32_u24 v0, v29, s0, v31
	s_or_b64 s[0:1], s[18:19], vcc
	s_and_b64 s[0:1], s[12:13], s[0:1]
	ds_write_b64 v0, v[32:33]
	s_waitcnt lgkmcnt(0)
	s_barrier
	s_and_saveexec_b64 s[2:3], s[0:1]
	s_cbranch_execz .LBB181_154
; %bb.153:
	ds_read2_b64 v[0:3], v31 offset1:67
	ds_read2_b64 v[4:7], v31 offset0:134 offset1:201
	v_ashrrev_i32_e32 v29, 31, v28
	v_lshl_add_u64 v[8:9], v[28:29], 3, s[6:7]
	s_waitcnt lgkmcnt(1)
	v_pk_add_f32 v[0:1], v[2:3], v[0:1]
	s_waitcnt lgkmcnt(0)
	v_pk_add_f32 v[0:1], v[0:1], v[4:5]
	s_nop 0
	v_pk_add_f32 v[0:1], v[0:1], v[6:7]
	global_store_dwordx2 v[8:9], v[0:1], off
.LBB181_154:
	s_endpgm
	.section	.rodata,"a",@progbits
	.p2align	6, 0x0
	.amdhsa_kernel _ZL26rocblas_hemvn_kernel_upperILb0ELi64ELi4ELi33ELi32ELi16EiPK19rocblas_complex_numIfEPKS3_PS1_EviT6_lT7_lT5_lS8_lS9_lS7_lT8_i
		.amdhsa_group_segment_fixed_size 9600
		.amdhsa_private_segment_fixed_size 0
		.amdhsa_kernarg_size 376
		.amdhsa_user_sgpr_count 2
		.amdhsa_user_sgpr_dispatch_ptr 0
		.amdhsa_user_sgpr_queue_ptr 0
		.amdhsa_user_sgpr_kernarg_segment_ptr 1
		.amdhsa_user_sgpr_dispatch_id 0
		.amdhsa_user_sgpr_kernarg_preload_length 0
		.amdhsa_user_sgpr_kernarg_preload_offset 0
		.amdhsa_user_sgpr_private_segment_size 0
		.amdhsa_uses_dynamic_stack 0
		.amdhsa_enable_private_segment 0
		.amdhsa_system_sgpr_workgroup_id_x 1
		.amdhsa_system_sgpr_workgroup_id_y 0
		.amdhsa_system_sgpr_workgroup_id_z 1
		.amdhsa_system_sgpr_workgroup_info 0
		.amdhsa_system_vgpr_workitem_id 1
		.amdhsa_next_free_vgpr 160
		.amdhsa_next_free_sgpr 44
		.amdhsa_accum_offset 160
		.amdhsa_reserve_vcc 1
		.amdhsa_float_round_mode_32 0
		.amdhsa_float_round_mode_16_64 0
		.amdhsa_float_denorm_mode_32 3
		.amdhsa_float_denorm_mode_16_64 3
		.amdhsa_dx10_clamp 1
		.amdhsa_ieee_mode 1
		.amdhsa_fp16_overflow 0
		.amdhsa_tg_split 0
		.amdhsa_exception_fp_ieee_invalid_op 0
		.amdhsa_exception_fp_denorm_src 0
		.amdhsa_exception_fp_ieee_div_zero 0
		.amdhsa_exception_fp_ieee_overflow 0
		.amdhsa_exception_fp_ieee_underflow 0
		.amdhsa_exception_fp_ieee_inexact 0
		.amdhsa_exception_int_div_zero 0
	.end_amdhsa_kernel
	.section	.text._ZL26rocblas_hemvn_kernel_upperILb0ELi64ELi4ELi33ELi32ELi16EiPK19rocblas_complex_numIfEPKS3_PS1_EviT6_lT7_lT5_lS8_lS9_lS7_lT8_i,"axG",@progbits,_ZL26rocblas_hemvn_kernel_upperILb0ELi64ELi4ELi33ELi32ELi16EiPK19rocblas_complex_numIfEPKS3_PS1_EviT6_lT7_lT5_lS8_lS9_lS7_lT8_i,comdat
.Lfunc_end181:
	.size	_ZL26rocblas_hemvn_kernel_upperILb0ELi64ELi4ELi33ELi32ELi16EiPK19rocblas_complex_numIfEPKS3_PS1_EviT6_lT7_lT5_lS8_lS9_lS7_lT8_i, .Lfunc_end181-_ZL26rocblas_hemvn_kernel_upperILb0ELi64ELi4ELi33ELi32ELi16EiPK19rocblas_complex_numIfEPKS3_PS1_EviT6_lT7_lT5_lS8_lS9_lS7_lT8_i
                                        ; -- End function
	.section	.AMDGPU.csdata,"",@progbits
; Kernel info:
; codeLenInByte = 8452
; NumSgprs: 50
; NumVgprs: 160
; NumAgprs: 0
; TotalNumVgprs: 160
; ScratchSize: 0
; MemoryBound: 1
; FloatMode: 240
; IeeeMode: 1
; LDSByteSize: 9600 bytes/workgroup (compile time only)
; SGPRBlocks: 6
; VGPRBlocks: 19
; NumSGPRsForWavesPerEU: 50
; NumVGPRsForWavesPerEU: 160
; AccumOffset: 160
; Occupancy: 3
; WaveLimiterHint : 1
; COMPUTE_PGM_RSRC2:SCRATCH_EN: 0
; COMPUTE_PGM_RSRC2:USER_SGPR: 2
; COMPUTE_PGM_RSRC2:TRAP_HANDLER: 0
; COMPUTE_PGM_RSRC2:TGID_X_EN: 1
; COMPUTE_PGM_RSRC2:TGID_Y_EN: 0
; COMPUTE_PGM_RSRC2:TGID_Z_EN: 1
; COMPUTE_PGM_RSRC2:TIDIG_COMP_CNT: 1
; COMPUTE_PGM_RSRC3_GFX90A:ACCUM_OFFSET: 39
; COMPUTE_PGM_RSRC3_GFX90A:TG_SPLIT: 0
	.section	.text._ZL26rocblas_hemvn_kernel_upperILb0ELi64ELi4ELi33ELi32ELi16El19rocblas_complex_numIfEPKPKS1_PS1_EviT6_lT7_lT5_lS8_lS9_lS7_lT8_i,"axG",@progbits,_ZL26rocblas_hemvn_kernel_upperILb0ELi64ELi4ELi33ELi32ELi16El19rocblas_complex_numIfEPKPKS1_PS1_EviT6_lT7_lT5_lS8_lS9_lS7_lT8_i,comdat
	.globl	_ZL26rocblas_hemvn_kernel_upperILb0ELi64ELi4ELi33ELi32ELi16El19rocblas_complex_numIfEPKPKS1_PS1_EviT6_lT7_lT5_lS8_lS9_lS7_lT8_i ; -- Begin function _ZL26rocblas_hemvn_kernel_upperILb0ELi64ELi4ELi33ELi32ELi16El19rocblas_complex_numIfEPKPKS1_PS1_EviT6_lT7_lT5_lS8_lS9_lS7_lT8_i
	.p2align	8
	.type	_ZL26rocblas_hemvn_kernel_upperILb0ELi64ELi4ELi33ELi32ELi16El19rocblas_complex_numIfEPKPKS1_PS1_EviT6_lT7_lT5_lS8_lS9_lS7_lT8_i,@function
_ZL26rocblas_hemvn_kernel_upperILb0ELi64ELi4ELi33ELi32ELi16El19rocblas_complex_numIfEPKPKS1_PS1_EviT6_lT7_lT5_lS8_lS9_lS7_lT8_i: ; @_ZL26rocblas_hemvn_kernel_upperILb0ELi64ELi4ELi33ELi32ELi16El19rocblas_complex_numIfEPKPKS1_PS1_EviT6_lT7_lT5_lS8_lS9_lS7_lT8_i
; %bb.0:
	s_load_dwordx2 s[4:5], s[0:1], 0x84
	s_add_u32 s14, s0, 0x78
	s_mov_b32 s26, s3
	s_addc_u32 s15, s1, 0
	s_waitcnt lgkmcnt(0)
	s_and_b32 s3, s5, 0xffff
	s_lshr_b32 s5, s4, 16
	s_and_b32 s4, s4, 0xffff
	s_mul_i32 s4, s5, s4
	s_mul_i32 s4, s4, s3
	s_cmpk_lg_i32 s4, 0x100
	s_cbranch_scc1 .LBB182_154
; %bb.1:
	s_load_dwordx2 s[8:9], s[0:1], 0x4
	s_load_dwordx4 s[4:7], s[0:1], 0x18
	s_load_dwordx2 s[24:25], s[0:1], 0x28
	s_waitcnt lgkmcnt(0)
	s_or_b32 s3, s8, s9
	s_bitset0_b32 s3, 31
	s_cmp_lg_u32 s3, 0
	s_cselect_b64 s[16:17], -1, 0
	s_and_b64 vcc, exec, s[16:17]
	s_cbranch_vccnz .LBB182_4
; %bb.2:
	s_load_dwordx2 s[8:9], s[0:1], 0x58
                                        ; implicit-def: $sgpr12_sgpr13
	s_waitcnt lgkmcnt(0)
	v_cmp_eq_f32_e64 s[10:11], s8, 1.0
	v_cmp_eq_f32_e64 s[8:9], s9, 0
	s_and_b64 s[8:9], s[10:11], s[8:9]
	s_mov_b64 s[10:11], 0
	s_andn2_b64 vcc, exec, s[8:9]
	s_mov_b64 s[8:9], 0
	s_cbranch_vccz .LBB182_5
; %bb.3:
	s_mov_b64 s[8:9], -1
	s_mov_b64 s[12:13], 0
	s_branch .LBB182_5
.LBB182_4:
	s_mov_b64 s[10:11], -1
	s_mov_b64 s[8:9], 0
                                        ; implicit-def: $sgpr12_sgpr13
.LBB182_5:
	s_and_b64 vcc, exec, s[10:11]
	s_cbranch_vccz .LBB182_7
; %bb.6:
	s_mov_b32 s27, 0
	s_lshl_b64 s[8:9], s[26:27], 3
	s_add_u32 s4, s4, s8
	s_addc_u32 s5, s5, s9
	s_load_dwordx2 s[4:5], s[4:5], 0x0
	s_lshl_b64 s[6:7], s[6:7], 3
	s_mov_b64 s[8:9], -1
	s_waitcnt lgkmcnt(0)
	s_add_u32 s12, s4, s6
	s_addc_u32 s13, s5, s7
.LBB182_7:
	s_andn2_b64 vcc, exec, s[8:9]
	s_cbranch_vccnz .LBB182_154
; %bb.8:
	s_load_dwordx4 s[8:11], s[0:1], 0x38
	s_load_dwordx2 s[18:19], s[0:1], 0x48
	v_cndmask_b32_e64 v1, 0, 1, s[16:17]
	v_cmp_ne_u32_e64 s[4:5], 1, v1
	s_andn2_b64 vcc, exec, s[16:17]
	s_mov_b64 s[6:7], 0
	s_cbranch_vccnz .LBB182_10
; %bb.9:
	s_mov_b32 s27, 0
	s_lshl_b64 s[6:7], s[26:27], 3
	s_waitcnt lgkmcnt(0)
	s_add_u32 s6, s8, s6
	s_addc_u32 s7, s9, s7
	s_load_dwordx2 s[6:7], s[6:7], 0x0
	s_lshl_b64 s[8:9], s[10:11], 3
	s_waitcnt lgkmcnt(0)
	s_add_u32 s6, s6, s8
	s_addc_u32 s7, s7, s9
.LBB182_10:
	s_and_b64 vcc, exec, s[4:5]
	s_cbranch_vccnz .LBB182_154
; %bb.11:
	s_load_dword s3, s[14:15], 0x0
	s_load_dword s33, s[0:1], 0x0
	v_and_b32_e32 v122, 0x3ff, v0
	s_lshl_b32 s28, s2, 6
	v_add_u32_e32 v28, s28, v122
	s_waitcnt lgkmcnt(0)
	s_add_i32 s4, s3, -1
	s_ashr_i32 s36, s33, 31
	s_lshr_b32 s5, s36, 26
	s_add_i32 s5, s33, s5
	s_andn2_b32 s5, s5, 63
	s_sub_i32 s27, s33, s5
	v_ashrrev_i32_e32 v29, 31, v28
	v_bfe_u32 v123, v0, 10, 10
	s_cmp_eq_u32 s2, s4
	v_mul_lo_u32 v2, v29, s18
	v_mul_lo_u32 v3, v28, s19
	v_mad_u64_u32 v[0:1], s[4:5], v28, s18, 0
	v_add3_u32 v1, v1, v3, v2
	s_cselect_b32 s20, s27, 0
	v_lshl_add_u64 v[12:13], v[0:1], 3, s[6:7]
	v_cmp_eq_u32_e64 s[4:5], 0, v123
	s_and_saveexec_b64 s[6:7], s[4:5]
	s_cbranch_execz .LBB182_16
; %bb.12:
	s_cmp_lg_u32 s20, 0
	s_cselect_b64 s[8:9], -1, 0
	v_cmp_le_i32_e32 vcc, s20, v122
	v_mov_b32_e32 v0, 0x2380
	s_and_b64 s[8:9], s[8:9], vcc
	v_lshl_add_u32 v0, v122, 3, v0
	s_and_saveexec_b64 s[10:11], s[8:9]
	s_xor_b64 s[8:9], exec, s[10:11]
	s_cbranch_execz .LBB182_14
; %bb.13:
	v_mov_b32_e32 v2, 0
	v_mov_b32_e32 v3, v2
	ds_write_b64 v0, v[2:3]
                                        ; implicit-def: $vgpr0
.LBB182_14:
	s_andn2_saveexec_b64 s[8:9], s[8:9]
	s_cbranch_execz .LBB182_16
; %bb.15:
	flat_load_dwordx2 v[2:3], v[12:13]
	s_waitcnt vmcnt(0) lgkmcnt(0)
	ds_write_b64 v0, v[2:3]
.LBB182_16:
	s_or_b64 exec, exec, s[6:7]
	s_ashr_i32 s29, s28, 31
	v_lshl_add_u32 v22, v123, 6, v122
	s_lshl_b64 s[6:7], s[28:29], 3
	v_and_b32_e32 v0, 31, v122
	v_lshrrev_b32_e32 v18, 5, v22
	s_add_u32 s8, s12, s6
	v_mov_b32_e32 v1, 0
	s_addc_u32 s9, s13, s7
	v_mad_u64_u32 v[14:15], s[6:7], v18, s24, v[0:1]
	v_mov_b32_e32 v2, v15
	v_mad_u64_u32 v[2:3], s[6:7], v18, s25, v[2:3]
	s_mul_i32 s6, s28, s25
	s_mul_hi_u32 s7, s28, s24
	s_add_i32 s6, s7, s6
	s_mul_i32 s7, s29, s24
	s_add_i32 s7, s6, s7
	s_mul_i32 s6, s28, s24
	s_lshl_b64 s[6:7], s[6:7], 3
	s_add_u32 s6, s6, s8
	s_addc_u32 s7, s7, s9
	s_cmp_eq_u32 s20, 0
	s_cselect_b64 s[22:23], -1, 0
	s_cmp_lg_u32 s20, 0
	v_mov_b32_e32 v15, v2
	s_cselect_b64 s[30:31], -1, 0
	v_lshl_add_u64 v[4:5], v[14:15], 3, s[6:7]
	s_and_b64 vcc, exec, s[30:31]
	v_cmp_gt_i32_e64 s[6:7], s20, v0
	v_lshlrev_b32_e32 v2, 3, v0
	s_mul_i32 s37, s25, 0xc0
	s_cbranch_vccz .LBB182_32
; %bb.17:
	v_sub_co_u32_e32 v6, vcc, v4, v2
	s_ashr_i32 s21, s20, 31
	s_nop 0
	v_subbrev_co_u32_e32 v7, vcc, 0, v5, vcc
	v_lshl_add_u64 v[6:7], s[20:21], 3, v[6:7]
	v_lshl_add_u64 v[6:7], v[6:7], 0, -8
	v_cndmask_b32_e64 v7, v7, v5, s[6:7]
	v_cndmask_b32_e64 v6, v6, v4, s[6:7]
	v_cmp_gt_i32_e32 vcc, s20, v18
	v_mov_b32_e32 v9, 0
	s_and_saveexec_b64 s[8:9], vcc
	s_cbranch_execz .LBB182_19
; %bb.18:
	flat_load_dwordx2 v[8:9], v[6:7]
	s_waitcnt vmcnt(0) lgkmcnt(0)
	v_mov_b32_e32 v1, v8
.LBB182_19:
	s_or_b64 exec, exec, s[8:9]
	v_mul_u32_u24_e32 v3, 33, v18
	v_mov_b32_e32 v8, v1
	v_add_u32_e32 v1, 8, v18
	v_add_lshl_u32 v3, v3, v0, 3
	v_cmp_le_i32_e32 vcc, s20, v1
	ds_write_b64 v3, v[8:9]
	s_and_saveexec_b64 s[8:9], vcc
	s_xor_b64 s[8:9], exec, s[8:9]
	s_cbranch_execz .LBB182_21
; %bb.20:
	v_mul_u32_u24_e32 v1, 33, v1
	v_mov_b32_e32 v8, 0
	v_add_lshl_u32 v1, v1, v0, 3
	v_mov_b32_e32 v9, v8
	ds_write_b64 v1, v[8:9]
.LBB182_21:
	s_andn2_saveexec_b64 s[8:9], s[8:9]
	s_cbranch_execz .LBB182_23
; %bb.22:
	s_lshl_b64 s[10:11], s[24:25], 6
	v_lshl_add_u64 v[8:9], v[6:7], 0, s[10:11]
	flat_load_dwordx2 v[8:9], v[8:9]
	s_waitcnt vmcnt(0) lgkmcnt(0)
	ds_write_b64 v3, v[8:9] offset:2112
.LBB182_23:
	s_or_b64 exec, exec, s[8:9]
	v_add_u32_e32 v1, 16, v18
	v_cmp_le_i32_e32 vcc, s20, v1
	s_and_saveexec_b64 s[8:9], vcc
	s_xor_b64 s[8:9], exec, s[8:9]
	s_cbranch_execz .LBB182_25
; %bb.24:
	v_mov_b32_e32 v8, 0
	v_mov_b32_e32 v9, v8
	ds_write_b64 v3, v[8:9] offset:4224
.LBB182_25:
	s_andn2_saveexec_b64 s[8:9], s[8:9]
	s_cbranch_execz .LBB182_27
; %bb.26:
	s_lshl_b64 s[10:11], s[24:25], 7
	v_lshl_add_u64 v[8:9], v[6:7], 0, s[10:11]
	flat_load_dwordx2 v[8:9], v[8:9]
	s_waitcnt vmcnt(0) lgkmcnt(0)
	ds_write_b64 v3, v[8:9] offset:4224
.LBB182_27:
	s_or_b64 exec, exec, s[8:9]
	v_add_u32_e32 v1, 24, v18
	v_cmp_le_i32_e32 vcc, s20, v1
	s_and_saveexec_b64 s[8:9], vcc
	s_xor_b64 s[8:9], exec, s[8:9]
	s_cbranch_execz .LBB182_29
; %bb.28:
	v_mov_b32_e32 v8, 0
	v_mov_b32_e32 v9, v8
	ds_write_b64 v3, v[8:9] offset:6336
                                        ; implicit-def: $vgpr3
.LBB182_29:
	s_andn2_saveexec_b64 s[8:9], s[8:9]
	s_cbranch_execz .LBB182_31
; %bb.30:
	v_mov_b32_e32 v1, 0xc0
	v_mad_u64_u32 v[8:9], s[10:11], s24, v1, v[6:7]
	v_add_u32_e32 v9, s37, v9
	flat_load_dwordx2 v[8:9], v[8:9]
	s_waitcnt vmcnt(0) lgkmcnt(0)
	ds_write_b64 v3, v[8:9] offset:6336
.LBB182_31:
	s_or_b64 exec, exec, s[8:9]
	v_mov_b32_e32 v3, 0
	v_lshl_add_u64 v[6:7], v[6:7], 0, v[2:3]
	s_lshl_b64 s[8:9], s[20:21], 3
	v_mov_b32_e32 v1, s9
	v_subrev_co_u32_e32 v6, vcc, s8, v6
	s_nop 1
	v_subb_co_u32_e32 v7, vcc, v7, v1, vcc
	v_lshl_add_u64 v[6:7], v[6:7], 0, 8
	v_cndmask_b32_e64 v7, v7, v5, s[6:7]
	v_cndmask_b32_e64 v6, v6, v4, s[6:7]
	v_mul_u32_u24_e32 v19, 33, v18
	s_branch .LBB182_34
.LBB182_32:
                                        ; implicit-def: $vgpr6_vgpr7
	v_mul_u32_u24_e32 v19, 33, v18
	s_cbranch_execz .LBB182_34
; %bb.33:
	flat_load_dwordx2 v[6:7], v[4:5]
	v_add_lshl_u32 v1, v19, v0, 3
	s_lshl_b64 s[6:7], s[24:25], 6
	v_lshl_add_u64 v[8:9], v[4:5], 0, s[6:7]
	v_mov_b32_e32 v3, 0xc0
	s_waitcnt vmcnt(0) lgkmcnt(0)
	ds_write_b64 v1, v[6:7]
	flat_load_dwordx2 v[6:7], v[8:9]
	v_lshl_add_u64 v[8:9], v[8:9], 0, s[6:7]
	s_waitcnt vmcnt(0) lgkmcnt(0)
	ds_write_b64 v1, v[6:7] offset:2112
	flat_load_dwordx2 v[6:7], v[8:9]
	v_mad_u64_u32 v[8:9], s[6:7], s24, v3, v[4:5]
	v_add_u32_e32 v9, s37, v9
	s_waitcnt vmcnt(0) lgkmcnt(0)
	ds_write_b64 v1, v[6:7] offset:4224
	flat_load_dwordx2 v[6:7], v[8:9]
	s_waitcnt vmcnt(0) lgkmcnt(0)
	ds_write_b64 v1, v[6:7] offset:6336
	v_mov_b64_e32 v[6:7], v[4:5]
.LBB182_34:
	v_lshlrev_b32_e32 v3, 2, v18
	v_mul_u32_u24_e32 v1, 33, v0
	v_cmp_gt_u32_e64 s[6:7], v3, v0
	v_add_lshl_u32 v16, v3, v1, 3
	s_waitcnt lgkmcnt(0)
	s_barrier
	s_and_saveexec_b64 s[8:9], s[6:7]
	s_cbranch_execz .LBB182_36
; %bb.35:
	v_mul_u32_u24_e32 v4, 0x84, v18
	v_add_lshl_u32 v4, v4, v0, 3
	ds_read_b64 v[4:5], v4
	s_waitcnt lgkmcnt(0)
	ds_write_b64 v16, v[4:5]
.LBB182_36:
	s_or_b64 exec, exec, s[8:9]
	v_cmp_ge_u32_e64 s[8:9], v3, v0
	s_and_saveexec_b64 s[10:11], s[8:9]
	s_cbranch_execz .LBB182_38
; %bb.37:
	v_or_b32_e32 v4, 1, v3
	v_mul_u32_u24_e32 v4, 33, v4
	v_add_lshl_u32 v4, v4, v0, 3
	ds_read_b64 v[4:5], v4
	s_waitcnt lgkmcnt(0)
	ds_write_b64 v16, v[4:5] offset:8
.LBB182_38:
	s_or_b64 exec, exec, s[10:11]
	v_or_b32_e32 v4, 2, v3
	v_cmp_gt_u32_e64 s[10:11], v4, v0
	s_and_saveexec_b64 s[12:13], s[10:11]
	s_cbranch_execz .LBB182_40
; %bb.39:
	v_mul_u32_u24_e32 v4, 33, v4
	v_add_lshl_u32 v4, v4, v0, 3
	ds_read_b64 v[4:5], v4
	s_waitcnt lgkmcnt(0)
	ds_write_b64 v16, v[4:5] offset:16
.LBB182_40:
	s_or_b64 exec, exec, s[12:13]
	v_or_b32_e32 v4, 3, v3
	v_cmp_gt_u32_e64 s[12:13], v4, v0
	v_mad_u32_u24 v4, v4, 33, v0
	v_lshlrev_b32_e32 v25, 3, v4
	s_and_saveexec_b64 s[14:15], s[12:13]
	s_cbranch_execz .LBB182_42
; %bb.41:
	ds_read_b64 v[4:5], v25
	s_waitcnt lgkmcnt(0)
	ds_write_b64 v16, v[4:5] offset:24
.LBB182_42:
	s_or_b64 exec, exec, s[14:15]
	v_mul_u32_u24_e32 v4, 0x84, v18
	v_add_lshl_u32 v20, v4, v0, 3
	s_waitcnt lgkmcnt(0)
	s_barrier
	v_lshlrev_b32_e32 v17, 3, v3
	v_add_u32_e32 v21, 0xfffffdf0, v25
	ds_read_b64 v[4:5], v20
	ds_read_b128 v[8:11], v17 offset:9088
	ds_read2_b64 v[30:33], v21 offset1:33
	ds_read_b64 v[26:27], v25
	ds_read_b128 v[34:37], v17 offset:9104
	s_mov_b32 s16, 0
	s_mov_b32 s17, s16
	s_waitcnt lgkmcnt(3)
	v_pk_mul_f32 v[38:39], v[8:9], v[4:5] op_sel:[0,1]
	v_add_lshl_u32 v23, v18, v1, 3
	v_pk_fma_f32 v[40:41], v[8:9], v[4:5], v[38:39] op_sel:[0,0,1] op_sel_hi:[1,1,0] neg_lo:[0,0,1] neg_hi:[0,0,1]
	v_pk_fma_f32 v[4:5], v[8:9], v[4:5], v[38:39] op_sel:[0,0,1] op_sel_hi:[1,0,0]
	s_waitcnt lgkmcnt(2)
	v_pk_mul_f32 v[8:9], v[10:11], v[30:31] op_sel:[0,1]
	v_mov_b32_e32 v41, v5
	v_pk_fma_f32 v[38:39], v[10:11], v[30:31], v[8:9] op_sel:[0,0,1] op_sel_hi:[1,1,0] neg_lo:[0,0,1] neg_hi:[0,0,1]
	v_pk_fma_f32 v[8:9], v[10:11], v[30:31], v[8:9] op_sel:[0,0,1] op_sel_hi:[1,0,0]
	v_pk_add_f32 v[4:5], v[40:41], 0 op_sel_hi:[1,0]
	v_mov_b32_e32 v39, v9
	s_waitcnt lgkmcnt(0)
	v_pk_mul_f32 v[8:9], v[34:35], v[32:33] op_sel:[0,1]
	v_pk_add_f32 v[4:5], v[4:5], v[38:39]
	v_pk_fma_f32 v[10:11], v[34:35], v[32:33], v[8:9] op_sel:[0,0,1] op_sel_hi:[1,1,0] neg_lo:[0,0,1] neg_hi:[0,0,1]
	v_pk_fma_f32 v[8:9], v[34:35], v[32:33], v[8:9] op_sel:[0,0,1] op_sel_hi:[1,0,0]
	v_cmp_gt_u32_e64 s[14:15], 32, v22
	v_mov_b32_e32 v11, v9
	v_pk_mul_f32 v[8:9], v[36:37], v[26:27] op_sel:[0,1]
	v_pk_add_f32 v[4:5], v[4:5], v[10:11]
	v_pk_fma_f32 v[10:11], v[36:37], v[26:27], v[8:9] op_sel:[0,0,1] op_sel_hi:[1,1,0] neg_lo:[0,0,1] neg_hi:[0,0,1]
	v_pk_fma_f32 v[8:9], v[36:37], v[26:27], v[8:9] op_sel:[0,0,1] op_sel_hi:[1,0,0]
	v_mov_b64_e32 v[30:31], s[16:17]
	v_mov_b32_e32 v11, v9
	v_pk_add_f32 v[4:5], v[4:5], v[10:11]
	v_lshlrev_b32_e32 v24, 3, v1
	s_barrier
	ds_write_b64 v23, v[4:5]
	s_waitcnt lgkmcnt(0)
	s_barrier
	s_and_saveexec_b64 s[16:17], s[14:15]
	s_cbranch_execz .LBB182_44
; %bb.43:
	ds_read2_b64 v[8:11], v24 offset1:7
	ds_read2_b64 v[30:33], v24 offset0:1 offset1:2
	ds_read2_b64 v[34:37], v24 offset0:3 offset1:4
	s_waitcnt lgkmcnt(1)
	v_add_f32_e32 v3, v30, v8
	v_add_f32_e32 v4, v31, v9
	;; [unrolled: 1-line block ×4, first 2 shown]
	ds_read2_b64 v[30:33], v24 offset0:5 offset1:6
	s_waitcnt lgkmcnt(1)
	v_add_f32_e32 v3, v3, v34
	v_add_f32_e32 v4, v4, v35
	;; [unrolled: 1-line block ×4, first 2 shown]
	s_waitcnt lgkmcnt(0)
	v_add_f32_e32 v3, v3, v30
	v_add_f32_e32 v5, v4, v31
	;; [unrolled: 1-line block ×4, first 2 shown]
	v_pk_add_f32 v[30:31], v[4:5], v[10:11]
.LBB182_44:
	s_or_b64 exec, exec, s[16:17]
	s_lshl_b64 s[16:17], s[24:25], 8
	v_lshl_add_u64 v[6:7], v[6:7], 0, s[16:17]
	s_mov_b64 s[16:17], 0x100
	v_lshl_add_u64 v[4:5], v[6:7], 0, s[16:17]
	s_and_b64 vcc, exec, s[30:31]
	s_barrier
	s_cbranch_vccz .LBB182_60
; %bb.45:
	v_or_b32_e32 v3, 32, v0
	v_lshlrev_b32_e32 v8, 3, v3
	v_sub_co_u32_e32 v8, vcc, v4, v8
	s_ashr_i32 s21, s20, 31
	s_nop 0
	v_subbrev_co_u32_e32 v9, vcc, 0, v5, vcc
	v_lshl_add_u64 v[8:9], s[20:21], 3, v[8:9]
	v_lshl_add_u64 v[8:9], v[8:9], 0, -8
	v_cmp_gt_i32_e32 vcc, s20, v3
	s_sub_i32 s38, s20, 32
	v_mov_b32_e32 v10, 0
	v_cndmask_b32_e32 v9, v9, v5, vcc
	v_cndmask_b32_e32 v8, v8, v4, vcc
	v_cmp_gt_i32_e64 s[16:17], s38, v18
	v_mov_b32_e32 v11, v10
	s_and_saveexec_b64 s[34:35], s[16:17]
	s_cbranch_execz .LBB182_47
; %bb.46:
	flat_load_dwordx2 v[10:11], v[8:9]
.LBB182_47:
	s_or_b64 exec, exec, s[34:35]
	v_add_lshl_u32 v3, v19, v0, 3
	s_waitcnt vmcnt(0) lgkmcnt(0)
	ds_write_b64 v3, v[10:11]
	v_add_u32_e32 v10, 8, v18
	v_cmp_le_i32_e64 s[16:17], s38, v10
	s_and_saveexec_b64 s[34:35], s[16:17]
	s_xor_b64 s[16:17], exec, s[34:35]
	s_cbranch_execz .LBB182_49
; %bb.48:
	v_mul_u32_u24_e32 v10, 33, v10
	v_add_lshl_u32 v26, v10, v0, 3
	v_mov_b32_e32 v10, 0
	v_mov_b32_e32 v11, v10
	ds_write_b64 v26, v[10:11]
.LBB182_49:
	s_andn2_saveexec_b64 s[16:17], s[16:17]
	s_cbranch_execz .LBB182_51
; %bb.50:
	s_lshl_b64 s[34:35], s[24:25], 6
	v_lshl_add_u64 v[10:11], v[8:9], 0, s[34:35]
	flat_load_dwordx2 v[10:11], v[10:11]
	s_waitcnt vmcnt(0) lgkmcnt(0)
	ds_write_b64 v3, v[10:11] offset:2112
.LBB182_51:
	s_or_b64 exec, exec, s[16:17]
	v_add_u32_e32 v10, 16, v18
	v_cmp_le_i32_e64 s[16:17], s38, v10
	s_and_saveexec_b64 s[34:35], s[16:17]
	s_xor_b64 s[16:17], exec, s[34:35]
	s_cbranch_execz .LBB182_53
; %bb.52:
	v_mov_b32_e32 v10, 0
	v_mov_b32_e32 v11, v10
	ds_write_b64 v3, v[10:11] offset:4224
.LBB182_53:
	s_andn2_saveexec_b64 s[16:17], s[16:17]
	s_cbranch_execz .LBB182_55
; %bb.54:
	s_lshl_b64 s[34:35], s[24:25], 7
	v_lshl_add_u64 v[10:11], v[8:9], 0, s[34:35]
	flat_load_dwordx2 v[10:11], v[10:11]
	s_waitcnt vmcnt(0) lgkmcnt(0)
	ds_write_b64 v3, v[10:11] offset:4224
.LBB182_55:
	s_or_b64 exec, exec, s[16:17]
	v_add_u32_e32 v10, 24, v18
	v_cmp_le_i32_e64 s[16:17], s38, v10
	s_and_saveexec_b64 s[34:35], s[16:17]
	s_xor_b64 s[16:17], exec, s[34:35]
	s_cbranch_execz .LBB182_57
; %bb.56:
	v_mov_b32_e32 v10, 0
	v_mov_b32_e32 v11, v10
	ds_write_b64 v3, v[10:11] offset:6336
                                        ; implicit-def: $vgpr3
.LBB182_57:
	s_andn2_saveexec_b64 s[16:17], s[16:17]
	s_cbranch_execz .LBB182_59
; %bb.58:
	v_mov_b32_e32 v10, 0xc0
	v_mad_u64_u32 v[10:11], s[34:35], s24, v10, v[8:9]
	v_add_u32_e32 v11, s37, v11
	flat_load_dwordx2 v[10:11], v[10:11]
	s_waitcnt vmcnt(0) lgkmcnt(0)
	ds_write_b64 v3, v[10:11] offset:6336
.LBB182_59:
	s_or_b64 exec, exec, s[16:17]
	v_mov_b32_e32 v3, 0
	v_lshl_add_u64 v[8:9], v[8:9], 0, v[2:3]
	s_lshl_b64 s[16:17], s[20:21], 3
	v_mov_b32_e32 v3, s17
	v_subrev_co_u32_e64 v8, s[16:17], s16, v8
	s_nop 1
	v_subb_co_u32_e64 v9, s[16:17], v9, v3, s[16:17]
	s_mov_b64 s[16:17], 0x108
	s_nop 0
	v_lshl_add_u64 v[8:9], v[8:9], 0, s[16:17]
	v_cndmask_b32_e32 v9, v9, v5, vcc
	v_cndmask_b32_e32 v8, v8, v4, vcc
	s_branch .LBB182_62
.LBB182_60:
                                        ; implicit-def: $vgpr8_vgpr9
	s_cbranch_execz .LBB182_62
; %bb.61:
	flat_load_dwordx2 v[8:9], v[6:7] offset:256
	v_add_lshl_u32 v3, v19, v0, 3
	s_lshl_b64 s[16:17], s[24:25], 6
	v_lshl_add_u64 v[10:11], v[6:7], 0, s[16:17]
	s_waitcnt vmcnt(0) lgkmcnt(0)
	ds_write_b64 v3, v[8:9]
	flat_load_dwordx2 v[8:9], v[10:11] offset:256
	v_lshl_add_u64 v[10:11], v[10:11], 0, s[16:17]
	s_waitcnt vmcnt(0) lgkmcnt(0)
	ds_write_b64 v3, v[8:9] offset:2112
	flat_load_dwordx2 v[8:9], v[10:11] offset:256
	v_mov_b32_e32 v10, 0xc0
	v_mad_u64_u32 v[6:7], s[16:17], s24, v10, v[6:7]
	v_add_u32_e32 v7, s37, v7
	s_waitcnt vmcnt(0) lgkmcnt(0)
	ds_write_b64 v3, v[8:9] offset:4224
	flat_load_dwordx2 v[6:7], v[6:7] offset:256
	v_mov_b64_e32 v[8:9], v[4:5]
	s_waitcnt vmcnt(0) lgkmcnt(0)
	ds_write_b64 v3, v[6:7] offset:6336
.LBB182_62:
	s_waitcnt lgkmcnt(0)
	s_barrier
	s_and_saveexec_b64 s[16:17], s[6:7]
	s_cbranch_execnz .LBB182_85
; %bb.63:
	s_or_b64 exec, exec, s[16:17]
	s_and_saveexec_b64 s[6:7], s[8:9]
	s_cbranch_execnz .LBB182_86
.LBB182_64:
	s_or_b64 exec, exec, s[6:7]
	s_and_saveexec_b64 s[6:7], s[10:11]
	s_cbranch_execnz .LBB182_87
.LBB182_65:
	s_or_b64 exec, exec, s[6:7]
	v_add_u32_e32 v26, 0x2380, v17
	s_and_saveexec_b64 s[6:7], s[12:13]
	s_cbranch_execz .LBB182_67
.LBB182_66:
	ds_read_b64 v[4:5], v25
	s_waitcnt lgkmcnt(0)
	ds_write_b64 v16, v[4:5] offset:24
.LBB182_67:
	s_or_b64 exec, exec, s[6:7]
	s_waitcnt lgkmcnt(0)
	s_barrier
	ds_read_b64 v[10:11], v20
	ds_read_b128 v[4:7], v26 offset:256
	ds_read2_b64 v[32:35], v21 offset1:33
	ds_read_b64 v[16:17], v25
	ds_read_b128 v[36:39], v26 offset:272
	v_cmp_eq_u32_e64 s[6:7], 1, v18
	s_waitcnt lgkmcnt(3)
	v_pk_mul_f32 v[40:41], v[4:5], v[10:11] op_sel:[0,1]
	s_waitcnt lgkmcnt(0)
	v_pk_fma_f32 v[42:43], v[4:5], v[10:11], v[40:41] op_sel:[0,0,1] op_sel_hi:[1,1,0] neg_lo:[0,0,1] neg_hi:[0,0,1]
	v_pk_fma_f32 v[4:5], v[4:5], v[10:11], v[40:41] op_sel:[0,0,1] op_sel_hi:[1,0,0]
	v_pk_mul_f32 v[10:11], v[6:7], v[32:33] op_sel:[0,1]
	v_mov_b32_e32 v43, v5
	v_pk_fma_f32 v[40:41], v[6:7], v[32:33], v[10:11] op_sel:[0,0,1] op_sel_hi:[1,1,0] neg_lo:[0,0,1] neg_hi:[0,0,1]
	v_pk_fma_f32 v[6:7], v[6:7], v[32:33], v[10:11] op_sel:[0,0,1] op_sel_hi:[1,0,0]
	v_pk_add_f32 v[4:5], v[42:43], 0 op_sel_hi:[1,0]
	v_mov_b32_e32 v41, v7
	v_pk_mul_f32 v[6:7], v[36:37], v[34:35] op_sel:[0,1]
	v_pk_add_f32 v[4:5], v[4:5], v[40:41]
	v_pk_fma_f32 v[10:11], v[36:37], v[34:35], v[6:7] op_sel:[0,0,1] op_sel_hi:[1,1,0] neg_lo:[0,0,1] neg_hi:[0,0,1]
	v_pk_fma_f32 v[6:7], v[36:37], v[34:35], v[6:7] op_sel:[0,0,1] op_sel_hi:[1,0,0]
	s_barrier
	v_mov_b32_e32 v11, v7
	v_pk_mul_f32 v[6:7], v[38:39], v[16:17] op_sel:[0,1]
	v_pk_add_f32 v[4:5], v[4:5], v[10:11]
	v_pk_fma_f32 v[10:11], v[38:39], v[16:17], v[6:7] op_sel:[0,0,1] op_sel_hi:[1,1,0] neg_lo:[0,0,1] neg_hi:[0,0,1]
	v_pk_fma_f32 v[6:7], v[38:39], v[16:17], v[6:7] op_sel:[0,0,1] op_sel_hi:[1,0,0]
	s_nop 0
	v_mov_b32_e32 v11, v7
	v_pk_add_f32 v[4:5], v[4:5], v[10:11]
	ds_write_b64 v23, v[4:5]
	s_waitcnt lgkmcnt(0)
	s_barrier
	s_and_saveexec_b64 s[8:9], s[6:7]
	s_cbranch_execz .LBB182_69
; %bb.68:
	ds_read2_b64 v[4:7], v24 offset1:7
	ds_read2_b64 v[30:33], v24 offset0:1 offset1:2
	ds_read2_b64 v[34:37], v24 offset0:3 offset1:4
	s_waitcnt lgkmcnt(1)
	v_add_f32_e32 v3, v30, v4
	v_add_f32_e32 v4, v31, v5
	;; [unrolled: 1-line block ×4, first 2 shown]
	ds_read2_b64 v[30:33], v24 offset0:5 offset1:6
	s_waitcnt lgkmcnt(1)
	v_add_f32_e32 v3, v3, v34
	v_add_f32_e32 v4, v4, v35
	;; [unrolled: 1-line block ×4, first 2 shown]
	s_waitcnt lgkmcnt(0)
	v_add_f32_e32 v4, v3, v30
	v_add_f32_e32 v5, v5, v31
	v_pk_add_f32 v[4:5], v[4:5], v[32:33]
	s_nop 0
	v_pk_add_f32 v[30:31], v[4:5], v[6:7]
.LBB182_69:
	s_or_b64 exec, exec, s[8:9]
	s_movk_i32 s8, 0xff00
	s_mov_b32 s9, -1
	v_lshl_add_u64 v[4:5], v[8:9], 0, s[8:9]
	s_and_b64 vcc, exec, s[30:31]
	s_barrier
	s_cbranch_vccz .LBB182_88
; %bb.70:
	v_sub_co_u32_e32 v6, vcc, v4, v2
	s_ashr_i32 s21, s20, 31
	s_nop 0
	v_subbrev_co_u32_e32 v7, vcc, 0, v5, vcc
	v_lshl_add_u64 v[6:7], s[20:21], 3, v[6:7]
	v_lshl_add_u64 v[6:7], v[6:7], 0, -8
	v_cmp_gt_i32_e32 vcc, s20, v0
	s_sub_i32 s12, s20, 32
	v_mov_b32_e32 v8, 0
	v_cndmask_b32_e32 v7, v7, v5, vcc
	v_cndmask_b32_e32 v6, v6, v4, vcc
	v_cmp_gt_i32_e64 s[8:9], s12, v18
	v_mov_b32_e32 v9, v8
	s_and_saveexec_b64 s[10:11], s[8:9]
	s_cbranch_execz .LBB182_72
; %bb.71:
	flat_load_dwordx2 v[8:9], v[6:7]
.LBB182_72:
	s_or_b64 exec, exec, s[10:11]
	v_add_lshl_u32 v3, v19, v0, 3
	s_waitcnt vmcnt(0) lgkmcnt(0)
	ds_write_b64 v3, v[8:9]
	v_add_u32_e32 v8, 8, v18
	v_cmp_le_i32_e64 s[8:9], s12, v8
	s_and_saveexec_b64 s[10:11], s[8:9]
	s_xor_b64 s[8:9], exec, s[10:11]
	s_cbranch_execz .LBB182_74
; %bb.73:
	v_mul_u32_u24_e32 v9, 33, v8
	v_mov_b32_e32 v10, 0
	v_add_lshl_u32 v9, v9, v0, 3
	v_mov_b32_e32 v11, v10
	ds_write_b64 v9, v[10:11]
.LBB182_74:
	s_andn2_saveexec_b64 s[8:9], s[8:9]
	s_cbranch_execz .LBB182_76
; %bb.75:
	s_lshl_b64 s[10:11], s[24:25], 6
	v_lshl_add_u64 v[10:11], v[6:7], 0, s[10:11]
	flat_load_dwordx2 v[10:11], v[10:11]
	s_waitcnt vmcnt(0) lgkmcnt(0)
	ds_write_b64 v3, v[10:11] offset:2112
.LBB182_76:
	s_or_b64 exec, exec, s[8:9]
	v_add_u32_e32 v9, 16, v18
	v_cmp_le_i32_e64 s[8:9], s12, v9
	s_and_saveexec_b64 s[10:11], s[8:9]
	s_xor_b64 s[8:9], exec, s[10:11]
	s_cbranch_execz .LBB182_78
; %bb.77:
	v_mov_b32_e32 v10, 0
	v_mov_b32_e32 v11, v10
	ds_write_b64 v3, v[10:11] offset:4224
.LBB182_78:
	s_andn2_saveexec_b64 s[8:9], s[8:9]
	s_cbranch_execz .LBB182_80
; %bb.79:
	s_lshl_b64 s[10:11], s[24:25], 7
	v_lshl_add_u64 v[10:11], v[6:7], 0, s[10:11]
	flat_load_dwordx2 v[10:11], v[10:11]
	s_waitcnt vmcnt(0) lgkmcnt(0)
	ds_write_b64 v3, v[10:11] offset:4224
.LBB182_80:
	s_or_b64 exec, exec, s[8:9]
	v_add_u32_e32 v10, 24, v18
	v_cmp_le_i32_e64 s[8:9], s12, v10
	s_and_saveexec_b64 s[10:11], s[8:9]
	s_xor_b64 s[8:9], exec, s[10:11]
	s_cbranch_execz .LBB182_82
; %bb.81:
	v_mov_b32_e32 v16, 0
	v_mov_b32_e32 v17, v16
	ds_write_b64 v3, v[16:17] offset:6336
                                        ; implicit-def: $vgpr3
.LBB182_82:
	s_andn2_saveexec_b64 s[8:9], s[8:9]
	s_cbranch_execz .LBB182_84
; %bb.83:
	v_mov_b32_e32 v11, 0xc0
	v_mad_u64_u32 v[16:17], s[10:11], s24, v11, v[6:7]
	v_add_u32_e32 v17, s37, v17
	flat_load_dwordx2 v[16:17], v[16:17]
	s_waitcnt vmcnt(0) lgkmcnt(0)
	ds_write_b64 v3, v[16:17] offset:6336
.LBB182_84:
	s_or_b64 exec, exec, s[8:9]
	v_mov_b32_e32 v3, 0
	v_lshl_add_u64 v[2:3], v[6:7], 0, v[2:3]
	s_lshl_b64 s[8:9], s[20:21], 3
	v_mov_b32_e32 v6, s9
	v_subrev_co_u32_e64 v2, s[8:9], s8, v2
	s_nop 1
	v_subb_co_u32_e64 v3, s[8:9], v3, v6, s[8:9]
	v_lshl_add_u64 v[2:3], v[2:3], 0, 8
	v_cndmask_b32_e32 v17, v3, v5, vcc
	v_cndmask_b32_e32 v16, v2, v4, vcc
	s_branch .LBB182_90
.LBB182_85:
	ds_read_b64 v[4:5], v20
	s_waitcnt lgkmcnt(0)
	ds_write_b64 v16, v[4:5]
	s_or_b64 exec, exec, s[16:17]
	s_and_saveexec_b64 s[6:7], s[8:9]
	s_cbranch_execz .LBB182_64
.LBB182_86:
	ds_read_b64 v[4:5], v21
	s_waitcnt lgkmcnt(0)
	ds_write_b64 v16, v[4:5] offset:8
	s_or_b64 exec, exec, s[6:7]
	s_and_saveexec_b64 s[6:7], s[10:11]
	s_cbranch_execz .LBB182_65
.LBB182_87:
	ds_read_b64 v[4:5], v21 offset:264
	s_waitcnt lgkmcnt(0)
	ds_write_b64 v16, v[4:5] offset:16
	s_or_b64 exec, exec, s[6:7]
	v_add_u32_e32 v26, 0x2380, v17
	s_and_saveexec_b64 s[6:7], s[12:13]
	s_cbranch_execnz .LBB182_66
	s_branch .LBB182_67
.LBB182_88:
                                        ; implicit-def: $vgpr16_vgpr17
                                        ; implicit-def: $vgpr8
                                        ; implicit-def: $vgpr9
                                        ; implicit-def: $vgpr10
	s_cbranch_execz .LBB182_90
; %bb.89:
	flat_load_dwordx2 v[2:3], v[4:5]
	v_add_lshl_u32 v0, v19, v0, 3
	s_lshl_b64 s[8:9], s[24:25], 6
	v_lshl_add_u64 v[6:7], v[4:5], 0, s[8:9]
	v_add_u32_e32 v8, 8, v18
	v_add_u32_e32 v9, 16, v18
	;; [unrolled: 1-line block ×3, first 2 shown]
	v_mov_b64_e32 v[16:17], v[4:5]
	s_waitcnt vmcnt(0) lgkmcnt(0)
	ds_write_b64 v0, v[2:3]
	flat_load_dwordx2 v[2:3], v[6:7]
	v_lshl_add_u64 v[6:7], v[6:7], 0, s[8:9]
	s_waitcnt vmcnt(0) lgkmcnt(0)
	ds_write_b64 v0, v[2:3] offset:2112
	flat_load_dwordx2 v[2:3], v[6:7]
	v_mov_b32_e32 v6, 0xc0
	v_mad_u64_u32 v[6:7], s[8:9], s24, v6, v[4:5]
	v_add_u32_e32 v7, s37, v7
	s_waitcnt vmcnt(0) lgkmcnt(0)
	ds_write_b64 v0, v[2:3] offset:4224
	flat_load_dwordx2 v[2:3], v[6:7]
	s_waitcnt vmcnt(0) lgkmcnt(0)
	ds_write_b64 v0, v[2:3] offset:6336
.LBB182_90:
	v_lshlrev_b32_e32 v18, 3, v18
	v_add_lshl_u32 v19, v8, v1, 3
	v_lshlrev_b32_e32 v34, 3, v8
	v_add_lshl_u32 v27, v9, v1, 3
	;; [unrolled: 2-line block ×3, first 2 shown]
	v_lshlrev_b32_e32 v40, 3, v10
	s_waitcnt lgkmcnt(0)
	s_barrier
	ds_read2_b64 v[4:7], v21 offset1:33
	ds_read_b64 v[20:21], v20
	ds_read_b128 v[8:11], v26 offset:256
	ds_read_b64 v[32:33], v23
	ds_read_b128 v[0:3], v26 offset:272
	ds_read_b64 v[26:27], v27
	ds_read_b64 v[34:35], v34 offset:9088
	ds_read_b64 v[36:37], v19
	ds_read_b64 v[38:39], v18 offset:9088
	;; [unrolled: 2-line block ×4, first 2 shown]
	s_waitcnt lgkmcnt(4)
	v_pk_mul_f32 v[46:47], v[38:39], v[32:33] op_sel:[0,1]
	s_waitcnt lgkmcnt(0)
	v_pk_fma_f32 v[48:49], v[38:39], v[32:33], v[46:47] op_sel:[0,0,1] op_sel_hi:[1,1,0] neg_lo:[0,0,1] neg_hi:[0,0,1]
	v_pk_fma_f32 v[32:33], v[38:39], v[32:33], v[46:47] op_sel:[0,0,1] op_sel_hi:[1,0,0]
	v_pk_mul_f32 v[38:39], v[34:35], v[36:37] op_sel:[0,1]
	v_mov_b32_e32 v49, v33
	v_pk_fma_f32 v[46:47], v[34:35], v[36:37], v[38:39] op_sel:[0,0,1] op_sel_hi:[1,1,0] neg_lo:[0,0,1] neg_hi:[0,0,1]
	v_pk_fma_f32 v[34:35], v[34:35], v[36:37], v[38:39] op_sel:[0,0,1] op_sel_hi:[1,0,0]
	v_pk_add_f32 v[32:33], v[48:49], 0 op_sel_hi:[1,0]
	v_mov_b32_e32 v47, v35
	v_pk_mul_f32 v[34:35], v[44:45], v[26:27] op_sel:[0,1]
	v_pk_add_f32 v[32:33], v[32:33], v[46:47]
	v_pk_fma_f32 v[36:37], v[44:45], v[26:27], v[34:35] op_sel:[0,0,1] op_sel_hi:[1,1,0] neg_lo:[0,0,1] neg_hi:[0,0,1]
	v_pk_fma_f32 v[26:27], v[44:45], v[26:27], v[34:35] op_sel:[0,0,1] op_sel_hi:[1,0,0]
	s_barrier
	v_mov_b32_e32 v37, v27
	v_pk_add_f32 v[26:27], v[32:33], v[36:37]
	v_pk_mul_f32 v[32:33], v[40:41], v[42:43] op_sel:[0,1]
	s_nop 0
	v_pk_fma_f32 v[34:35], v[40:41], v[42:43], v[32:33] op_sel:[0,0,1] op_sel_hi:[1,1,0] neg_lo:[0,0,1] neg_hi:[0,0,1]
	v_pk_fma_f32 v[32:33], v[40:41], v[42:43], v[32:33] op_sel:[0,0,1] op_sel_hi:[1,0,0]
	s_nop 0
	v_mov_b32_e32 v35, v33
	v_pk_add_f32 v[26:27], v[26:27], v[34:35]
	ds_write_b64 v23, v[26:27]
	s_waitcnt lgkmcnt(0)
	s_barrier
	s_and_saveexec_b64 s[8:9], s[6:7]
	s_cbranch_execz .LBB182_92
; %bb.91:
	ds_read2_b64 v[32:35], v24 offset1:1
	ds_read2_b64 v[36:39], v24 offset0:2 offset1:3
	ds_read2_b64 v[40:43], v24 offset0:6 offset1:7
	s_waitcnt lgkmcnt(2)
	v_pk_add_f32 v[26:27], v[30:31], v[32:33]
	ds_read2_b64 v[30:33], v24 offset0:4 offset1:5
	v_pk_add_f32 v[26:27], v[26:27], v[34:35]
	s_waitcnt lgkmcnt(2)
	v_pk_add_f32 v[26:27], v[26:27], v[36:37]
	s_nop 0
	v_pk_add_f32 v[26:27], v[26:27], v[38:39]
	s_waitcnt lgkmcnt(0)
	v_pk_add_f32 v[26:27], v[26:27], v[30:31]
	s_nop 0
	v_pk_add_f32 v[26:27], v[26:27], v[32:33]
	s_nop 0
	;; [unrolled: 2-line block ×3, first 2 shown]
	v_pk_add_f32 v[30:31], v[26:27], v[42:43]
.LBB182_92:
	s_or_b64 exec, exec, s[8:9]
	v_pk_mul_f32 v[26:27], v[8:9], v[20:21] op_sel:[0,1]
	s_nop 0
	v_pk_fma_f32 v[32:33], v[8:9], v[20:21], v[26:27] op_sel:[0,0,1] op_sel_hi:[1,1,0] neg_lo:[0,0,1] neg_hi:[0,0,1]
	v_pk_fma_f32 v[8:9], v[8:9], v[20:21], v[26:27] op_sel:[0,0,1] op_sel_hi:[1,0,0]
	v_pk_mul_f32 v[20:21], v[10:11], v[4:5] op_sel:[0,1]
	v_mov_b32_e32 v33, v9
	v_pk_fma_f32 v[26:27], v[10:11], v[4:5], v[20:21] op_sel:[0,0,1] op_sel_hi:[1,1,0] neg_lo:[0,0,1] neg_hi:[0,0,1]
	v_pk_fma_f32 v[4:5], v[10:11], v[4:5], v[20:21] op_sel:[0,0,1] op_sel_hi:[1,0,0]
	v_pk_add_f32 v[8:9], v[32:33], 0 op_sel_hi:[1,0]
	v_mov_b32_e32 v27, v5
	v_pk_add_f32 v[4:5], v[8:9], v[26:27]
	v_pk_mul_f32 v[8:9], v[0:1], v[6:7] op_sel:[0,1]
	s_barrier
	v_pk_fma_f32 v[10:11], v[0:1], v[6:7], v[8:9] op_sel:[0,0,1] op_sel_hi:[1,1,0] neg_lo:[0,0,1] neg_hi:[0,0,1]
	v_pk_fma_f32 v[0:1], v[0:1], v[6:7], v[8:9] op_sel:[0,0,1] op_sel_hi:[1,0,0]
	s_nop 0
	v_mov_b32_e32 v11, v1
	v_pk_add_f32 v[0:1], v[4:5], v[10:11]
	v_pk_mul_f32 v[4:5], v[2:3], v[18:19] op_sel:[0,1]
	s_nop 0
	v_pk_fma_f32 v[6:7], v[2:3], v[18:19], v[4:5] op_sel:[0,0,1] op_sel_hi:[1,1,0] neg_lo:[0,0,1] neg_hi:[0,0,1]
	v_pk_fma_f32 v[2:3], v[2:3], v[18:19], v[4:5] op_sel:[0,0,1] op_sel_hi:[1,0,0]
	s_nop 0
	v_mov_b32_e32 v7, v3
	v_pk_add_f32 v[0:1], v[0:1], v[6:7]
	ds_write_b64 v23, v[0:1]
	s_waitcnt lgkmcnt(0)
	s_barrier
	s_and_saveexec_b64 s[6:7], s[14:15]
	s_cbranch_execz .LBB182_94
; %bb.93:
	ds_read2_b64 v[0:3], v24 offset1:1
	ds_read2_b64 v[4:7], v24 offset0:2 offset1:3
	ds_read2_b64 v[8:11], v24 offset0:4 offset1:5
	s_waitcnt lgkmcnt(2)
	v_pk_add_f32 v[0:1], v[30:31], v[0:1]
	s_nop 0
	v_pk_add_f32 v[18:19], v[0:1], v[2:3]
	ds_read2_b64 v[0:3], v24 offset0:6 offset1:7
	s_waitcnt lgkmcnt(2)
	v_pk_add_f32 v[4:5], v[18:19], v[4:5]
	s_nop 0
	v_pk_add_f32 v[4:5], v[4:5], v[6:7]
	s_waitcnt lgkmcnt(1)
	v_pk_add_f32 v[4:5], v[4:5], v[8:9]
	s_nop 0
	v_pk_add_f32 v[4:5], v[4:5], v[10:11]
	;; [unrolled: 4-line block ×3, first 2 shown]
.LBB182_94:
	s_or_b64 exec, exec, s[6:7]
	s_load_dwordx2 s[0:1], s[0:1], 0x68
	s_mul_hi_u32 s6, s33, s26
	s_mul_i32 s36, s36, s26
	s_add_i32 s6, s6, s36
	s_mul_i32 s8, s33, s26
	s_mul_i32 s6, s6, s3
	s_mul_hi_u32 s7, s8, s3
	s_add_i32 s7, s7, s6
	s_mul_i32 s6, s8, s3
	s_lshl_b64 s[6:7], s[6:7], 3
	s_waitcnt lgkmcnt(0)
	s_add_u32 s6, s0, s6
	s_addc_u32 s7, s1, s7
	s_mul_hi_i32 s1, s33, s2
	s_mul_i32 s0, s33, s2
	s_lshl_b64 s[0:1], s[0:1], 3
	s_add_u32 s8, s6, s0
	s_addc_u32 s9, s7, s1
	s_add_i32 s0, s2, 1
	s_cmp_ge_u32 s0, s3
	v_lshlrev_b32_e32 v32, 3, v122
	s_barrier
	s_cbranch_scc1 .LBB182_152
; %bb.95:
	s_mul_i32 s0, s28, s19
	s_mul_hi_u32 s1, s28, s18
	s_add_i32 s0, s1, s0
	s_mul_i32 s1, s29, s18
	s_add_i32 s1, s0, s1
	s_mul_i32 s0, s28, s18
	s_lshl_b64 s[0:1], s[0:1], 3
	v_mov_b32_e32 v0, s1
	v_subrev_co_u32_e32 v34, vcc, s0, v12
	v_and_b32_e32 v2, 48, v122
	s_nop 0
	v_subb_co_u32_e32 v35, vcc, v13, v0, vcc
	v_and_b32_e32 v0, 15, v122
	v_lshlrev_b32_e32 v3, 3, v2
	s_movk_i32 s0, 0x218
	v_lshrrev_b32_e32 v1, 4, v22
	v_mad_u32_u24 v127, v0, s0, v3
	v_or_b32_e32 v3, 0x78, v32
	v_mad_u32_u24 v128, v0, s0, v3
	v_lshlrev_b32_e32 v3, 5, v1
	v_lshlrev_b32_e32 v6, 5, v123
	v_mad_u32_u24 v129, v0, s0, v3
	s_movk_i32 s0, 0x860
	v_add_u32_e32 v3, 0x110, v6
	v_mad_u32_u24 v134, v123, s0, v32
	v_mul_i32_i24_e32 v7, 0xffffffe8, v1
	v_or_b32_e32 v147, v2, v0
	v_mad_u64_u32 v[0:1], s[0:1], s24, v3, 0
	v_mov_b32_e32 v2, v1
	v_mad_u64_u32 v[2:3], s[0:1], s25, v3, v[2:3]
	v_mov_b32_e32 v1, v2
	v_lshlrev_b64 v[2:3], 3, v[14:15]
	v_sub_co_u32_e32 v0, vcc, v0, v2
	v_add_u32_e32 v5, 0x108, v6
	s_nop 0
	v_subb_co_u32_e32 v1, vcc, v1, v3, vcc
	v_lshl_add_u64 v[38:39], v[16:17], 0, v[0:1]
	v_mad_u64_u32 v[0:1], s[0:1], s24, v5, 0
	v_mov_b32_e32 v4, v1
	v_mad_u64_u32 v[4:5], s[0:1], s25, v5, v[4:5]
	v_mov_b32_e32 v1, v4
	v_sub_co_u32_e32 v0, vcc, v0, v2
	v_add_u32_e32 v5, 0x100, v6
	s_nop 0
	v_subb_co_u32_e32 v1, vcc, v1, v3, vcc
	v_lshl_add_u64 v[40:41], v[16:17], 0, v[0:1]
	v_mad_u64_u32 v[0:1], s[0:1], s24, v5, 0
	v_mov_b32_e32 v4, v1
	v_mad_u64_u32 v[4:5], s[0:1], s25, v5, v[4:5]
	v_mov_b32_e32 v1, v4
	;; [unrolled: 9-line block ×15, first 2 shown]
	v_sub_co_u32_e32 v0, vcc, v0, v2
	v_lshlrev_b32_e32 v124, 2, v123
	v_mov_b32_e32 v36, 0
	v_subb_co_u32_e32 v1, vcc, v1, v3, vcc
	s_add_i32 s21, s3, -2
	v_add_u32_e32 v125, 0x2180, v32
	v_add_u32_e32 v126, 0x2380, v32
	v_cmp_gt_u32_e64 s[6:7], 64, v22
	v_or_b32_e32 v130, 1, v124
	v_or_b32_e32 v131, 2, v124
	;; [unrolled: 1-line block ×3, first 2 shown]
	v_add_u32_e32 v133, 0x2180, v6
	v_add_u32_e32 v135, 16, v124
	;; [unrolled: 1-line block ×13, first 2 shown]
	s_add_i32 s26, s28, 64
	v_mov_b32_e32 v33, v36
	s_lshl_b64 s[10:11], s[24:25], 9
	v_lshl_add_u64 v[68:69], v[16:17], 0, v[0:1]
	v_add_u32_e32 v148, v129, v7
	s_branch .LBB182_97
.LBB182_96:                             ;   in Loop: Header=BB182_97 Depth=1
	s_or_b64 exec, exec, s[0:1]
	v_mul_f32_e32 v0, v79, v73
	v_fma_f32 v0, v78, v72, -v0
	v_mul_f32_e32 v2, v81, v71
	v_add_f32_e32 v0, v30, v0
	v_fma_f32 v2, v80, v70, -v2
	v_add_f32_e32 v0, v0, v2
	v_mul_f32_e32 v2, v83, v75
	v_fma_f32 v2, v82, v74, -v2
	v_mul_f32_e32 v1, v79, v72
	v_add_f32_e32 v0, v0, v2
	v_mul_f32_e32 v2, v85, v77
	v_mul_f32_e32 v3, v81, v70
	v_fma_f32 v2, v84, v76, -v2
	v_fmac_f32_e32 v1, v78, v73
	v_mul_f32_e32 v4, v83, v74
	v_add_f32_e32 v0, v0, v2
	v_add_f32_e32 v1, v31, v1
	v_fmac_f32_e32 v3, v80, v71
	v_mul_f32_e32 v2, v95, v89
	v_mul_f32_e32 v5, v85, v76
	v_add_f32_e32 v1, v1, v3
	v_fmac_f32_e32 v4, v82, v75
	v_fma_f32 v2, v94, v88, -v2
	v_add_f32_e32 v1, v1, v4
	v_fmac_f32_e32 v5, v84, v77
	v_mul_f32_e32 v6, v95, v88
	v_add_f32_e32 v0, v0, v2
	v_mul_f32_e32 v2, v97, v87
	v_add_f32_e32 v1, v1, v5
	v_fma_f32 v2, v96, v86, -v2
	v_mul_f32_e32 v7, v97, v86
	v_fmac_f32_e32 v6, v94, v89
	v_add_f32_e32 v0, v0, v2
	v_mul_f32_e32 v2, v99, v91
	v_mul_f32_e32 v3, v99, v90
	v_add_f32_e32 v1, v1, v6
	v_fmac_f32_e32 v7, v96, v87
	v_fma_f32 v2, v98, v90, -v2
	v_add_f32_e32 v1, v1, v7
	v_fmac_f32_e32 v3, v98, v91
	v_mul_f32_e32 v4, v101, v93
	v_mul_f32_e32 v5, v101, v92
	v_pk_add_f32 v[0:1], v[0:1], v[2:3]
	v_mov_b32_e32 v2, v105
	v_fma_f32 v4, v100, v92, -v4
	v_fmac_f32_e32 v5, v100, v93
	v_pk_mul_f32 v[2:3], v[110:111], v[2:3] op_sel_hi:[1,0]
	v_pk_add_f32 v[0:1], v[0:1], v[4:5]
	v_pk_fma_f32 v[4:5], v[110:111], v[104:105], v[2:3] op_sel:[0,0,1] op_sel_hi:[1,1,0] neg_lo:[0,0,1] neg_hi:[0,0,1]
	v_pk_fma_f32 v[2:3], v[110:111], v[104:105], v[2:3] op_sel:[0,0,1] op_sel_hi:[1,0,0]
	s_add_i32 s0, s2, 1
	v_mov_b32_e32 v2, v103
	v_mov_b32_e32 v5, v3
	v_pk_mul_f32 v[2:3], v[8:9], v[2:3] op_sel_hi:[1,0]
	v_pk_add_f32 v[0:1], v[0:1], v[4:5]
	v_pk_fma_f32 v[4:5], v[8:9], v[102:103], v[2:3] op_sel:[0,0,1] op_sel_hi:[1,1,0] neg_lo:[0,0,1] neg_hi:[0,0,1]
	v_pk_fma_f32 v[2:3], v[8:9], v[102:103], v[2:3] op_sel:[0,0,1] op_sel_hi:[1,0,0]
	s_add_i32 s26, s26, 64
	v_mov_b32_e32 v2, v107
	v_mov_b32_e32 v5, v3
	v_pk_mul_f32 v[2:3], v[10:11], v[2:3] op_sel_hi:[1,0]
	v_pk_add_f32 v[0:1], v[0:1], v[4:5]
	v_pk_fma_f32 v[4:5], v[10:11], v[106:107], v[2:3] op_sel:[0,0,1] op_sel_hi:[1,1,0] neg_lo:[0,0,1] neg_hi:[0,0,1]
	v_pk_fma_f32 v[2:3], v[10:11], v[106:107], v[2:3] op_sel:[0,0,1] op_sel_hi:[1,0,0]
	s_add_i32 s1, s2, 2
	v_mov_b32_e32 v2, v109
	v_mov_b32_e32 v5, v3
	v_pk_mul_f32 v[2:3], v[114:115], v[2:3] op_sel_hi:[1,0]
	v_pk_add_f32 v[0:1], v[0:1], v[4:5]
	v_pk_fma_f32 v[4:5], v[114:115], v[108:109], v[2:3] op_sel:[0,0,1] op_sel_hi:[1,1,0] neg_lo:[0,0,1] neg_hi:[0,0,1]
	v_pk_fma_f32 v[2:3], v[114:115], v[108:109], v[2:3] op_sel:[0,0,1] op_sel_hi:[1,0,0]
	v_lshl_add_u64 v[38:39], v[38:39], 0, s[10:11]
	v_mov_b32_e32 v2, v117
	v_mov_b32_e32 v5, v3
	v_pk_mul_f32 v[2:3], v[16:17], v[2:3] op_sel_hi:[1,0]
	v_pk_add_f32 v[0:1], v[0:1], v[4:5]
	v_pk_fma_f32 v[4:5], v[16:17], v[116:117], v[2:3] op_sel:[0,0,1] op_sel_hi:[1,1,0] neg_lo:[0,0,1] neg_hi:[0,0,1]
	v_pk_fma_f32 v[2:3], v[16:17], v[116:117], v[2:3] op_sel:[0,0,1] op_sel_hi:[1,0,0]
	v_lshl_add_u64 v[40:41], v[40:41], 0, s[10:11]
	v_mov_b32_e32 v2, v113
	v_mov_b32_e32 v5, v3
	;; [unrolled: 7-line block ×4, first 2 shown]
	v_pk_mul_f32 v[2:3], v[14:15], v[2:3] op_sel_hi:[1,0]
	v_pk_add_f32 v[0:1], v[0:1], v[8:9]
	v_pk_fma_f32 v[10:11], v[14:15], v[120:121], v[2:3] op_sel:[0,0,1] op_sel_hi:[1,1,0] neg_lo:[0,0,1] neg_hi:[0,0,1]
	v_pk_fma_f32 v[2:3], v[14:15], v[120:121], v[2:3] op_sel:[0,0,1] op_sel_hi:[1,0,0]
	v_lshl_add_u64 v[46:47], v[46:47], 0, s[10:11]
	v_mov_b32_e32 v11, v3
	v_pk_add_f32 v[30:31], v[0:1], v[10:11]
	v_lshl_add_u64 v[48:49], v[48:49], 0, s[10:11]
	v_lshl_add_u64 v[50:51], v[50:51], 0, s[10:11]
	;; [unrolled: 1-line block ×11, first 2 shown]
	s_cmp_ge_u32 s1, s3
	s_mov_b32 s2, s0
	s_barrier
	s_cbranch_scc1 .LBB182_152
.LBB182_97:                             ; =>This Inner Loop Header: Depth=1
	s_cmp_eq_u32 s21, s2
	s_cselect_b32 s28, s27, 0
	s_and_saveexec_b64 s[0:1], s[4:5]
	s_cbranch_execz .LBB182_102
; %bb.98:                               ;   in Loop: Header=BB182_97 Depth=1
	s_cmp_lg_u32 s28, 0
	s_cselect_b64 s[12:13], -1, 0
	v_cmp_le_i32_e32 vcc, s28, v122
	s_and_b64 s[12:13], s[12:13], vcc
	s_and_saveexec_b64 s[14:15], s[12:13]
	s_xor_b64 s[12:13], exec, s[14:15]
	s_cbranch_execz .LBB182_100
; %bb.99:                               ;   in Loop: Header=BB182_97 Depth=1
	v_mov_b32_e32 v37, v36
	ds_write_b64 v125, v[36:37]
.LBB182_100:                            ;   in Loop: Header=BB182_97 Depth=1
	s_andn2_saveexec_b64 s[12:13], s[12:13]
	s_cbranch_execz .LBB182_102
; %bb.101:                              ;   in Loop: Header=BB182_97 Depth=1
	s_ashr_i32 s12, s26, 31
	s_mul_i32 s13, s26, s19
	s_mul_hi_u32 s14, s26, s18
	s_add_i32 s13, s14, s13
	s_mul_i32 s12, s12, s18
	s_add_i32 s13, s13, s12
	s_mul_i32 s12, s26, s18
	v_lshl_add_u64 v[0:1], s[12:13], 3, v[34:35]
	flat_load_dwordx2 v[0:1], v[0:1]
	s_waitcnt vmcnt(0) lgkmcnt(0)
	ds_write_b64 v125, v[0:1]
.LBB182_102:                            ;   in Loop: Header=BB182_97 Depth=1
	s_or_b64 exec, exec, s[0:1]
	s_cmp_eq_u32 s28, 0
	s_cselect_b64 s[12:13], -1, 0
	s_cmp_lg_u32 s28, 0
	s_cselect_b64 s[14:15], -1, 0
	v_lshl_add_u64 v[0:1], v[42:43], 0, v[32:33]
	s_and_b64 vcc, exec, s[14:15]
	s_waitcnt lgkmcnt(0)
	s_barrier
	s_cbranch_vccz .LBB182_110
; %bb.103:                              ;   in Loop: Header=BB182_97 Depth=1
	v_mov_b64_e32 v[70:71], 0
	v_cmp_gt_i32_e32 vcc, s28, v124
	v_mov_b64_e32 v[72:73], v[70:71]
	s_and_saveexec_b64 s[0:1], vcc
	s_cbranch_execz .LBB182_105
; %bb.104:                              ;   in Loop: Header=BB182_97 Depth=1
	flat_load_dwordx2 v[72:73], v[0:1]
.LBB182_105:                            ;   in Loop: Header=BB182_97 Depth=1
	s_or_b64 exec, exec, s[0:1]
	v_cmp_gt_i32_e32 vcc, s28, v130
	s_and_saveexec_b64 s[0:1], vcc
	s_cbranch_execz .LBB182_107
; %bb.106:                              ;   in Loop: Header=BB182_97 Depth=1
	v_lshl_add_u64 v[2:3], v[40:41], 0, v[32:33]
	flat_load_dwordx2 v[70:71], v[2:3]
.LBB182_107:                            ;   in Loop: Header=BB182_97 Depth=1
	s_or_b64 exec, exec, s[0:1]
	v_cmp_gt_i32_e32 vcc, s28, v131
	v_mov_b64_e32 v[74:75], 0
	s_and_saveexec_b64 s[0:1], vcc
	s_cbranch_execz .LBB182_109
; %bb.108:                              ;   in Loop: Header=BB182_97 Depth=1
	v_lshl_add_u64 v[2:3], v[38:39], 0, v[32:33]
	flat_load_dwordx2 v[74:75], v[2:3]
.LBB182_109:                            ;   in Loop: Header=BB182_97 Depth=1
	s_or_b64 exec, exec, s[0:1]
	v_cmp_gt_i32_e64 s[0:1], s28, v132
	s_mov_b64 s[16:17], 0
	s_branch .LBB182_112
.LBB182_110:                            ;   in Loop: Header=BB182_97 Depth=1
	s_mov_b64 s[0:1], 0
                                        ; implicit-def: $sgpr16_sgpr17
                                        ; implicit-def: $vgpr74_vgpr75
                                        ; implicit-def: $vgpr70_vgpr71
                                        ; implicit-def: $vgpr72_vgpr73
	s_cbranch_execz .LBB182_112
; %bb.111:                              ;   in Loop: Header=BB182_97 Depth=1
	s_waitcnt vmcnt(0) lgkmcnt(0)
	flat_load_dwordx2 v[72:73], v[0:1]
	v_lshl_add_u64 v[0:1], v[40:41], 0, v[32:33]
	flat_load_dwordx2 v[70:71], v[0:1]
	v_lshl_add_u64 v[0:1], v[38:39], 0, v[32:33]
	flat_load_dwordx2 v[74:75], v[0:1]
	s_or_b64 s[0:1], s[0:1], exec
                                        ; implicit-def: $sgpr16_sgpr17
.LBB182_112:                            ;   in Loop: Header=BB182_97 Depth=1
	v_mov_b64_e32 v[76:77], s[16:17]
	s_and_saveexec_b64 s[16:17], s[0:1]
	s_cbranch_execz .LBB182_114
; %bb.113:                              ;   in Loop: Header=BB182_97 Depth=1
	v_lshl_add_u64 v[0:1], v[44:45], 0, v[32:33]
	flat_load_dwordx2 v[76:77], v[0:1]
.LBB182_114:                            ;   in Loop: Header=BB182_97 Depth=1
	s_or_b64 exec, exec, s[16:17]
	ds_read_b64 v[0:1], v126
	ds_read_b64 v[78:79], v133
	v_cndmask_b32_e64 v8, 0, 1, s[14:15]
	v_cmp_ne_u32_e64 s[0:1], 1, v8
	s_andn2_b64 vcc, exec, s[14:15]
	s_waitcnt vmcnt(0) lgkmcnt(0)
	v_mul_f32_e32 v2, v1, v73
	v_mul_f32_e32 v3, v1, v72
	v_fma_f32 v2, v0, v72, -v2
	v_fmac_f32_e32 v3, v0, v73
	v_mul_f32_e32 v4, v1, v71
	ds_write_b64 v134, v[2:3]
	v_mul_f32_e32 v3, v1, v70
	v_fma_f32 v2, v0, v70, -v4
	v_fmac_f32_e32 v3, v0, v71
	ds_read_b64 v[80:81], v133 offset:8
	ds_write_b64 v134, v[2:3] offset:536
	v_mul_f32_e32 v2, v1, v75
	v_mul_f32_e32 v3, v1, v74
	v_fma_f32 v2, v0, v74, -v2
	v_fmac_f32_e32 v3, v0, v75
	ds_read_b64 v[82:83], v133 offset:16
	ds_write_b64 v134, v[2:3] offset:1072
	v_mul_f32_e32 v2, v1, v77
	v_mul_f32_e32 v3, v0, v77
	v_fma_f32 v2, v0, v76, -v2
	v_fmac_f32_e32 v3, v1, v76
	ds_read_b64 v[84:85], v133 offset:24
	ds_write_b64 v134, v[2:3] offset:1608
	s_waitcnt lgkmcnt(0)
	s_barrier
	ds_read2_b64 v[4:7], v129 offset1:1
	ds_read2_b64 v[0:3], v129 offset0:2 offset1:3
	v_lshl_add_u64 v[8:9], v[50:51], 0, v[32:33]
	s_waitcnt lgkmcnt(0)
	s_barrier
	s_cbranch_vccnz .LBB182_122
; %bb.115:                              ;   in Loop: Header=BB182_97 Depth=1
	v_mov_b64_e32 v[86:87], 0
	v_cmp_gt_i32_e32 vcc, s28, v135
	v_mov_b64_e32 v[88:89], v[86:87]
	s_and_saveexec_b64 s[14:15], vcc
	s_cbranch_execz .LBB182_117
; %bb.116:                              ;   in Loop: Header=BB182_97 Depth=1
	flat_load_dwordx2 v[88:89], v[8:9]
.LBB182_117:                            ;   in Loop: Header=BB182_97 Depth=1
	s_or_b64 exec, exec, s[14:15]
	v_cmp_gt_i32_e32 vcc, s28, v136
	s_and_saveexec_b64 s[14:15], vcc
	s_cbranch_execz .LBB182_119
; %bb.118:                              ;   in Loop: Header=BB182_97 Depth=1
	v_lshl_add_u64 v[10:11], v[48:49], 0, v[32:33]
	flat_load_dwordx2 v[86:87], v[10:11]
.LBB182_119:                            ;   in Loop: Header=BB182_97 Depth=1
	s_or_b64 exec, exec, s[14:15]
	v_cmp_gt_i32_e32 vcc, s28, v137
	v_mov_b64_e32 v[90:91], 0
	s_and_saveexec_b64 s[14:15], vcc
	s_cbranch_execz .LBB182_121
; %bb.120:                              ;   in Loop: Header=BB182_97 Depth=1
	v_lshl_add_u64 v[10:11], v[46:47], 0, v[32:33]
	flat_load_dwordx2 v[90:91], v[10:11]
.LBB182_121:                            ;   in Loop: Header=BB182_97 Depth=1
	s_or_b64 exec, exec, s[14:15]
	v_cmp_gt_i32_e64 s[14:15], s28, v138
	s_mov_b64 s[16:17], 0
	s_branch .LBB182_124
.LBB182_122:                            ;   in Loop: Header=BB182_97 Depth=1
	s_mov_b64 s[14:15], 0
                                        ; implicit-def: $sgpr16_sgpr17
                                        ; implicit-def: $vgpr90_vgpr91
                                        ; implicit-def: $vgpr86_vgpr87
                                        ; implicit-def: $vgpr88_vgpr89
	s_cbranch_execz .LBB182_124
; %bb.123:                              ;   in Loop: Header=BB182_97 Depth=1
	s_waitcnt vmcnt(0) lgkmcnt(0)
	flat_load_dwordx2 v[88:89], v[8:9]
	v_lshl_add_u64 v[8:9], v[48:49], 0, v[32:33]
	flat_load_dwordx2 v[86:87], v[8:9]
	v_lshl_add_u64 v[8:9], v[46:47], 0, v[32:33]
	flat_load_dwordx2 v[90:91], v[8:9]
	s_or_b64 s[14:15], s[14:15], exec
                                        ; implicit-def: $sgpr16_sgpr17
.LBB182_124:                            ;   in Loop: Header=BB182_97 Depth=1
	v_mov_b64_e32 v[92:93], s[16:17]
	s_and_saveexec_b64 s[16:17], s[14:15]
	s_cbranch_execz .LBB182_126
; %bb.125:                              ;   in Loop: Header=BB182_97 Depth=1
	v_lshl_add_u64 v[8:9], v[52:53], 0, v[32:33]
	flat_load_dwordx2 v[92:93], v[8:9]
.LBB182_126:                            ;   in Loop: Header=BB182_97 Depth=1
	s_or_b64 exec, exec, s[16:17]
	ds_read_b64 v[8:9], v126
	ds_read_b64 v[94:95], v133 offset:128
	s_and_b64 vcc, exec, s[0:1]
	s_waitcnt vmcnt(0) lgkmcnt(0)
	v_mul_f32_e32 v10, v9, v89
	v_mul_f32_e32 v11, v9, v88
	v_fma_f32 v10, v8, v88, -v10
	v_fmac_f32_e32 v11, v8, v89
	v_mul_f32_e32 v12, v9, v87
	ds_write_b64 v134, v[10:11]
	v_mul_f32_e32 v11, v9, v86
	v_fma_f32 v10, v8, v86, -v12
	v_fmac_f32_e32 v11, v8, v87
	ds_read_b64 v[96:97], v133 offset:136
	ds_write_b64 v134, v[10:11] offset:536
	v_mul_f32_e32 v10, v9, v91
	v_mul_f32_e32 v11, v9, v90
	v_fma_f32 v10, v8, v90, -v10
	v_fmac_f32_e32 v11, v8, v91
	ds_read_b64 v[98:99], v133 offset:144
	ds_write_b64 v134, v[10:11] offset:1072
	v_mul_f32_e32 v10, v9, v93
	v_mul_f32_e32 v11, v8, v93
	v_fma_f32 v10, v8, v92, -v10
	v_fmac_f32_e32 v11, v9, v92
	ds_read_b64 v[100:101], v133 offset:152
	ds_write_b64 v134, v[10:11] offset:1608
	s_waitcnt lgkmcnt(0)
	s_barrier
	ds_read2_b64 v[16:19], v129 offset1:1
	ds_read2_b64 v[12:15], v129 offset0:2 offset1:3
	v_lshl_add_u64 v[8:9], v[58:59], 0, v[32:33]
	s_waitcnt lgkmcnt(0)
	s_barrier
	s_cbranch_vccnz .LBB182_134
; %bb.127:                              ;   in Loop: Header=BB182_97 Depth=1
	v_mov_b64_e32 v[102:103], 0
	v_cmp_gt_i32_e32 vcc, s28, v139
	v_mov_b64_e32 v[104:105], v[102:103]
	s_and_saveexec_b64 s[14:15], vcc
	s_cbranch_execz .LBB182_129
; %bb.128:                              ;   in Loop: Header=BB182_97 Depth=1
	flat_load_dwordx2 v[104:105], v[8:9]
.LBB182_129:                            ;   in Loop: Header=BB182_97 Depth=1
	s_or_b64 exec, exec, s[14:15]
	v_cmp_gt_i32_e32 vcc, s28, v140
	s_and_saveexec_b64 s[14:15], vcc
	s_cbranch_execz .LBB182_131
; %bb.130:                              ;   in Loop: Header=BB182_97 Depth=1
	v_lshl_add_u64 v[10:11], v[56:57], 0, v[32:33]
	flat_load_dwordx2 v[102:103], v[10:11]
.LBB182_131:                            ;   in Loop: Header=BB182_97 Depth=1
	s_or_b64 exec, exec, s[14:15]
	v_cmp_gt_i32_e32 vcc, s28, v141
	v_mov_b64_e32 v[106:107], 0
	s_and_saveexec_b64 s[14:15], vcc
	s_cbranch_execz .LBB182_133
; %bb.132:                              ;   in Loop: Header=BB182_97 Depth=1
	v_lshl_add_u64 v[10:11], v[54:55], 0, v[32:33]
	flat_load_dwordx2 v[106:107], v[10:11]
.LBB182_133:                            ;   in Loop: Header=BB182_97 Depth=1
	s_or_b64 exec, exec, s[14:15]
	v_cmp_gt_i32_e64 s[14:15], s28, v142
	s_mov_b64 s[16:17], 0
	s_branch .LBB182_136
.LBB182_134:                            ;   in Loop: Header=BB182_97 Depth=1
	s_mov_b64 s[14:15], 0
                                        ; implicit-def: $sgpr16_sgpr17
                                        ; implicit-def: $vgpr106_vgpr107
                                        ; implicit-def: $vgpr102_vgpr103
                                        ; implicit-def: $vgpr104_vgpr105
	s_cbranch_execz .LBB182_136
; %bb.135:                              ;   in Loop: Header=BB182_97 Depth=1
	s_waitcnt vmcnt(0) lgkmcnt(0)
	flat_load_dwordx2 v[104:105], v[8:9]
	v_lshl_add_u64 v[8:9], v[56:57], 0, v[32:33]
	flat_load_dwordx2 v[102:103], v[8:9]
	v_lshl_add_u64 v[8:9], v[54:55], 0, v[32:33]
	flat_load_dwordx2 v[106:107], v[8:9]
	s_or_b64 s[14:15], s[14:15], exec
                                        ; implicit-def: $sgpr16_sgpr17
.LBB182_136:                            ;   in Loop: Header=BB182_97 Depth=1
	v_mov_b64_e32 v[108:109], s[16:17]
	s_and_saveexec_b64 s[16:17], s[14:15]
	s_cbranch_execz .LBB182_138
; %bb.137:                              ;   in Loop: Header=BB182_97 Depth=1
	v_lshl_add_u64 v[8:9], v[60:61], 0, v[32:33]
	flat_load_dwordx2 v[108:109], v[8:9]
.LBB182_138:                            ;   in Loop: Header=BB182_97 Depth=1
	s_or_b64 exec, exec, s[16:17]
	ds_read_b64 v[8:9], v126
	ds_read_b64 v[110:111], v133 offset:256
	s_and_b64 vcc, exec, s[0:1]
	v_lshl_add_u64 v[120:121], v[66:67], 0, v[32:33]
	s_waitcnt vmcnt(0) lgkmcnt(0)
	v_mul_f32_e32 v10, v9, v105
	v_mul_f32_e32 v11, v9, v104
	v_mul_f32_e32 v20, v9, v103
	v_mul_f32_e32 v21, v9, v102
	v_fma_f32 v10, v8, v104, -v10
	v_fmac_f32_e32 v11, v8, v105
	v_fma_f32 v20, v8, v102, -v20
	v_fmac_f32_e32 v21, v8, v103
	ds_write2_b64 v134, v[10:11], v[20:21] offset1:67
	v_mul_f32_e32 v10, v9, v107
	v_mul_f32_e32 v11, v9, v106
	;; [unrolled: 1-line block ×4, first 2 shown]
	v_fma_f32 v10, v8, v106, -v10
	v_fmac_f32_e32 v11, v8, v107
	v_fma_f32 v20, v8, v108, -v20
	v_fmac_f32_e32 v21, v9, v108
	ds_write2_b64 v134, v[10:11], v[20:21] offset0:134 offset1:201
	ds_read2_b64 v[8:11], v133 offset0:33 offset1:34
	ds_read_b64 v[114:115], v133 offset:280
	s_waitcnt lgkmcnt(0)
	s_barrier
	ds_read2_b64 v[24:27], v129 offset1:1
	ds_read2_b64 v[20:23], v129 offset0:2 offset1:3
	s_waitcnt lgkmcnt(0)
	s_barrier
	s_cbranch_vccnz .LBB182_146
; %bb.139:                              ;   in Loop: Header=BB182_97 Depth=1
	v_mov_b64_e32 v[112:113], 0
	v_cmp_gt_i32_e32 vcc, s28, v143
	v_mov_b64_e32 v[116:117], v[112:113]
	s_and_saveexec_b64 s[0:1], vcc
	s_cbranch_execz .LBB182_141
; %bb.140:                              ;   in Loop: Header=BB182_97 Depth=1
	flat_load_dwordx2 v[116:117], v[120:121]
.LBB182_141:                            ;   in Loop: Header=BB182_97 Depth=1
	s_or_b64 exec, exec, s[0:1]
	v_cmp_gt_i32_e32 vcc, s28, v144
	s_and_saveexec_b64 s[0:1], vcc
	s_cbranch_execz .LBB182_143
; %bb.142:                              ;   in Loop: Header=BB182_97 Depth=1
	v_lshl_add_u64 v[112:113], v[64:65], 0, v[32:33]
	flat_load_dwordx2 v[112:113], v[112:113]
.LBB182_143:                            ;   in Loop: Header=BB182_97 Depth=1
	s_or_b64 exec, exec, s[0:1]
	v_cmp_gt_i32_e32 vcc, s28, v145
	v_mov_b64_e32 v[118:119], 0
	s_and_saveexec_b64 s[0:1], vcc
	s_cbranch_execz .LBB182_145
; %bb.144:                              ;   in Loop: Header=BB182_97 Depth=1
	v_lshl_add_u64 v[118:119], v[62:63], 0, v[32:33]
	flat_load_dwordx2 v[118:119], v[118:119]
.LBB182_145:                            ;   in Loop: Header=BB182_97 Depth=1
	s_or_b64 exec, exec, s[0:1]
	v_cmp_gt_i32_e64 s[0:1], s28, v146
	s_mov_b64 s[14:15], 0
	s_branch .LBB182_148
.LBB182_146:                            ;   in Loop: Header=BB182_97 Depth=1
	s_mov_b64 s[0:1], 0
                                        ; implicit-def: $sgpr14_sgpr15
                                        ; implicit-def: $vgpr118_vgpr119
                                        ; implicit-def: $vgpr112_vgpr113
                                        ; implicit-def: $vgpr116_vgpr117
	s_cbranch_execz .LBB182_148
; %bb.147:                              ;   in Loop: Header=BB182_97 Depth=1
	s_waitcnt vmcnt(0) lgkmcnt(0)
	v_lshl_add_u64 v[112:113], v[64:65], 0, v[32:33]
	v_lshl_add_u64 v[118:119], v[62:63], 0, v[32:33]
	flat_load_dwordx2 v[116:117], v[120:121]
	s_or_b64 s[0:1], s[0:1], exec
	flat_load_dwordx2 v[112:113], v[112:113]
                                        ; implicit-def: $sgpr14_sgpr15
	s_nop 0
	flat_load_dwordx2 v[118:119], v[118:119]
.LBB182_148:                            ;   in Loop: Header=BB182_97 Depth=1
	v_mov_b64_e32 v[120:121], s[14:15]
	s_and_saveexec_b64 s[14:15], s[0:1]
	s_cbranch_execz .LBB182_150
; %bb.149:                              ;   in Loop: Header=BB182_97 Depth=1
	v_lshl_add_u64 v[120:121], v[68:69], 0, v[32:33]
	flat_load_dwordx2 v[120:121], v[120:121]
.LBB182_150:                            ;   in Loop: Header=BB182_97 Depth=1
	s_or_b64 exec, exec, s[14:15]
	v_pk_add_f32 v[24:25], v[24:25], 0 op_sel_hi:[1,0]
	v_pk_add_f32 v[16:17], v[16:17], 0 op_sel_hi:[1,0]
	v_pk_add_f32 v[24:25], v[24:25], v[26:27]
	v_pk_add_f32 v[16:17], v[16:17], v[18:19]
	;; [unrolled: 1-line block ×5, first 2 shown]
	ds_read_b64 v[20:21], v126
	v_pk_add_f32 v[26:27], v[12:13], v[14:15]
	v_pk_add_f32 v[4:5], v[4:5], 0 op_sel_hi:[1,0]
	v_cmp_gt_i32_e32 vcc, s28, v122
	v_pk_add_f32 v[150:151], v[4:5], v[6:7]
	s_waitcnt vmcnt(0) lgkmcnt(0)
	v_mul_f32_e32 v12, v21, v117
	v_mul_f32_e32 v13, v21, v116
	;; [unrolled: 1-line block ×4, first 2 shown]
	v_fma_f32 v12, v20, v116, -v12
	v_fmac_f32_e32 v13, v20, v117
	v_fma_f32 v14, v20, v112, -v14
	v_fmac_f32_e32 v15, v20, v113
	ds_write2_b64 v134, v[12:13], v[14:15] offset1:67
	v_mul_f32_e32 v12, v21, v119
	v_mul_f32_e32 v13, v21, v118
	;; [unrolled: 1-line block ×4, first 2 shown]
	v_fma_f32 v12, v20, v118, -v12
	v_fmac_f32_e32 v13, v20, v119
	v_fma_f32 v14, v20, v120, -v14
	v_fmac_f32_e32 v15, v21, v120
	ds_write2_b64 v134, v[12:13], v[14:15] offset0:134 offset1:201
	ds_read_b128 v[16:19], v133 offset:384
	ds_read_b128 v[12:15], v133 offset:400
	s_waitcnt lgkmcnt(0)
	s_barrier
	ds_read2_b64 v[20:23], v129 offset1:1
	ds_read2_b64 v[4:7], v129 offset0:2 offset1:3
	v_pk_add_f32 v[0:1], v[150:151], v[0:1]
	s_or_b64 s[0:1], s[12:13], vcc
	v_pk_add_f32 v[0:1], v[0:1], v[2:3]
	s_waitcnt lgkmcnt(1)
	v_pk_add_f32 v[2:3], v[20:21], 0 op_sel_hi:[1,0]
	s_and_b64 s[12:13], s[6:7], s[0:1]
	v_pk_add_f32 v[2:3], v[2:3], v[22:23]
	s_waitcnt lgkmcnt(0)
	v_pk_add_f32 v[2:3], v[2:3], v[4:5]
	s_barrier
	v_pk_add_f32 v[2:3], v[2:3], v[6:7]
	ds_write2_b64 v148, v[0:1], v[26:27] offset1:16
	ds_write2_b64 v148, v[24:25], v[2:3] offset0:32 offset1:48
	s_waitcnt lgkmcnt(0)
	s_barrier
	s_and_saveexec_b64 s[0:1], s[12:13]
	s_cbranch_execz .LBB182_96
; %bb.151:                              ;   in Loop: Header=BB182_97 Depth=1
	ds_read_b64 v[20:21], v127
	ds_read2_b64 v[0:3], v127 offset0:1 offset1:2
	ds_read2_b64 v[4:7], v127 offset0:3 offset1:4
	v_add_u32_e32 v22, s26, v147
	v_ashrrev_i32_e32 v23, 31, v22
	v_lshl_add_u64 v[24:25], v[22:23], 3, s[8:9]
	s_waitcnt lgkmcnt(1)
	v_add_f32_e32 v0, v0, v20
	v_add_f32_e32 v1, v1, v21
	v_add_f32_e32 v20, v0, v2
	v_add_f32_e32 v21, v1, v3
	ds_read2_b64 v[0:3], v127 offset0:5 offset1:6
	s_waitcnt lgkmcnt(1)
	v_add_f32_e32 v4, v20, v4
	v_add_f32_e32 v5, v21, v5
	;; [unrolled: 1-line block ×4, first 2 shown]
	ds_read2_b64 v[4:7], v127 offset0:7 offset1:8
	s_waitcnt lgkmcnt(1)
	v_pk_add_f32 v[0:1], v[20:21], v[0:1]
	ds_read2_b64 v[20:23], v127 offset0:9 offset1:10
	v_pk_add_f32 v[0:1], v[0:1], v[2:3]
	s_waitcnt lgkmcnt(1)
	v_pk_add_f32 v[0:1], v[0:1], v[4:5]
	s_nop 0
	v_pk_add_f32 v[4:5], v[0:1], v[6:7]
	ds_read2_b64 v[0:3], v127 offset0:11 offset1:12
	s_waitcnt lgkmcnt(1)
	v_pk_add_f32 v[20:21], v[4:5], v[20:21]
	ds_read2_b64 v[4:7], v127 offset0:13 offset1:14
	v_pk_add_f32 v[20:21], v[20:21], v[22:23]
	ds_read_b64 v[22:23], v128
	s_waitcnt lgkmcnt(2)
	v_pk_add_f32 v[0:1], v[20:21], v[0:1]
	s_nop 0
	v_pk_add_f32 v[0:1], v[0:1], v[2:3]
	s_waitcnt lgkmcnt(1)
	v_pk_add_f32 v[0:1], v[0:1], v[4:5]
	s_nop 0
	v_pk_add_f32 v[0:1], v[0:1], v[6:7]
	s_waitcnt lgkmcnt(0)
	v_pk_add_f32 v[0:1], v[0:1], v[22:23]
	global_store_dwordx2 v[24:25], v[0:1], off
	s_branch .LBB182_96
.LBB182_152:
	s_movk_i32 s0, 0x218
	v_cmp_gt_i32_e32 vcc, s20, v122
	v_mad_u32_u24 v0, v123, s0, v32
	s_or_b64 s[0:1], s[22:23], vcc
	s_and_b64 s[0:1], s[4:5], s[0:1]
	ds_write_b64 v0, v[30:31]
	s_waitcnt lgkmcnt(0)
	s_barrier
	s_and_saveexec_b64 s[2:3], s[0:1]
	s_cbranch_execz .LBB182_154
; %bb.153:
	ds_read2_b64 v[0:3], v32 offset1:67
	ds_read2_b64 v[4:7], v32 offset0:134 offset1:201
	v_lshl_add_u64 v[8:9], v[28:29], 3, s[8:9]
	s_waitcnt lgkmcnt(1)
	v_pk_add_f32 v[0:1], v[2:3], v[0:1]
	s_waitcnt lgkmcnt(0)
	v_pk_add_f32 v[0:1], v[0:1], v[4:5]
	s_nop 0
	v_pk_add_f32 v[0:1], v[0:1], v[6:7]
	global_store_dwordx2 v[8:9], v[0:1], off
.LBB182_154:
	s_endpgm
	.section	.rodata,"a",@progbits
	.p2align	6, 0x0
	.amdhsa_kernel _ZL26rocblas_hemvn_kernel_upperILb0ELi64ELi4ELi33ELi32ELi16El19rocblas_complex_numIfEPKPKS1_PS1_EviT6_lT7_lT5_lS8_lS9_lS7_lT8_i
		.amdhsa_group_segment_fixed_size 9600
		.amdhsa_private_segment_fixed_size 0
		.amdhsa_kernarg_size 376
		.amdhsa_user_sgpr_count 2
		.amdhsa_user_sgpr_dispatch_ptr 0
		.amdhsa_user_sgpr_queue_ptr 0
		.amdhsa_user_sgpr_kernarg_segment_ptr 1
		.amdhsa_user_sgpr_dispatch_id 0
		.amdhsa_user_sgpr_kernarg_preload_length 0
		.amdhsa_user_sgpr_kernarg_preload_offset 0
		.amdhsa_user_sgpr_private_segment_size 0
		.amdhsa_uses_dynamic_stack 0
		.amdhsa_enable_private_segment 0
		.amdhsa_system_sgpr_workgroup_id_x 1
		.amdhsa_system_sgpr_workgroup_id_y 0
		.amdhsa_system_sgpr_workgroup_id_z 1
		.amdhsa_system_sgpr_workgroup_info 0
		.amdhsa_system_vgpr_workitem_id 1
		.amdhsa_next_free_vgpr 152
		.amdhsa_next_free_sgpr 39
		.amdhsa_accum_offset 152
		.amdhsa_reserve_vcc 1
		.amdhsa_float_round_mode_32 0
		.amdhsa_float_round_mode_16_64 0
		.amdhsa_float_denorm_mode_32 3
		.amdhsa_float_denorm_mode_16_64 3
		.amdhsa_dx10_clamp 1
		.amdhsa_ieee_mode 1
		.amdhsa_fp16_overflow 0
		.amdhsa_tg_split 0
		.amdhsa_exception_fp_ieee_invalid_op 0
		.amdhsa_exception_fp_denorm_src 0
		.amdhsa_exception_fp_ieee_div_zero 0
		.amdhsa_exception_fp_ieee_overflow 0
		.amdhsa_exception_fp_ieee_underflow 0
		.amdhsa_exception_fp_ieee_inexact 0
		.amdhsa_exception_int_div_zero 0
	.end_amdhsa_kernel
	.section	.text._ZL26rocblas_hemvn_kernel_upperILb0ELi64ELi4ELi33ELi32ELi16El19rocblas_complex_numIfEPKPKS1_PS1_EviT6_lT7_lT5_lS8_lS9_lS7_lT8_i,"axG",@progbits,_ZL26rocblas_hemvn_kernel_upperILb0ELi64ELi4ELi33ELi32ELi16El19rocblas_complex_numIfEPKPKS1_PS1_EviT6_lT7_lT5_lS8_lS9_lS7_lT8_i,comdat
.Lfunc_end182:
	.size	_ZL26rocblas_hemvn_kernel_upperILb0ELi64ELi4ELi33ELi32ELi16El19rocblas_complex_numIfEPKPKS1_PS1_EviT6_lT7_lT5_lS8_lS9_lS7_lT8_i, .Lfunc_end182-_ZL26rocblas_hemvn_kernel_upperILb0ELi64ELi4ELi33ELi32ELi16El19rocblas_complex_numIfEPKPKS1_PS1_EviT6_lT7_lT5_lS8_lS9_lS7_lT8_i
                                        ; -- End function
	.section	.AMDGPU.csdata,"",@progbits
; Kernel info:
; codeLenInByte = 8696
; NumSgprs: 45
; NumVgprs: 152
; NumAgprs: 0
; TotalNumVgprs: 152
; ScratchSize: 0
; MemoryBound: 1
; FloatMode: 240
; IeeeMode: 1
; LDSByteSize: 9600 bytes/workgroup (compile time only)
; SGPRBlocks: 5
; VGPRBlocks: 18
; NumSGPRsForWavesPerEU: 45
; NumVGPRsForWavesPerEU: 152
; AccumOffset: 152
; Occupancy: 3
; WaveLimiterHint : 0
; COMPUTE_PGM_RSRC2:SCRATCH_EN: 0
; COMPUTE_PGM_RSRC2:USER_SGPR: 2
; COMPUTE_PGM_RSRC2:TRAP_HANDLER: 0
; COMPUTE_PGM_RSRC2:TGID_X_EN: 1
; COMPUTE_PGM_RSRC2:TGID_Y_EN: 0
; COMPUTE_PGM_RSRC2:TGID_Z_EN: 1
; COMPUTE_PGM_RSRC2:TIDIG_COMP_CNT: 1
; COMPUTE_PGM_RSRC3_GFX90A:ACCUM_OFFSET: 37
; COMPUTE_PGM_RSRC3_GFX90A:TG_SPLIT: 0
	.section	.text._ZL26rocblas_hemvn_kernel_upperILb0ELi64ELi4ELi33ELi32ELi16Ei19rocblas_complex_numIfEPKPKS1_PS1_EviT6_lT7_lT5_lS8_lS9_lS7_lT8_i,"axG",@progbits,_ZL26rocblas_hemvn_kernel_upperILb0ELi64ELi4ELi33ELi32ELi16Ei19rocblas_complex_numIfEPKPKS1_PS1_EviT6_lT7_lT5_lS8_lS9_lS7_lT8_i,comdat
	.globl	_ZL26rocblas_hemvn_kernel_upperILb0ELi64ELi4ELi33ELi32ELi16Ei19rocblas_complex_numIfEPKPKS1_PS1_EviT6_lT7_lT5_lS8_lS9_lS7_lT8_i ; -- Begin function _ZL26rocblas_hemvn_kernel_upperILb0ELi64ELi4ELi33ELi32ELi16Ei19rocblas_complex_numIfEPKPKS1_PS1_EviT6_lT7_lT5_lS8_lS9_lS7_lT8_i
	.p2align	8
	.type	_ZL26rocblas_hemvn_kernel_upperILb0ELi64ELi4ELi33ELi32ELi16Ei19rocblas_complex_numIfEPKPKS1_PS1_EviT6_lT7_lT5_lS8_lS9_lS7_lT8_i,@function
_ZL26rocblas_hemvn_kernel_upperILb0ELi64ELi4ELi33ELi32ELi16Ei19rocblas_complex_numIfEPKPKS1_PS1_EviT6_lT7_lT5_lS8_lS9_lS7_lT8_i: ; @_ZL26rocblas_hemvn_kernel_upperILb0ELi64ELi4ELi33ELi32ELi16Ei19rocblas_complex_numIfEPKPKS1_PS1_EviT6_lT7_lT5_lS8_lS9_lS7_lT8_i
; %bb.0:
	s_load_dwordx2 s[4:5], s[0:1], 0x84
	s_add_u32 s8, s0, 0x78
	s_mov_b32 s24, s3
	s_addc_u32 s9, s1, 0
	s_waitcnt lgkmcnt(0)
	s_and_b32 s3, s5, 0xffff
	s_lshr_b32 s5, s4, 16
	s_and_b32 s4, s4, 0xffff
	s_mul_i32 s4, s5, s4
	s_mul_i32 s4, s4, s3
	s_cmpk_lg_i32 s4, 0x100
	s_cbranch_scc1 .LBB183_154
; %bb.1:
	s_load_dwordx2 s[4:5], s[0:1], 0x4
	s_waitcnt lgkmcnt(0)
	s_or_b32 s3, s4, s5
	s_bitset0_b32 s3, 31
	s_cmp_lg_u32 s3, 0
	s_cselect_b64 s[10:11], -1, 0
	s_and_b64 vcc, exec, s[10:11]
	s_cbranch_vccnz .LBB183_4
; %bb.2:
	s_load_dwordx2 s[4:5], s[0:1], 0x58
	s_mov_b64 s[12:13], 0
	s_waitcnt lgkmcnt(0)
	v_cmp_eq_f32_e64 s[6:7], s4, 1.0
	v_cmp_eq_f32_e64 s[4:5], s5, 0
	s_and_b64 s[4:5], s[6:7], s[4:5]
	s_andn2_b64 vcc, exec, s[4:5]
	s_mov_b64 s[4:5], 0
                                        ; implicit-def: $sgpr6_sgpr7
	s_cbranch_vccz .LBB183_5
; %bb.3:
	s_mov_b64 s[4:5], -1
	s_mov_b64 s[6:7], 0
	s_branch .LBB183_5
.LBB183_4:
	s_mov_b64 s[12:13], -1
	s_mov_b64 s[4:5], 0
                                        ; implicit-def: $sgpr6_sgpr7
.LBB183_5:
	s_and_b64 vcc, exec, s[12:13]
	s_cbranch_vccz .LBB183_7
; %bb.6:
	s_load_dwordx4 s[4:7], s[0:1], 0x18
	s_mov_b32 s25, 0
	s_lshl_b64 s[12:13], s[24:25], 3
	s_waitcnt lgkmcnt(0)
	s_add_u32 s4, s4, s12
	s_addc_u32 s5, s5, s13
	s_load_dwordx2 s[4:5], s[4:5], 0x0
	s_lshl_b64 s[6:7], s[6:7], 3
	s_waitcnt lgkmcnt(0)
	s_add_u32 s6, s4, s6
	s_addc_u32 s7, s5, s7
	s_mov_b64 s[4:5], -1
.LBB183_7:
	s_andn2_b64 vcc, exec, s[4:5]
	s_cbranch_vccnz .LBB183_154
; %bb.8:
	v_cndmask_b32_e64 v1, 0, 1, s[10:11]
	v_cmp_ne_u32_e64 s[4:5], 1, v1
	s_andn2_b64 vcc, exec, s[10:11]
	s_mov_b64 s[10:11], 0
	s_cbranch_vccnz .LBB183_10
; %bb.9:
	s_load_dwordx4 s[12:15], s[0:1], 0x38
	s_mov_b32 s25, 0
	s_lshl_b64 s[10:11], s[24:25], 3
	s_waitcnt lgkmcnt(0)
	s_add_u32 s10, s12, s10
	s_addc_u32 s11, s13, s11
	s_load_dwordx2 s[10:11], s[10:11], 0x0
	s_lshl_b64 s[12:13], s[14:15], 3
	s_waitcnt lgkmcnt(0)
	s_add_u32 s10, s10, s12
	s_addc_u32 s11, s11, s13
.LBB183_10:
	s_and_b64 vcc, exec, s[4:5]
	s_cbranch_vccnz .LBB183_154
; %bb.11:
	s_load_dword s3, s[8:9], 0x0
	s_load_dword s36, s[0:1], 0x0
	;; [unrolled: 1-line block ×3, first 2 shown]
	v_and_b32_e32 v30, 0x3ff, v0
	s_lshl_b32 s26, s2, 6
	v_add_u32_e32 v28, s26, v30
	s_waitcnt lgkmcnt(0)
	s_ashr_i32 s37, s36, 31
	s_lshr_b32 s5, s37, 26
	s_add_i32 s5, s36, s5
	s_andn2_b32 s5, s5, 63
	v_bfe_u32 v29, v0, 10, 10
	s_add_i32 s4, s3, -1
	s_sub_i32 s33, s36, s5
	v_mul_lo_u32 v0, v28, s25
	s_cmp_eq_u32 s2, s4
	v_ashrrev_i32_e32 v1, 31, v0
	s_cselect_b32 s18, s33, 0
	v_lshl_add_u64 v[14:15], v[0:1], 3, s[10:11]
	v_cmp_eq_u32_e64 s[14:15], 0, v29
	s_and_saveexec_b64 s[4:5], s[14:15]
	s_cbranch_execz .LBB183_16
; %bb.12:
	s_cmp_lg_u32 s18, 0
	s_cselect_b64 s[8:9], -1, 0
	v_cmp_le_i32_e32 vcc, s18, v30
	v_mov_b32_e32 v0, 0x2380
	s_and_b64 s[8:9], s[8:9], vcc
	v_lshl_add_u32 v0, v30, 3, v0
	s_and_saveexec_b64 s[10:11], s[8:9]
	s_xor_b64 s[8:9], exec, s[10:11]
	s_cbranch_execz .LBB183_14
; %bb.13:
	v_mov_b32_e32 v2, 0
	v_mov_b32_e32 v3, v2
	ds_write_b64 v0, v[2:3]
                                        ; implicit-def: $vgpr0
.LBB183_14:
	s_andn2_saveexec_b64 s[8:9], s[8:9]
	s_cbranch_execz .LBB183_16
; %bb.15:
	flat_load_dwordx2 v[2:3], v[14:15]
	s_waitcnt vmcnt(0) lgkmcnt(0)
	ds_write_b64 v0, v[2:3]
.LBB183_16:
	s_or_b64 exec, exec, s[4:5]
	s_load_dword s22, s[0:1], 0x28
	s_ashr_i32 s27, s26, 31
	v_lshl_add_u32 v22, v29, 6, v30
	s_lshl_b64 s[4:5], s[26:27], 3
	v_and_b32_e32 v0, 31, v30
	v_lshrrev_b32_e32 v1, 5, v22
	s_add_u32 s6, s6, s4
	s_addc_u32 s7, s7, s5
	s_waitcnt lgkmcnt(0)
	v_mad_u64_u32 v[12:13], s[4:5], v1, s22, v[0:1]
	s_mul_i32 s4, s26, s22
	s_ashr_i32 s5, s4, 31
	s_lshl_b64 s[4:5], s[4:5], 3
	s_add_u32 s4, s4, s6
	s_addc_u32 s5, s5, s7
	s_cmp_eq_u32 s18, 0
	s_cselect_b64 s[20:21], -1, 0
	s_cmp_lg_u32 s18, 0
	v_ashrrev_i32_e32 v13, 31, v12
	s_cselect_b64 s[30:31], -1, 0
	v_lshl_add_u64 v[4:5], v[12:13], 3, s[4:5]
	s_and_b64 vcc, exec, s[30:31]
	v_cmp_gt_i32_e64 s[4:5], s18, v0
	v_lshlrev_b32_e32 v2, 3, v0
	s_cbranch_vccz .LBB183_32
; %bb.17:
	v_sub_co_u32_e32 v6, vcc, v4, v2
	s_ashr_i32 s19, s18, 31
	s_nop 0
	v_subbrev_co_u32_e32 v7, vcc, 0, v5, vcc
	v_lshl_add_u64 v[6:7], s[18:19], 3, v[6:7]
	v_lshl_add_u64 v[6:7], v[6:7], 0, -8
	v_mov_b32_e32 v8, 0
	v_cndmask_b32_e64 v7, v7, v5, s[4:5]
	v_cndmask_b32_e64 v6, v6, v4, s[4:5]
	v_cmp_gt_i32_e32 vcc, s18, v1
	v_mov_b32_e32 v9, v8
	s_and_saveexec_b64 s[6:7], vcc
	s_cbranch_execz .LBB183_19
; %bb.18:
	flat_load_dwordx2 v[8:9], v[6:7]
.LBB183_19:
	s_or_b64 exec, exec, s[6:7]
	v_mul_u32_u24_e32 v3, 33, v1
	v_add_lshl_u32 v3, v3, v0, 3
	s_waitcnt vmcnt(0) lgkmcnt(0)
	ds_write_b64 v3, v[8:9]
	v_add_u32_e32 v8, 8, v1
	v_cmp_le_i32_e32 vcc, s18, v8
	s_and_saveexec_b64 s[6:7], vcc
	s_xor_b64 s[6:7], exec, s[6:7]
	s_cbranch_execz .LBB183_21
; %bb.20:
	v_mul_u32_u24_e32 v8, 33, v8
	v_add_lshl_u32 v10, v8, v0, 3
	v_mov_b32_e32 v8, 0
	v_mov_b32_e32 v9, v8
	ds_write_b64 v10, v[8:9]
.LBB183_21:
	s_andn2_saveexec_b64 s[6:7], s[6:7]
	s_cbranch_execz .LBB183_23
; %bb.22:
	s_lshl_b32 s8, s22, 3
	s_ashr_i32 s9, s8, 31
	v_lshl_add_u64 v[8:9], s[8:9], 3, v[6:7]
	flat_load_dwordx2 v[8:9], v[8:9]
	s_waitcnt vmcnt(0) lgkmcnt(0)
	ds_write_b64 v3, v[8:9] offset:2112
.LBB183_23:
	s_or_b64 exec, exec, s[6:7]
	v_add_u32_e32 v8, 16, v1
	v_cmp_le_i32_e32 vcc, s18, v8
	s_and_saveexec_b64 s[6:7], vcc
	s_xor_b64 s[6:7], exec, s[6:7]
	s_cbranch_execz .LBB183_25
; %bb.24:
	v_mov_b32_e32 v8, 0
	v_mov_b32_e32 v9, v8
	ds_write_b64 v3, v[8:9] offset:4224
.LBB183_25:
	s_andn2_saveexec_b64 s[6:7], s[6:7]
	s_cbranch_execz .LBB183_27
; %bb.26:
	s_lshl_b32 s8, s22, 4
	s_ashr_i32 s9, s8, 31
	v_lshl_add_u64 v[8:9], s[8:9], 3, v[6:7]
	flat_load_dwordx2 v[8:9], v[8:9]
	s_waitcnt vmcnt(0) lgkmcnt(0)
	ds_write_b64 v3, v[8:9] offset:4224
.LBB183_27:
	s_or_b64 exec, exec, s[6:7]
	v_add_u32_e32 v8, 24, v1
	v_cmp_le_i32_e32 vcc, s18, v8
	s_and_saveexec_b64 s[6:7], vcc
	s_xor_b64 s[6:7], exec, s[6:7]
	s_cbranch_execz .LBB183_29
; %bb.28:
	v_mov_b32_e32 v8, 0
	v_mov_b32_e32 v9, v8
	ds_write_b64 v3, v[8:9] offset:6336
                                        ; implicit-def: $vgpr3
.LBB183_29:
	s_andn2_saveexec_b64 s[6:7], s[6:7]
	s_cbranch_execz .LBB183_31
; %bb.30:
	s_mul_i32 s8, s22, 24
	s_ashr_i32 s9, s8, 31
	v_lshl_add_u64 v[8:9], s[8:9], 3, v[6:7]
	flat_load_dwordx2 v[8:9], v[8:9]
	s_waitcnt vmcnt(0) lgkmcnt(0)
	ds_write_b64 v3, v[8:9] offset:6336
.LBB183_31:
	s_or_b64 exec, exec, s[6:7]
	v_mov_b32_e32 v3, 0
	v_lshl_add_u64 v[6:7], v[6:7], 0, v[2:3]
	s_lshl_b64 s[6:7], s[18:19], 3
	v_mov_b32_e32 v3, s7
	v_subrev_co_u32_e32 v6, vcc, s6, v6
	s_nop 1
	v_subb_co_u32_e32 v7, vcc, v7, v3, vcc
	v_lshl_add_u64 v[6:7], v[6:7], 0, 8
	v_cndmask_b32_e64 v7, v7, v5, s[4:5]
	v_cndmask_b32_e64 v6, v6, v4, s[4:5]
	v_mul_u32_u24_e32 v19, 33, v1
	s_branch .LBB183_34
.LBB183_32:
                                        ; implicit-def: $vgpr6_vgpr7
	v_mul_u32_u24_e32 v19, 33, v1
	s_cbranch_execz .LBB183_34
; %bb.33:
	flat_load_dwordx2 v[6:7], v[4:5]
	s_lshl_b32 s4, s22, 3
	v_add_lshl_u32 v3, v19, v0, 3
	s_ashr_i32 s5, s4, 31
	v_lshl_add_u64 v[8:9], s[4:5], 3, v[4:5]
	s_ashr_i32 s23, s22, 31
	s_lshl_b64 s[4:5], s[22:23], 6
	s_waitcnt vmcnt(0) lgkmcnt(0)
	ds_write_b64 v3, v[6:7]
	flat_load_dwordx2 v[6:7], v[8:9]
	v_lshl_add_u64 v[8:9], v[8:9], 0, s[4:5]
	s_waitcnt vmcnt(0) lgkmcnt(0)
	ds_write_b64 v3, v[6:7] offset:2112
	flat_load_dwordx2 v[6:7], v[8:9]
	v_lshl_add_u64 v[8:9], v[8:9], 0, s[4:5]
	s_waitcnt vmcnt(0) lgkmcnt(0)
	ds_write_b64 v3, v[6:7] offset:4224
	flat_load_dwordx2 v[6:7], v[8:9]
	s_waitcnt vmcnt(0) lgkmcnt(0)
	ds_write_b64 v3, v[6:7] offset:6336
	v_mov_b64_e32 v[6:7], v[4:5]
.LBB183_34:
	v_lshlrev_b32_e32 v3, 2, v1
	v_mul_u32_u24_e32 v18, 33, v0
	v_cmp_gt_u32_e64 s[6:7], v3, v0
	v_add_lshl_u32 v16, v3, v18, 3
	s_waitcnt lgkmcnt(0)
	s_barrier
	s_and_saveexec_b64 s[4:5], s[6:7]
	s_cbranch_execz .LBB183_36
; %bb.35:
	v_mul_u32_u24_e32 v4, 0x84, v1
	v_add_lshl_u32 v4, v4, v0, 3
	ds_read_b64 v[4:5], v4
	s_waitcnt lgkmcnt(0)
	ds_write_b64 v16, v[4:5]
.LBB183_36:
	s_or_b64 exec, exec, s[4:5]
	v_cmp_ge_u32_e64 s[8:9], v3, v0
	s_and_saveexec_b64 s[4:5], s[8:9]
	s_cbranch_execz .LBB183_38
; %bb.37:
	v_or_b32_e32 v4, 1, v3
	v_mul_u32_u24_e32 v4, 33, v4
	v_add_lshl_u32 v4, v4, v0, 3
	ds_read_b64 v[4:5], v4
	s_waitcnt lgkmcnt(0)
	ds_write_b64 v16, v[4:5] offset:8
.LBB183_38:
	s_or_b64 exec, exec, s[4:5]
	v_or_b32_e32 v4, 2, v3
	v_cmp_gt_u32_e64 s[10:11], v4, v0
	s_and_saveexec_b64 s[4:5], s[10:11]
	s_cbranch_execz .LBB183_40
; %bb.39:
	v_mul_u32_u24_e32 v4, 33, v4
	v_add_lshl_u32 v4, v4, v0, 3
	ds_read_b64 v[4:5], v4
	s_waitcnt lgkmcnt(0)
	ds_write_b64 v16, v[4:5] offset:16
.LBB183_40:
	s_or_b64 exec, exec, s[4:5]
	v_or_b32_e32 v4, 3, v3
	v_cmp_gt_u32_e64 s[12:13], v4, v0
	v_mad_u32_u24 v4, v4, 33, v0
	v_lshlrev_b32_e32 v25, 3, v4
	s_and_saveexec_b64 s[4:5], s[12:13]
	s_cbranch_execz .LBB183_42
; %bb.41:
	ds_read_b64 v[4:5], v25
	s_waitcnt lgkmcnt(0)
	ds_write_b64 v16, v[4:5] offset:24
.LBB183_42:
	s_or_b64 exec, exec, s[4:5]
	v_mul_u32_u24_e32 v4, 0x84, v1
	v_add_lshl_u32 v20, v4, v0, 3
	s_waitcnt lgkmcnt(0)
	s_barrier
	v_lshlrev_b32_e32 v17, 3, v3
	v_add_u32_e32 v21, 0xfffffdf0, v25
	ds_read_b64 v[4:5], v20
	ds_read_b128 v[8:11], v17 offset:9088
	ds_read2_b64 v[32:35], v21 offset1:33
	ds_read_b64 v[26:27], v25
	ds_read_b128 v[36:39], v17 offset:9104
	s_mov_b32 s16, 0
	s_mov_b32 s17, s16
	s_waitcnt lgkmcnt(3)
	v_pk_mul_f32 v[40:41], v[8:9], v[4:5] op_sel:[0,1]
	v_add_lshl_u32 v23, v1, v18, 3
	v_pk_fma_f32 v[42:43], v[8:9], v[4:5], v[40:41] op_sel:[0,0,1] op_sel_hi:[1,1,0] neg_lo:[0,0,1] neg_hi:[0,0,1]
	v_pk_fma_f32 v[4:5], v[8:9], v[4:5], v[40:41] op_sel:[0,0,1] op_sel_hi:[1,0,0]
	s_waitcnt lgkmcnt(2)
	v_pk_mul_f32 v[8:9], v[10:11], v[32:33] op_sel:[0,1]
	v_mov_b32_e32 v43, v5
	v_pk_fma_f32 v[40:41], v[10:11], v[32:33], v[8:9] op_sel:[0,0,1] op_sel_hi:[1,1,0] neg_lo:[0,0,1] neg_hi:[0,0,1]
	v_pk_fma_f32 v[8:9], v[10:11], v[32:33], v[8:9] op_sel:[0,0,1] op_sel_hi:[1,0,0]
	v_pk_add_f32 v[4:5], v[42:43], 0 op_sel_hi:[1,0]
	v_mov_b32_e32 v41, v9
	s_waitcnt lgkmcnt(0)
	v_pk_mul_f32 v[8:9], v[36:37], v[34:35] op_sel:[0,1]
	v_pk_add_f32 v[4:5], v[4:5], v[40:41]
	v_pk_fma_f32 v[10:11], v[36:37], v[34:35], v[8:9] op_sel:[0,0,1] op_sel_hi:[1,1,0] neg_lo:[0,0,1] neg_hi:[0,0,1]
	v_pk_fma_f32 v[8:9], v[36:37], v[34:35], v[8:9] op_sel:[0,0,1] op_sel_hi:[1,0,0]
	v_cmp_gt_u32_e64 s[4:5], 32, v22
	v_mov_b32_e32 v11, v9
	v_pk_mul_f32 v[8:9], v[38:39], v[26:27] op_sel:[0,1]
	v_pk_add_f32 v[4:5], v[4:5], v[10:11]
	v_pk_fma_f32 v[10:11], v[38:39], v[26:27], v[8:9] op_sel:[0,0,1] op_sel_hi:[1,1,0] neg_lo:[0,0,1] neg_hi:[0,0,1]
	v_pk_fma_f32 v[8:9], v[38:39], v[26:27], v[8:9] op_sel:[0,0,1] op_sel_hi:[1,0,0]
	v_mov_b64_e32 v[32:33], s[16:17]
	v_mov_b32_e32 v11, v9
	v_pk_add_f32 v[4:5], v[4:5], v[10:11]
	v_lshlrev_b32_e32 v24, 3, v18
	s_barrier
	ds_write_b64 v23, v[4:5]
	s_waitcnt lgkmcnt(0)
	s_barrier
	s_and_saveexec_b64 s[16:17], s[4:5]
	s_cbranch_execz .LBB183_44
; %bb.43:
	ds_read2_b64 v[8:11], v24 offset1:7
	ds_read2_b64 v[32:35], v24 offset0:1 offset1:2
	ds_read2_b64 v[36:39], v24 offset0:3 offset1:4
	s_waitcnt lgkmcnt(1)
	v_add_f32_e32 v3, v32, v8
	v_add_f32_e32 v4, v33, v9
	;; [unrolled: 1-line block ×4, first 2 shown]
	ds_read2_b64 v[32:35], v24 offset0:5 offset1:6
	s_waitcnt lgkmcnt(1)
	v_add_f32_e32 v3, v3, v36
	v_add_f32_e32 v4, v4, v37
	;; [unrolled: 1-line block ×4, first 2 shown]
	s_waitcnt lgkmcnt(0)
	v_add_f32_e32 v3, v3, v32
	v_add_f32_e32 v5, v4, v33
	;; [unrolled: 1-line block ×4, first 2 shown]
	v_pk_add_f32 v[32:33], v[4:5], v[10:11]
.LBB183_44:
	s_or_b64 exec, exec, s[16:17]
	s_lshl_b32 s28, s22, 5
	s_ashr_i32 s29, s28, 31
	v_lshl_add_u64 v[6:7], s[28:29], 3, v[6:7]
	s_mov_b64 s[16:17], 0x100
	v_lshl_add_u64 v[4:5], v[6:7], 0, s[16:17]
	s_and_b64 vcc, exec, s[30:31]
	s_barrier
	s_cbranch_vccz .LBB183_60
; %bb.45:
	v_or_b32_e32 v3, 32, v0
	v_lshlrev_b32_e32 v8, 3, v3
	v_sub_co_u32_e32 v8, vcc, v4, v8
	s_ashr_i32 s19, s18, 31
	s_nop 0
	v_subbrev_co_u32_e32 v9, vcc, 0, v5, vcc
	v_lshl_add_u64 v[8:9], s[18:19], 3, v[8:9]
	v_lshl_add_u64 v[8:9], v[8:9], 0, -8
	v_cmp_gt_i32_e32 vcc, s18, v3
	s_sub_i32 s23, s18, 32
	v_mov_b32_e32 v10, 0
	v_cndmask_b32_e32 v9, v9, v5, vcc
	v_cndmask_b32_e32 v8, v8, v4, vcc
	v_cmp_gt_i32_e64 s[16:17], s23, v1
	v_mov_b32_e32 v11, v10
	s_and_saveexec_b64 s[34:35], s[16:17]
	s_cbranch_execz .LBB183_47
; %bb.46:
	flat_load_dwordx2 v[10:11], v[8:9]
.LBB183_47:
	s_or_b64 exec, exec, s[34:35]
	v_add_lshl_u32 v3, v19, v0, 3
	s_waitcnt vmcnt(0) lgkmcnt(0)
	ds_write_b64 v3, v[10:11]
	v_add_u32_e32 v10, 8, v1
	v_cmp_le_i32_e64 s[16:17], s23, v10
	s_and_saveexec_b64 s[34:35], s[16:17]
	s_xor_b64 s[16:17], exec, s[34:35]
	s_cbranch_execz .LBB183_49
; %bb.48:
	v_mul_u32_u24_e32 v10, 33, v10
	v_add_lshl_u32 v26, v10, v0, 3
	v_mov_b32_e32 v10, 0
	v_mov_b32_e32 v11, v10
	ds_write_b64 v26, v[10:11]
.LBB183_49:
	s_andn2_saveexec_b64 s[16:17], s[16:17]
	s_cbranch_execz .LBB183_51
; %bb.50:
	s_lshl_b32 s34, s22, 3
	s_ashr_i32 s35, s34, 31
	v_lshl_add_u64 v[10:11], s[34:35], 3, v[8:9]
	flat_load_dwordx2 v[10:11], v[10:11]
	s_waitcnt vmcnt(0) lgkmcnt(0)
	ds_write_b64 v3, v[10:11] offset:2112
.LBB183_51:
	s_or_b64 exec, exec, s[16:17]
	v_add_u32_e32 v10, 16, v1
	v_cmp_le_i32_e64 s[16:17], s23, v10
	s_and_saveexec_b64 s[34:35], s[16:17]
	s_xor_b64 s[16:17], exec, s[34:35]
	s_cbranch_execz .LBB183_53
; %bb.52:
	v_mul_u32_u24_e32 v10, 33, v10
	v_add_lshl_u32 v26, v10, v0, 3
	v_mov_b32_e32 v10, 0
	v_mov_b32_e32 v11, v10
	ds_write_b64 v26, v[10:11]
.LBB183_53:
	s_andn2_saveexec_b64 s[16:17], s[16:17]
	s_cbranch_execz .LBB183_55
; %bb.54:
	s_lshl_b32 s34, s22, 4
	s_ashr_i32 s35, s34, 31
	v_lshl_add_u64 v[10:11], s[34:35], 3, v[8:9]
	flat_load_dwordx2 v[10:11], v[10:11]
	s_waitcnt vmcnt(0) lgkmcnt(0)
	ds_write_b64 v3, v[10:11] offset:4224
.LBB183_55:
	s_or_b64 exec, exec, s[16:17]
	v_add_u32_e32 v10, 24, v1
	v_cmp_le_i32_e64 s[16:17], s23, v10
	s_and_saveexec_b64 s[34:35], s[16:17]
	s_xor_b64 s[16:17], exec, s[34:35]
	s_cbranch_execz .LBB183_57
; %bb.56:
	v_mov_b32_e32 v10, 0
	v_mov_b32_e32 v11, v10
	ds_write_b64 v3, v[10:11] offset:6336
                                        ; implicit-def: $vgpr3
.LBB183_57:
	s_andn2_saveexec_b64 s[16:17], s[16:17]
	s_cbranch_execz .LBB183_59
; %bb.58:
	s_mul_i32 s34, s22, 24
	s_ashr_i32 s35, s34, 31
	v_lshl_add_u64 v[10:11], s[34:35], 3, v[8:9]
	flat_load_dwordx2 v[10:11], v[10:11]
	s_waitcnt vmcnt(0) lgkmcnt(0)
	ds_write_b64 v3, v[10:11] offset:6336
.LBB183_59:
	s_or_b64 exec, exec, s[16:17]
	v_mov_b32_e32 v3, 0
	v_lshl_add_u64 v[8:9], v[8:9], 0, v[2:3]
	s_lshl_b64 s[16:17], s[18:19], 3
	v_mov_b32_e32 v3, s17
	v_subrev_co_u32_e64 v8, s[16:17], s16, v8
	s_nop 1
	v_subb_co_u32_e64 v9, s[16:17], v9, v3, s[16:17]
	s_mov_b64 s[16:17], 0x108
	s_nop 0
	v_lshl_add_u64 v[8:9], v[8:9], 0, s[16:17]
	v_cndmask_b32_e32 v9, v9, v5, vcc
	v_cndmask_b32_e32 v8, v8, v4, vcc
	s_branch .LBB183_62
.LBB183_60:
                                        ; implicit-def: $vgpr8_vgpr9
	s_cbranch_execz .LBB183_62
; %bb.61:
	flat_load_dwordx2 v[8:9], v[6:7] offset:256
	s_lshl_b32 s16, s22, 3
	v_add_lshl_u32 v3, v19, v0, 3
	s_ashr_i32 s17, s16, 31
	v_lshl_add_u64 v[6:7], s[16:17], 3, v[6:7]
	s_ashr_i32 s23, s22, 31
	s_lshl_b64 s[16:17], s[22:23], 6
	s_waitcnt vmcnt(0) lgkmcnt(0)
	ds_write_b64 v3, v[8:9]
	flat_load_dwordx2 v[8:9], v[6:7] offset:256
	v_lshl_add_u64 v[6:7], v[6:7], 0, s[16:17]
	s_waitcnt vmcnt(0) lgkmcnt(0)
	ds_write_b64 v3, v[8:9] offset:2112
	flat_load_dwordx2 v[8:9], v[6:7] offset:256
	v_lshl_add_u64 v[6:7], v[6:7], 0, s[16:17]
	s_waitcnt vmcnt(0) lgkmcnt(0)
	ds_write_b64 v3, v[8:9] offset:4224
	flat_load_dwordx2 v[6:7], v[6:7] offset:256
	v_mov_b64_e32 v[8:9], v[4:5]
	s_waitcnt vmcnt(0) lgkmcnt(0)
	ds_write_b64 v3, v[6:7] offset:6336
.LBB183_62:
	s_waitcnt lgkmcnt(0)
	s_barrier
	s_and_saveexec_b64 s[16:17], s[6:7]
	s_cbranch_execnz .LBB183_85
; %bb.63:
	s_or_b64 exec, exec, s[16:17]
	s_and_saveexec_b64 s[6:7], s[8:9]
	s_cbranch_execnz .LBB183_86
.LBB183_64:
	s_or_b64 exec, exec, s[6:7]
	s_and_saveexec_b64 s[6:7], s[10:11]
	s_cbranch_execnz .LBB183_87
.LBB183_65:
	s_or_b64 exec, exec, s[6:7]
	v_add_u32_e32 v26, 0x2380, v17
	s_and_saveexec_b64 s[6:7], s[12:13]
	s_cbranch_execz .LBB183_67
.LBB183_66:
	ds_read_b64 v[4:5], v25
	s_waitcnt lgkmcnt(0)
	ds_write_b64 v16, v[4:5] offset:24
.LBB183_67:
	s_or_b64 exec, exec, s[6:7]
	s_waitcnt lgkmcnt(0)
	s_barrier
	ds_read_b64 v[10:11], v20
	ds_read_b128 v[4:7], v26 offset:256
	ds_read2_b64 v[34:37], v21 offset1:33
	ds_read_b64 v[16:17], v25
	ds_read_b128 v[38:41], v26 offset:272
	v_cmp_eq_u32_e64 s[6:7], 1, v1
	s_waitcnt lgkmcnt(3)
	v_pk_mul_f32 v[42:43], v[4:5], v[10:11] op_sel:[0,1]
	s_waitcnt lgkmcnt(0)
	v_pk_fma_f32 v[44:45], v[4:5], v[10:11], v[42:43] op_sel:[0,0,1] op_sel_hi:[1,1,0] neg_lo:[0,0,1] neg_hi:[0,0,1]
	v_pk_fma_f32 v[4:5], v[4:5], v[10:11], v[42:43] op_sel:[0,0,1] op_sel_hi:[1,0,0]
	v_pk_mul_f32 v[10:11], v[6:7], v[34:35] op_sel:[0,1]
	v_mov_b32_e32 v45, v5
	v_pk_fma_f32 v[42:43], v[6:7], v[34:35], v[10:11] op_sel:[0,0,1] op_sel_hi:[1,1,0] neg_lo:[0,0,1] neg_hi:[0,0,1]
	v_pk_fma_f32 v[6:7], v[6:7], v[34:35], v[10:11] op_sel:[0,0,1] op_sel_hi:[1,0,0]
	v_pk_add_f32 v[4:5], v[44:45], 0 op_sel_hi:[1,0]
	v_mov_b32_e32 v43, v7
	v_pk_mul_f32 v[6:7], v[38:39], v[36:37] op_sel:[0,1]
	v_pk_add_f32 v[4:5], v[4:5], v[42:43]
	v_pk_fma_f32 v[10:11], v[38:39], v[36:37], v[6:7] op_sel:[0,0,1] op_sel_hi:[1,1,0] neg_lo:[0,0,1] neg_hi:[0,0,1]
	v_pk_fma_f32 v[6:7], v[38:39], v[36:37], v[6:7] op_sel:[0,0,1] op_sel_hi:[1,0,0]
	s_barrier
	v_mov_b32_e32 v11, v7
	v_pk_mul_f32 v[6:7], v[40:41], v[16:17] op_sel:[0,1]
	v_pk_add_f32 v[4:5], v[4:5], v[10:11]
	v_pk_fma_f32 v[10:11], v[40:41], v[16:17], v[6:7] op_sel:[0,0,1] op_sel_hi:[1,1,0] neg_lo:[0,0,1] neg_hi:[0,0,1]
	v_pk_fma_f32 v[6:7], v[40:41], v[16:17], v[6:7] op_sel:[0,0,1] op_sel_hi:[1,0,0]
	s_nop 0
	v_mov_b32_e32 v11, v7
	v_pk_add_f32 v[4:5], v[4:5], v[10:11]
	ds_write_b64 v23, v[4:5]
	s_waitcnt lgkmcnt(0)
	s_barrier
	s_and_saveexec_b64 s[8:9], s[6:7]
	s_cbranch_execz .LBB183_69
; %bb.68:
	ds_read2_b64 v[4:7], v24 offset1:7
	ds_read2_b64 v[32:35], v24 offset0:1 offset1:2
	ds_read2_b64 v[36:39], v24 offset0:3 offset1:4
	s_waitcnt lgkmcnt(1)
	v_add_f32_e32 v3, v32, v4
	v_add_f32_e32 v4, v33, v5
	v_add_f32_e32 v3, v3, v34
	v_add_f32_e32 v4, v4, v35
	ds_read2_b64 v[32:35], v24 offset0:5 offset1:6
	s_waitcnt lgkmcnt(1)
	v_add_f32_e32 v3, v3, v36
	v_add_f32_e32 v4, v4, v37
	;; [unrolled: 1-line block ×4, first 2 shown]
	s_waitcnt lgkmcnt(0)
	v_add_f32_e32 v4, v3, v32
	v_add_f32_e32 v5, v5, v33
	v_pk_add_f32 v[4:5], v[4:5], v[34:35]
	s_nop 0
	v_pk_add_f32 v[32:33], v[4:5], v[6:7]
.LBB183_69:
	s_or_b64 exec, exec, s[8:9]
	s_movk_i32 s8, 0xff00
	s_mov_b32 s9, -1
	v_lshl_add_u64 v[4:5], v[8:9], 0, s[8:9]
	s_and_b64 vcc, exec, s[30:31]
	s_barrier
	s_cbranch_vccz .LBB183_88
; %bb.70:
	v_sub_co_u32_e32 v6, vcc, v4, v2
	s_ashr_i32 s19, s18, 31
	s_nop 0
	v_subbrev_co_u32_e32 v7, vcc, 0, v5, vcc
	v_lshl_add_u64 v[6:7], s[18:19], 3, v[6:7]
	v_lshl_add_u64 v[6:7], v[6:7], 0, -8
	v_cmp_gt_i32_e32 vcc, s18, v0
	s_sub_i32 s12, s18, 32
	v_mov_b32_e32 v8, 0
	v_cndmask_b32_e32 v7, v7, v5, vcc
	v_cndmask_b32_e32 v6, v6, v4, vcc
	v_cmp_gt_i32_e64 s[8:9], s12, v1
	v_mov_b32_e32 v9, v8
	s_and_saveexec_b64 s[10:11], s[8:9]
	s_cbranch_execz .LBB183_72
; %bb.71:
	flat_load_dwordx2 v[8:9], v[6:7]
.LBB183_72:
	s_or_b64 exec, exec, s[10:11]
	v_add_lshl_u32 v3, v19, v0, 3
	s_waitcnt vmcnt(0) lgkmcnt(0)
	ds_write_b64 v3, v[8:9]
	v_add_u32_e32 v8, 8, v1
	v_cmp_le_i32_e64 s[8:9], s12, v8
	s_and_saveexec_b64 s[10:11], s[8:9]
	s_xor_b64 s[8:9], exec, s[10:11]
	s_cbranch_execz .LBB183_74
; %bb.73:
	v_mul_u32_u24_e32 v9, 33, v8
	v_mov_b32_e32 v10, 0
	v_add_lshl_u32 v9, v9, v0, 3
	v_mov_b32_e32 v11, v10
	ds_write_b64 v9, v[10:11]
.LBB183_74:
	s_andn2_saveexec_b64 s[8:9], s[8:9]
	s_cbranch_execz .LBB183_76
; %bb.75:
	s_lshl_b32 s10, s22, 3
	s_ashr_i32 s11, s10, 31
	v_lshl_add_u64 v[10:11], s[10:11], 3, v[6:7]
	flat_load_dwordx2 v[10:11], v[10:11]
	s_waitcnt vmcnt(0) lgkmcnt(0)
	ds_write_b64 v3, v[10:11] offset:2112
.LBB183_76:
	s_or_b64 exec, exec, s[8:9]
	v_add_u32_e32 v9, 16, v1
	v_cmp_le_i32_e64 s[8:9], s12, v9
	s_and_saveexec_b64 s[10:11], s[8:9]
	s_xor_b64 s[8:9], exec, s[10:11]
	s_cbranch_execz .LBB183_78
; %bb.77:
	v_mov_b32_e32 v10, 0
	v_mov_b32_e32 v11, v10
	ds_write_b64 v3, v[10:11] offset:4224
.LBB183_78:
	s_andn2_saveexec_b64 s[8:9], s[8:9]
	s_cbranch_execz .LBB183_80
; %bb.79:
	s_lshl_b32 s10, s22, 4
	s_ashr_i32 s11, s10, 31
	v_lshl_add_u64 v[10:11], s[10:11], 3, v[6:7]
	flat_load_dwordx2 v[10:11], v[10:11]
	s_waitcnt vmcnt(0) lgkmcnt(0)
	ds_write_b64 v3, v[10:11] offset:4224
.LBB183_80:
	s_or_b64 exec, exec, s[8:9]
	v_add_u32_e32 v10, 24, v1
	v_cmp_le_i32_e64 s[8:9], s12, v10
	s_and_saveexec_b64 s[10:11], s[8:9]
	s_xor_b64 s[8:9], exec, s[10:11]
	s_cbranch_execz .LBB183_82
; %bb.81:
	v_mov_b32_e32 v16, 0
	v_mov_b32_e32 v17, v16
	ds_write_b64 v3, v[16:17] offset:6336
                                        ; implicit-def: $vgpr3
.LBB183_82:
	s_andn2_saveexec_b64 s[8:9], s[8:9]
	s_cbranch_execz .LBB183_84
; %bb.83:
	s_mul_i32 s10, s22, 24
	s_ashr_i32 s11, s10, 31
	v_lshl_add_u64 v[16:17], s[10:11], 3, v[6:7]
	flat_load_dwordx2 v[16:17], v[16:17]
	s_waitcnt vmcnt(0) lgkmcnt(0)
	ds_write_b64 v3, v[16:17] offset:6336
.LBB183_84:
	s_or_b64 exec, exec, s[8:9]
	v_mov_b32_e32 v3, 0
	v_lshl_add_u64 v[2:3], v[6:7], 0, v[2:3]
	s_lshl_b64 s[8:9], s[18:19], 3
	v_mov_b32_e32 v6, s9
	v_subrev_co_u32_e64 v2, s[8:9], s8, v2
	s_nop 1
	v_subb_co_u32_e64 v3, s[8:9], v3, v6, s[8:9]
	v_lshl_add_u64 v[2:3], v[2:3], 0, 8
	v_cndmask_b32_e32 v17, v3, v5, vcc
	v_cndmask_b32_e32 v16, v2, v4, vcc
	s_branch .LBB183_90
.LBB183_85:
	ds_read_b64 v[4:5], v20
	s_waitcnt lgkmcnt(0)
	ds_write_b64 v16, v[4:5]
	s_or_b64 exec, exec, s[16:17]
	s_and_saveexec_b64 s[6:7], s[8:9]
	s_cbranch_execz .LBB183_64
.LBB183_86:
	ds_read_b64 v[4:5], v21
	s_waitcnt lgkmcnt(0)
	ds_write_b64 v16, v[4:5] offset:8
	s_or_b64 exec, exec, s[6:7]
	s_and_saveexec_b64 s[6:7], s[10:11]
	s_cbranch_execz .LBB183_65
.LBB183_87:
	ds_read_b64 v[4:5], v21 offset:264
	s_waitcnt lgkmcnt(0)
	ds_write_b64 v16, v[4:5] offset:16
	s_or_b64 exec, exec, s[6:7]
	v_add_u32_e32 v26, 0x2380, v17
	s_and_saveexec_b64 s[6:7], s[12:13]
	s_cbranch_execnz .LBB183_66
	s_branch .LBB183_67
.LBB183_88:
                                        ; implicit-def: $vgpr16_vgpr17
                                        ; implicit-def: $vgpr8
                                        ; implicit-def: $vgpr9
                                        ; implicit-def: $vgpr10
	s_cbranch_execz .LBB183_90
; %bb.89:
	flat_load_dwordx2 v[2:3], v[4:5]
	s_lshl_b32 s8, s22, 3
	v_add_lshl_u32 v0, v19, v0, 3
	s_ashr_i32 s9, s8, 31
	v_lshl_add_u64 v[6:7], s[8:9], 3, v[4:5]
	s_ashr_i32 s23, s22, 31
	s_lshl_b64 s[8:9], s[22:23], 6
	v_add_u32_e32 v8, 8, v1
	v_add_u32_e32 v9, 16, v1
	;; [unrolled: 1-line block ×3, first 2 shown]
	v_mov_b64_e32 v[16:17], v[4:5]
	s_waitcnt vmcnt(0) lgkmcnt(0)
	ds_write_b64 v0, v[2:3]
	flat_load_dwordx2 v[2:3], v[6:7]
	v_lshl_add_u64 v[6:7], v[6:7], 0, s[8:9]
	s_waitcnt vmcnt(0) lgkmcnt(0)
	ds_write_b64 v0, v[2:3] offset:2112
	flat_load_dwordx2 v[2:3], v[6:7]
	v_lshl_add_u64 v[6:7], v[6:7], 0, s[8:9]
	s_waitcnt vmcnt(0) lgkmcnt(0)
	ds_write_b64 v0, v[2:3] offset:4224
	flat_load_dwordx2 v[2:3], v[6:7]
	s_waitcnt vmcnt(0) lgkmcnt(0)
	ds_write_b64 v0, v[2:3] offset:6336
.LBB183_90:
	v_lshlrev_b32_e32 v19, 3, v1
	v_lshlrev_b32_e32 v36, 3, v8
	v_add_lshl_u32 v27, v9, v18, 3
	v_lshlrev_b32_e32 v46, 3, v9
	v_add_lshl_u32 v44, v10, v18, 3
	v_lshlrev_b32_e32 v42, 3, v10
	s_waitcnt lgkmcnt(0)
	s_barrier
	v_add_lshl_u32 v31, v8, v18, 3
	ds_read2_b64 v[4:7], v21 offset1:33
	ds_read_b64 v[20:21], v20
	ds_read_b128 v[8:11], v26 offset:256
	ds_read_b64 v[34:35], v23
	ds_read_b128 v[0:3], v26 offset:272
	ds_read_b64 v[26:27], v27
	ds_read_b64 v[36:37], v36 offset:9088
	ds_read_b64 v[38:39], v31
	ds_read_b64 v[40:41], v19 offset:9088
	;; [unrolled: 2-line block ×4, first 2 shown]
	s_waitcnt lgkmcnt(4)
	v_pk_mul_f32 v[48:49], v[40:41], v[34:35] op_sel:[0,1]
	s_waitcnt lgkmcnt(0)
	v_pk_fma_f32 v[50:51], v[40:41], v[34:35], v[48:49] op_sel:[0,0,1] op_sel_hi:[1,1,0] neg_lo:[0,0,1] neg_hi:[0,0,1]
	v_pk_fma_f32 v[34:35], v[40:41], v[34:35], v[48:49] op_sel:[0,0,1] op_sel_hi:[1,0,0]
	v_pk_mul_f32 v[40:41], v[36:37], v[38:39] op_sel:[0,1]
	v_mov_b32_e32 v51, v35
	v_pk_fma_f32 v[48:49], v[36:37], v[38:39], v[40:41] op_sel:[0,0,1] op_sel_hi:[1,1,0] neg_lo:[0,0,1] neg_hi:[0,0,1]
	v_pk_fma_f32 v[36:37], v[36:37], v[38:39], v[40:41] op_sel:[0,0,1] op_sel_hi:[1,0,0]
	v_pk_add_f32 v[34:35], v[50:51], 0 op_sel_hi:[1,0]
	v_mov_b32_e32 v49, v37
	v_pk_mul_f32 v[36:37], v[46:47], v[26:27] op_sel:[0,1]
	v_pk_add_f32 v[34:35], v[34:35], v[48:49]
	v_pk_fma_f32 v[38:39], v[46:47], v[26:27], v[36:37] op_sel:[0,0,1] op_sel_hi:[1,1,0] neg_lo:[0,0,1] neg_hi:[0,0,1]
	v_pk_fma_f32 v[26:27], v[46:47], v[26:27], v[36:37] op_sel:[0,0,1] op_sel_hi:[1,0,0]
	s_barrier
	v_mov_b32_e32 v39, v27
	v_pk_add_f32 v[26:27], v[34:35], v[38:39]
	v_pk_mul_f32 v[34:35], v[42:43], v[44:45] op_sel:[0,1]
	s_nop 0
	v_pk_fma_f32 v[36:37], v[42:43], v[44:45], v[34:35] op_sel:[0,0,1] op_sel_hi:[1,1,0] neg_lo:[0,0,1] neg_hi:[0,0,1]
	v_pk_fma_f32 v[34:35], v[42:43], v[44:45], v[34:35] op_sel:[0,0,1] op_sel_hi:[1,0,0]
	s_nop 0
	v_mov_b32_e32 v37, v35
	v_pk_add_f32 v[26:27], v[26:27], v[36:37]
	ds_write_b64 v23, v[26:27]
	s_waitcnt lgkmcnt(0)
	s_barrier
	s_and_saveexec_b64 s[8:9], s[6:7]
	s_cbranch_execz .LBB183_92
; %bb.91:
	ds_read2_b64 v[34:37], v24 offset1:1
	ds_read2_b64 v[38:41], v24 offset0:2 offset1:3
	ds_read2_b64 v[42:45], v24 offset0:6 offset1:7
	s_waitcnt lgkmcnt(2)
	v_pk_add_f32 v[26:27], v[32:33], v[34:35]
	ds_read2_b64 v[32:35], v24 offset0:4 offset1:5
	v_pk_add_f32 v[26:27], v[26:27], v[36:37]
	s_waitcnt lgkmcnt(2)
	v_pk_add_f32 v[26:27], v[26:27], v[38:39]
	s_nop 0
	v_pk_add_f32 v[26:27], v[26:27], v[40:41]
	s_waitcnt lgkmcnt(0)
	v_pk_add_f32 v[26:27], v[26:27], v[32:33]
	s_nop 0
	v_pk_add_f32 v[26:27], v[26:27], v[34:35]
	s_nop 0
	v_pk_add_f32 v[26:27], v[26:27], v[42:43]
	s_nop 0
	v_pk_add_f32 v[32:33], v[26:27], v[44:45]
.LBB183_92:
	s_or_b64 exec, exec, s[8:9]
	v_pk_mul_f32 v[26:27], v[8:9], v[20:21] op_sel:[0,1]
	s_nop 0
	v_pk_fma_f32 v[34:35], v[8:9], v[20:21], v[26:27] op_sel:[0,0,1] op_sel_hi:[1,1,0] neg_lo:[0,0,1] neg_hi:[0,0,1]
	v_pk_fma_f32 v[8:9], v[8:9], v[20:21], v[26:27] op_sel:[0,0,1] op_sel_hi:[1,0,0]
	v_pk_mul_f32 v[20:21], v[10:11], v[4:5] op_sel:[0,1]
	v_mov_b32_e32 v35, v9
	v_pk_fma_f32 v[26:27], v[10:11], v[4:5], v[20:21] op_sel:[0,0,1] op_sel_hi:[1,1,0] neg_lo:[0,0,1] neg_hi:[0,0,1]
	v_pk_fma_f32 v[4:5], v[10:11], v[4:5], v[20:21] op_sel:[0,0,1] op_sel_hi:[1,0,0]
	v_pk_add_f32 v[8:9], v[34:35], 0 op_sel_hi:[1,0]
	v_mov_b32_e32 v27, v5
	v_pk_add_f32 v[4:5], v[8:9], v[26:27]
	v_pk_mul_f32 v[8:9], v[0:1], v[6:7] op_sel:[0,1]
	s_barrier
	v_pk_fma_f32 v[10:11], v[0:1], v[6:7], v[8:9] op_sel:[0,0,1] op_sel_hi:[1,1,0] neg_lo:[0,0,1] neg_hi:[0,0,1]
	v_pk_fma_f32 v[0:1], v[0:1], v[6:7], v[8:9] op_sel:[0,0,1] op_sel_hi:[1,0,0]
	s_nop 0
	v_mov_b32_e32 v11, v1
	v_pk_add_f32 v[0:1], v[4:5], v[10:11]
	v_pk_mul_f32 v[4:5], v[2:3], v[18:19] op_sel:[0,1]
	s_nop 0
	v_pk_fma_f32 v[6:7], v[2:3], v[18:19], v[4:5] op_sel:[0,0,1] op_sel_hi:[1,1,0] neg_lo:[0,0,1] neg_hi:[0,0,1]
	v_pk_fma_f32 v[2:3], v[2:3], v[18:19], v[4:5] op_sel:[0,0,1] op_sel_hi:[1,0,0]
	s_nop 0
	v_mov_b32_e32 v7, v3
	v_pk_add_f32 v[0:1], v[0:1], v[6:7]
	ds_write_b64 v23, v[0:1]
	s_waitcnt lgkmcnt(0)
	s_barrier
	s_and_saveexec_b64 s[6:7], s[4:5]
	s_cbranch_execz .LBB183_94
; %bb.93:
	ds_read2_b64 v[0:3], v24 offset1:1
	ds_read2_b64 v[4:7], v24 offset0:2 offset1:3
	ds_read2_b64 v[8:11], v24 offset0:4 offset1:5
	s_waitcnt lgkmcnt(2)
	v_pk_add_f32 v[0:1], v[32:33], v[0:1]
	s_nop 0
	v_pk_add_f32 v[18:19], v[0:1], v[2:3]
	ds_read2_b64 v[0:3], v24 offset0:6 offset1:7
	s_waitcnt lgkmcnt(2)
	v_pk_add_f32 v[4:5], v[18:19], v[4:5]
	s_nop 0
	v_pk_add_f32 v[4:5], v[4:5], v[6:7]
	s_waitcnt lgkmcnt(1)
	v_pk_add_f32 v[4:5], v[4:5], v[8:9]
	s_nop 0
	v_pk_add_f32 v[4:5], v[4:5], v[10:11]
	;; [unrolled: 4-line block ×3, first 2 shown]
.LBB183_94:
	s_or_b64 exec, exec, s[6:7]
	s_load_dwordx2 s[0:1], s[0:1], 0x68
	s_mul_hi_u32 s4, s36, s24
	s_mul_i32 s37, s37, s24
	s_add_i32 s4, s4, s37
	s_mul_i32 s6, s36, s24
	s_mul_i32 s4, s4, s3
	s_mul_hi_u32 s5, s6, s3
	s_add_i32 s5, s5, s4
	s_mul_i32 s4, s6, s3
	s_lshl_b64 s[4:5], s[4:5], 3
	s_waitcnt lgkmcnt(0)
	s_add_u32 s4, s0, s4
	s_addc_u32 s5, s1, s5
	s_mul_hi_i32 s1, s36, s2
	s_mul_i32 s0, s36, s2
	s_lshl_b64 s[0:1], s[0:1], 3
	s_add_u32 s6, s4, s0
	s_addc_u32 s7, s5, s1
	s_add_i32 s8, s2, 1
	s_cmp_ge_u32 s8, s3
	v_lshlrev_b32_e32 v31, 3, v30
	s_barrier
	s_cbranch_scc1 .LBB183_152
; %bb.95:
	s_mul_i32 s0, s26, s25
	v_and_b32_e32 v4, 48, v30
	s_ashr_i32 s1, s0, 31
	v_and_b32_e32 v2, 15, v30
	v_lshlrev_b32_e32 v5, 3, v4
	s_movk_i32 s9, 0x218
	s_lshl_b64 s[0:1], s[0:1], 3
	v_lshrrev_b32_e32 v3, 4, v22
	s_lshl_b32 s27, s25, 6
	s_lshl_b32 s4, s22, 4
	v_mad_u32_u24 v137, v2, s9, v5
	v_or_b32_e32 v5, 0x78, v31
	s_ashr_i32 s23, s22, 31
	s_lshl_b32 s16, s22, 1
	s_mul_i32 s30, s22, 3
	s_mul_i32 s25, s25, s8
	v_lshlrev_b32_e32 v134, 2, v29
	v_mov_b32_e32 v0, s1
	v_subrev_co_u32_e32 v34, vcc, s0, v14
	s_add_i32 s19, s3, -2
	s_ashr_i32 s5, s4, 31
	v_mad_u32_u24 v138, v2, s9, v5
	v_lshlrev_b32_e32 v5, 5, v3
	s_ashr_i32 s17, s16, 31
	v_mul_i32_i24_e32 v6, 0xffffffe8, v3
	s_ashr_i32 s31, s30, 31
	s_lshl_b64 s[12:13], s[22:23], 3
	s_lshl_b32 s8, s25, 6
	v_add_u32_e32 v3, s26, v4
	s_lshl_b64 s[24:25], s[22:23], 4
	s_lshl_b64 s[34:35], s[28:29], 3
	v_subb_co_u32_e32 v35, vcc, v15, v0, vcc
	v_mad_u64_u32 v[0:1], s[0:1], v134, s22, v[30:31]
	v_mad_u32_u24 v139, v2, s9, v5
	v_add3_u32 v36, v3, v2, 64
	v_lshlrev_b64 v[2:3], 3, v[12:13]
	s_add_u32 s36, s24, s34
	v_ashrrev_i32_e32 v1, 31, v0
	v_sub_co_u32_e32 v38, vcc, 0, v2
	s_addc_u32 s37, s25, s35
	s_lshl_b64 s[10:11], s[4:5], 5
	v_mov_b32_e32 v5, 0x2180
	v_subb_co_u32_e32 v39, vcc, 0, v3, vcc
	v_lshlrev_b64 v[2:3], 3, v[0:1]
	s_add_u32 s38, s12, s34
	v_lshl_add_u32 v143, v29, 5, v5
	v_lshl_add_u64 v[4:5], s[36:37], 0, v[2:3]
	s_addc_u32 s39, s13, s35
	s_lshl_b64 s[16:17], s[16:17], 3
	v_lshl_add_u64 v[40:41], v[16:17], 0, v[4:5]
	v_lshl_add_u64 v[4:5], s[38:39], 0, v[2:3]
	s_add_u32 s40, s34, s16
	v_lshl_add_u64 v[42:43], v[16:17], 0, v[4:5]
	v_lshl_add_u64 v[4:5], s[34:35], 0, v[2:3]
	s_addc_u32 s41, s35, s17
	s_lshl_b64 s[30:31], s[30:31], 3
	v_lshl_add_u64 v[44:45], v[16:17], 0, v[4:5]
	v_lshl_add_u64 v[4:5], s[40:41], 0, v[2:3]
	s_add_u32 s40, s34, s30
	s_addc_u32 s41, s35, s31
	v_lshl_add_u64 v[46:47], v[16:17], 0, v[4:5]
	v_lshl_add_u64 v[4:5], s[40:41], 0, v[2:3]
	s_lshl_b64 s[40:41], s[4:5], 3
	s_add_u32 s42, s36, s40
	s_addc_u32 s43, s37, s41
	s_add_u32 s38, s38, s40
	v_lshl_add_u64 v[48:49], v[16:17], 0, v[4:5]
	v_lshl_add_u64 v[4:5], s[42:43], 0, v[2:3]
	s_addc_u32 s39, s39, s41
	v_lshl_add_u64 v[50:51], v[16:17], 0, v[4:5]
	v_lshl_add_u64 v[4:5], s[38:39], 0, v[2:3]
	s_add_u32 s38, s34, s40
	s_addc_u32 s39, s35, s41
	s_add_u32 s40, s38, s16
	s_addc_u32 s41, s39, s17
	v_lshl_add_u64 v[52:53], v[16:17], 0, v[4:5]
	v_lshl_add_u64 v[4:5], s[38:39], 0, v[2:3]
	s_add_u32 s38, s38, s30
	v_lshl_add_u64 v[54:55], v[16:17], 0, v[4:5]
	v_lshl_add_u64 v[4:5], s[40:41], 0, v[2:3]
	s_addc_u32 s39, s39, s31
	v_lshl_add_u64 v[56:57], v[16:17], 0, v[4:5]
	v_lshl_add_u64 v[4:5], s[38:39], 0, v[2:3]
	s_lshl_b64 s[38:39], s[4:5], 4
	s_add_u32 s36, s36, s38
	s_addc_u32 s37, s37, s39
	s_add_u32 s34, s38, s34
	s_addc_u32 s35, s39, s35
	v_lshl_add_u64 v[58:59], v[16:17], 0, v[4:5]
	v_lshl_add_u64 v[4:5], s[36:37], 0, v[2:3]
	s_add_u32 s36, s34, s12
	s_addc_u32 s37, s35, s13
	v_lshl_add_u64 v[60:61], v[16:17], 0, v[4:5]
	v_lshl_add_u64 v[4:5], s[36:37], 0, v[2:3]
	;; [unrolled: 4-line block ×3, first 2 shown]
	s_add_u32 s34, s34, s30
	s_movk_i32 s9, 0x860
	s_addc_u32 s35, s35, s31
	s_mul_i32 s5, s22, 0x180
	v_mad_u32_u24 v144, v29, s9, v31
	s_mul_hi_i32 s9, s4, 24
	s_add_u32 s22, s5, s24
	v_lshl_add_u64 v[0:1], s[28:29], 0, v[0:1]
	v_lshl_add_u64 v[64:65], v[16:17], 0, v[4:5]
	;; [unrolled: 1-line block ×4, first 2 shown]
	s_addc_u32 s23, s9, s25
	v_lshlrev_b64 v[0:1], 3, v[0:1]
	v_lshl_add_u64 v[68:69], v[16:17], 0, v[2:3]
	v_lshl_add_u64 v[2:3], s[22:23], 0, v[0:1]
	v_mad_i64_i32 v[0:1], s[4:5], s4, 24, v[0:1]
	v_lshl_add_u64 v[70:71], v[16:17], 0, v[2:3]
	v_lshl_add_u64 v[2:3], v[0:1], 0, s[12:13]
	;; [unrolled: 1-line block ×6, first 2 shown]
	v_add_u32_e32 v135, 0x2180, v31
	v_add_u32_e32 v136, 0x2380, v31
	v_cmp_gt_u32_e64 s[0:1], 64, v22
	v_or_b32_e32 v140, 1, v134
	v_or_b32_e32 v141, 2, v134
	;; [unrolled: 1-line block ×3, first 2 shown]
	v_add_u32_e32 v145, 16, v134
	v_add_u32_e32 v146, 17, v134
	;; [unrolled: 1-line block ×12, first 2 shown]
	v_lshl_add_u64 v[66:67], v[16:17], 0, v[4:5]
	v_lshl_add_u64 v[76:77], v[16:17], 0, v[2:3]
	;; [unrolled: 1-line block ×3, first 2 shown]
	v_add_u32_e32 v157, v139, v6
	v_mov_b32_e32 v80, 0
	s_branch .LBB183_97
.LBB183_96:                             ;   in Loop: Header=BB183_97 Depth=1
	s_or_b64 exec, exec, s[4:5]
	v_mul_f32_e32 v0, v91, v85
	v_fma_f32 v0, v90, v84, -v0
	v_mul_f32_e32 v2, v93, v83
	v_add_f32_e32 v0, v32, v0
	v_fma_f32 v2, v92, v82, -v2
	v_add_f32_e32 v0, v0, v2
	v_mul_f32_e32 v2, v95, v87
	v_fma_f32 v2, v94, v86, -v2
	v_mul_f32_e32 v1, v91, v84
	v_add_f32_e32 v0, v0, v2
	v_mul_f32_e32 v2, v97, v89
	v_mul_f32_e32 v3, v93, v82
	v_fma_f32 v2, v96, v88, -v2
	v_fmac_f32_e32 v1, v90, v85
	v_mul_f32_e32 v4, v95, v86
	v_add_f32_e32 v0, v0, v2
	v_add_f32_e32 v1, v33, v1
	v_fmac_f32_e32 v3, v92, v83
	v_mul_f32_e32 v2, v107, v101
	v_mul_f32_e32 v5, v97, v88
	v_add_f32_e32 v1, v1, v3
	v_fmac_f32_e32 v4, v94, v87
	v_fma_f32 v2, v106, v100, -v2
	v_add_f32_e32 v1, v1, v4
	v_fmac_f32_e32 v5, v96, v89
	v_mul_f32_e32 v6, v107, v100
	v_add_f32_e32 v0, v0, v2
	v_mul_f32_e32 v2, v109, v99
	v_add_f32_e32 v1, v1, v5
	v_fma_f32 v2, v108, v98, -v2
	v_mul_f32_e32 v7, v109, v98
	v_fmac_f32_e32 v6, v106, v101
	v_add_f32_e32 v0, v0, v2
	v_mul_f32_e32 v2, v111, v103
	v_mul_f32_e32 v3, v111, v102
	v_add_f32_e32 v1, v1, v6
	v_fmac_f32_e32 v7, v108, v99
	v_fma_f32 v2, v110, v102, -v2
	v_add_f32_e32 v1, v1, v7
	v_fmac_f32_e32 v3, v110, v103
	v_mul_f32_e32 v4, v113, v105
	v_mul_f32_e32 v5, v113, v104
	v_pk_add_f32 v[0:1], v[0:1], v[2:3]
	v_mov_b32_e32 v2, v117
	v_fma_f32 v4, v112, v104, -v4
	v_fmac_f32_e32 v5, v112, v105
	v_pk_mul_f32 v[2:3], v[122:123], v[2:3] op_sel_hi:[1,0]
	v_pk_add_f32 v[0:1], v[0:1], v[4:5]
	v_pk_fma_f32 v[4:5], v[122:123], v[116:117], v[2:3] op_sel:[0,0,1] op_sel_hi:[1,1,0] neg_lo:[0,0,1] neg_hi:[0,0,1]
	v_pk_fma_f32 v[2:3], v[122:123], v[116:117], v[2:3] op_sel:[0,0,1] op_sel_hi:[1,0,0]
	s_add_i32 s4, s2, 1
	v_mov_b32_e32 v2, v115
	v_mov_b32_e32 v5, v3
	v_pk_mul_f32 v[2:3], v[8:9], v[2:3] op_sel_hi:[1,0]
	v_pk_add_f32 v[0:1], v[0:1], v[4:5]
	v_pk_fma_f32 v[4:5], v[8:9], v[114:115], v[2:3] op_sel:[0,0,1] op_sel_hi:[1,1,0] neg_lo:[0,0,1] neg_hi:[0,0,1]
	v_pk_fma_f32 v[2:3], v[8:9], v[114:115], v[2:3] op_sel:[0,0,1] op_sel_hi:[1,0,0]
	s_add_i32 s8, s8, s27
	v_mov_b32_e32 v2, v119
	v_mov_b32_e32 v5, v3
	;; [unrolled: 7-line block ×3, first 2 shown]
	v_pk_mul_f32 v[2:3], v[126:127], v[2:3] op_sel_hi:[1,0]
	v_pk_add_f32 v[0:1], v[0:1], v[4:5]
	v_pk_fma_f32 v[4:5], v[126:127], v[120:121], v[2:3] op_sel:[0,0,1] op_sel_hi:[1,1,0] neg_lo:[0,0,1] neg_hi:[0,0,1]
	v_pk_fma_f32 v[2:3], v[126:127], v[120:121], v[2:3] op_sel:[0,0,1] op_sel_hi:[1,0,0]
	v_add_u32_e32 v36, 64, v36
	v_mov_b32_e32 v2, v129
	v_mov_b32_e32 v5, v3
	v_pk_mul_f32 v[2:3], v[16:17], v[2:3] op_sel_hi:[1,0]
	v_pk_add_f32 v[0:1], v[0:1], v[4:5]
	v_pk_fma_f32 v[4:5], v[16:17], v[128:129], v[2:3] op_sel:[0,0,1] op_sel_hi:[1,1,0] neg_lo:[0,0,1] neg_hi:[0,0,1]
	v_pk_fma_f32 v[2:3], v[16:17], v[128:129], v[2:3] op_sel:[0,0,1] op_sel_hi:[1,0,0]
	v_lshl_add_u64 v[40:41], v[40:41], 0, s[10:11]
	v_mov_b32_e32 v2, v125
	v_mov_b32_e32 v5, v3
	v_pk_mul_f32 v[2:3], v[18:19], v[2:3] op_sel_hi:[1,0]
	v_pk_add_f32 v[0:1], v[0:1], v[4:5]
	v_pk_fma_f32 v[6:7], v[18:19], v[124:125], v[2:3] op_sel:[0,0,1] op_sel_hi:[1,1,0] neg_lo:[0,0,1] neg_hi:[0,0,1]
	v_pk_fma_f32 v[2:3], v[18:19], v[124:125], v[2:3] op_sel:[0,0,1] op_sel_hi:[1,0,0]
	v_lshl_add_u64 v[42:43], v[42:43], 0, s[10:11]
	;; [unrolled: 7-line block ×4, first 2 shown]
	v_mov_b32_e32 v11, v3
	v_pk_add_f32 v[32:33], v[0:1], v[10:11]
	v_lshl_add_u64 v[48:49], v[48:49], 0, s[10:11]
	v_lshl_add_u64 v[50:51], v[50:51], 0, s[10:11]
	;; [unrolled: 1-line block ×16, first 2 shown]
	s_cmp_ge_u32 s2, s3
	s_mov_b32 s2, s4
	s_barrier
	s_cbranch_scc1 .LBB183_152
.LBB183_97:                             ; =>This Inner Loop Header: Depth=1
	s_cmp_eq_u32 s19, s2
	s_cselect_b32 s26, s33, 0
	s_and_saveexec_b64 s[4:5], s[14:15]
	s_cbranch_execz .LBB183_102
; %bb.98:                               ;   in Loop: Header=BB183_97 Depth=1
	s_cmp_lg_u32 s26, 0
	s_cselect_b64 s[12:13], -1, 0
	v_cmp_le_i32_e32 vcc, s26, v30
	s_and_b64 s[12:13], s[12:13], vcc
	s_and_saveexec_b64 s[16:17], s[12:13]
	s_xor_b64 s[12:13], exec, s[16:17]
	s_cbranch_execz .LBB183_100
; %bb.99:                               ;   in Loop: Header=BB183_97 Depth=1
	v_mov_b32_e32 v81, v80
	ds_write_b64 v135, v[80:81]
.LBB183_100:                            ;   in Loop: Header=BB183_97 Depth=1
	s_andn2_saveexec_b64 s[12:13], s[12:13]
	s_cbranch_execz .LBB183_102
; %bb.101:                              ;   in Loop: Header=BB183_97 Depth=1
	s_ashr_i32 s9, s8, 31
	v_lshl_add_u64 v[0:1], s[8:9], 3, v[34:35]
	flat_load_dwordx2 v[0:1], v[0:1]
	s_waitcnt vmcnt(0) lgkmcnt(0)
	ds_write_b64 v135, v[0:1]
.LBB183_102:                            ;   in Loop: Header=BB183_97 Depth=1
	s_or_b64 exec, exec, s[4:5]
	s_cmp_eq_u32 s26, 0
	s_cselect_b64 s[12:13], -1, 0
	s_cmp_lg_u32 s26, 0
	s_cselect_b64 s[16:17], -1, 0
	v_lshl_add_u64 v[0:1], v[44:45], 0, v[38:39]
	s_and_b64 vcc, exec, s[16:17]
	s_waitcnt lgkmcnt(0)
	s_barrier
	s_cbranch_vccz .LBB183_110
; %bb.103:                              ;   in Loop: Header=BB183_97 Depth=1
	v_mov_b64_e32 v[82:83], 0
	v_cmp_gt_i32_e32 vcc, s26, v134
	v_mov_b64_e32 v[84:85], v[82:83]
	s_and_saveexec_b64 s[4:5], vcc
	s_cbranch_execz .LBB183_105
; %bb.104:                              ;   in Loop: Header=BB183_97 Depth=1
	flat_load_dwordx2 v[84:85], v[0:1]
.LBB183_105:                            ;   in Loop: Header=BB183_97 Depth=1
	s_or_b64 exec, exec, s[4:5]
	v_cmp_gt_i32_e32 vcc, s26, v140
	s_and_saveexec_b64 s[4:5], vcc
	s_cbranch_execz .LBB183_107
; %bb.106:                              ;   in Loop: Header=BB183_97 Depth=1
	v_lshl_add_u64 v[2:3], v[42:43], 0, v[38:39]
	flat_load_dwordx2 v[82:83], v[2:3]
.LBB183_107:                            ;   in Loop: Header=BB183_97 Depth=1
	s_or_b64 exec, exec, s[4:5]
	v_cmp_gt_i32_e32 vcc, s26, v141
	v_mov_b64_e32 v[86:87], 0
	s_and_saveexec_b64 s[4:5], vcc
	s_cbranch_execz .LBB183_109
; %bb.108:                              ;   in Loop: Header=BB183_97 Depth=1
	v_lshl_add_u64 v[2:3], v[46:47], 0, v[38:39]
	flat_load_dwordx2 v[86:87], v[2:3]
.LBB183_109:                            ;   in Loop: Header=BB183_97 Depth=1
	s_or_b64 exec, exec, s[4:5]
	v_cmp_gt_i32_e64 s[4:5], s26, v142
	s_mov_b64 s[22:23], 0
	s_branch .LBB183_112
.LBB183_110:                            ;   in Loop: Header=BB183_97 Depth=1
	s_mov_b64 s[4:5], 0
                                        ; implicit-def: $sgpr22_sgpr23
                                        ; implicit-def: $vgpr86_vgpr87
                                        ; implicit-def: $vgpr82_vgpr83
                                        ; implicit-def: $vgpr84_vgpr85
	s_cbranch_execz .LBB183_112
; %bb.111:                              ;   in Loop: Header=BB183_97 Depth=1
	s_waitcnt vmcnt(0) lgkmcnt(0)
	flat_load_dwordx2 v[84:85], v[0:1]
	v_lshl_add_u64 v[0:1], v[42:43], 0, v[38:39]
	flat_load_dwordx2 v[82:83], v[0:1]
	v_lshl_add_u64 v[0:1], v[40:41], 0, v[38:39]
	flat_load_dwordx2 v[86:87], v[0:1]
	s_or_b64 s[4:5], s[4:5], exec
                                        ; implicit-def: $sgpr22_sgpr23
.LBB183_112:                            ;   in Loop: Header=BB183_97 Depth=1
	v_mov_b64_e32 v[88:89], s[22:23]
	s_and_saveexec_b64 s[22:23], s[4:5]
	s_cbranch_execz .LBB183_114
; %bb.113:                              ;   in Loop: Header=BB183_97 Depth=1
	v_lshl_add_u64 v[0:1], v[48:49], 0, v[38:39]
	flat_load_dwordx2 v[88:89], v[0:1]
.LBB183_114:                            ;   in Loop: Header=BB183_97 Depth=1
	s_or_b64 exec, exec, s[22:23]
	ds_read_b64 v[0:1], v136
	ds_read_b64 v[90:91], v143
	v_cndmask_b32_e64 v8, 0, 1, s[16:17]
	v_cmp_ne_u32_e64 s[4:5], 1, v8
	s_andn2_b64 vcc, exec, s[16:17]
	s_waitcnt vmcnt(0) lgkmcnt(0)
	v_mul_f32_e32 v2, v1, v85
	v_mul_f32_e32 v3, v1, v84
	v_fma_f32 v2, v0, v84, -v2
	v_fmac_f32_e32 v3, v0, v85
	v_mul_f32_e32 v4, v1, v83
	ds_write_b64 v144, v[2:3]
	v_mul_f32_e32 v3, v1, v82
	v_fma_f32 v2, v0, v82, -v4
	v_fmac_f32_e32 v3, v0, v83
	ds_read_b64 v[92:93], v143 offset:8
	ds_write_b64 v144, v[2:3] offset:536
	v_mul_f32_e32 v2, v1, v87
	v_mul_f32_e32 v3, v1, v86
	v_fma_f32 v2, v0, v86, -v2
	v_fmac_f32_e32 v3, v0, v87
	ds_read_b64 v[94:95], v143 offset:16
	ds_write_b64 v144, v[2:3] offset:1072
	v_mul_f32_e32 v2, v1, v89
	v_mul_f32_e32 v3, v0, v89
	v_fma_f32 v2, v0, v88, -v2
	v_fmac_f32_e32 v3, v1, v88
	ds_read_b64 v[96:97], v143 offset:24
	ds_write_b64 v144, v[2:3] offset:1608
	s_waitcnt lgkmcnt(0)
	s_barrier
	ds_read2_b64 v[4:7], v139 offset1:1
	ds_read2_b64 v[0:3], v139 offset0:2 offset1:3
	v_lshl_add_u64 v[8:9], v[54:55], 0, v[38:39]
	s_waitcnt lgkmcnt(0)
	s_barrier
	s_cbranch_vccnz .LBB183_122
; %bb.115:                              ;   in Loop: Header=BB183_97 Depth=1
	v_mov_b64_e32 v[98:99], 0
	v_cmp_gt_i32_e32 vcc, s26, v145
	v_mov_b64_e32 v[100:101], v[98:99]
	s_and_saveexec_b64 s[16:17], vcc
	s_cbranch_execz .LBB183_117
; %bb.116:                              ;   in Loop: Header=BB183_97 Depth=1
	flat_load_dwordx2 v[100:101], v[8:9]
.LBB183_117:                            ;   in Loop: Header=BB183_97 Depth=1
	s_or_b64 exec, exec, s[16:17]
	v_cmp_gt_i32_e32 vcc, s26, v146
	s_and_saveexec_b64 s[16:17], vcc
	s_cbranch_execz .LBB183_119
; %bb.118:                              ;   in Loop: Header=BB183_97 Depth=1
	v_lshl_add_u64 v[10:11], v[52:53], 0, v[38:39]
	flat_load_dwordx2 v[98:99], v[10:11]
.LBB183_119:                            ;   in Loop: Header=BB183_97 Depth=1
	s_or_b64 exec, exec, s[16:17]
	v_cmp_gt_i32_e32 vcc, s26, v147
	v_mov_b64_e32 v[102:103], 0
	s_and_saveexec_b64 s[16:17], vcc
	s_cbranch_execz .LBB183_121
; %bb.120:                              ;   in Loop: Header=BB183_97 Depth=1
	v_lshl_add_u64 v[10:11], v[56:57], 0, v[38:39]
	flat_load_dwordx2 v[102:103], v[10:11]
.LBB183_121:                            ;   in Loop: Header=BB183_97 Depth=1
	s_or_b64 exec, exec, s[16:17]
	v_cmp_gt_i32_e64 s[16:17], s26, v148
	s_mov_b64 s[22:23], 0
	s_branch .LBB183_124
.LBB183_122:                            ;   in Loop: Header=BB183_97 Depth=1
	s_mov_b64 s[16:17], 0
                                        ; implicit-def: $sgpr22_sgpr23
                                        ; implicit-def: $vgpr102_vgpr103
                                        ; implicit-def: $vgpr98_vgpr99
                                        ; implicit-def: $vgpr100_vgpr101
	s_cbranch_execz .LBB183_124
; %bb.123:                              ;   in Loop: Header=BB183_97 Depth=1
	s_waitcnt vmcnt(0) lgkmcnt(0)
	flat_load_dwordx2 v[100:101], v[8:9]
	v_lshl_add_u64 v[8:9], v[52:53], 0, v[38:39]
	flat_load_dwordx2 v[98:99], v[8:9]
	v_lshl_add_u64 v[8:9], v[50:51], 0, v[38:39]
	flat_load_dwordx2 v[102:103], v[8:9]
	s_or_b64 s[16:17], s[16:17], exec
                                        ; implicit-def: $sgpr22_sgpr23
.LBB183_124:                            ;   in Loop: Header=BB183_97 Depth=1
	v_mov_b64_e32 v[104:105], s[22:23]
	s_and_saveexec_b64 s[22:23], s[16:17]
	s_cbranch_execz .LBB183_126
; %bb.125:                              ;   in Loop: Header=BB183_97 Depth=1
	v_lshl_add_u64 v[8:9], v[58:59], 0, v[38:39]
	flat_load_dwordx2 v[104:105], v[8:9]
.LBB183_126:                            ;   in Loop: Header=BB183_97 Depth=1
	s_or_b64 exec, exec, s[22:23]
	ds_read_b64 v[8:9], v136
	ds_read_b64 v[106:107], v143 offset:128
	s_and_b64 vcc, exec, s[4:5]
	s_waitcnt vmcnt(0) lgkmcnt(0)
	v_mul_f32_e32 v10, v9, v101
	v_mul_f32_e32 v11, v9, v100
	v_fma_f32 v10, v8, v100, -v10
	v_fmac_f32_e32 v11, v8, v101
	v_mul_f32_e32 v12, v9, v99
	ds_write_b64 v144, v[10:11]
	v_mul_f32_e32 v11, v9, v98
	v_fma_f32 v10, v8, v98, -v12
	v_fmac_f32_e32 v11, v8, v99
	ds_read_b64 v[108:109], v143 offset:136
	ds_write_b64 v144, v[10:11] offset:536
	v_mul_f32_e32 v10, v9, v103
	v_mul_f32_e32 v11, v9, v102
	v_fma_f32 v10, v8, v102, -v10
	v_fmac_f32_e32 v11, v8, v103
	ds_read_b64 v[110:111], v143 offset:144
	ds_write_b64 v144, v[10:11] offset:1072
	v_mul_f32_e32 v10, v9, v105
	v_mul_f32_e32 v11, v8, v105
	v_fma_f32 v10, v8, v104, -v10
	v_fmac_f32_e32 v11, v9, v104
	ds_read_b64 v[112:113], v143 offset:152
	ds_write_b64 v144, v[10:11] offset:1608
	s_waitcnt lgkmcnt(0)
	s_barrier
	ds_read2_b64 v[16:19], v139 offset1:1
	ds_read2_b64 v[12:15], v139 offset0:2 offset1:3
	v_lshl_add_u64 v[8:9], v[64:65], 0, v[38:39]
	s_waitcnt lgkmcnt(0)
	s_barrier
	s_cbranch_vccnz .LBB183_134
; %bb.127:                              ;   in Loop: Header=BB183_97 Depth=1
	v_mov_b64_e32 v[114:115], 0
	v_cmp_gt_i32_e32 vcc, s26, v149
	v_mov_b64_e32 v[116:117], v[114:115]
	s_and_saveexec_b64 s[16:17], vcc
	s_cbranch_execz .LBB183_129
; %bb.128:                              ;   in Loop: Header=BB183_97 Depth=1
	flat_load_dwordx2 v[116:117], v[8:9]
.LBB183_129:                            ;   in Loop: Header=BB183_97 Depth=1
	s_or_b64 exec, exec, s[16:17]
	v_cmp_gt_i32_e32 vcc, s26, v150
	s_and_saveexec_b64 s[16:17], vcc
	s_cbranch_execz .LBB183_131
; %bb.130:                              ;   in Loop: Header=BB183_97 Depth=1
	v_lshl_add_u64 v[10:11], v[62:63], 0, v[38:39]
	flat_load_dwordx2 v[114:115], v[10:11]
.LBB183_131:                            ;   in Loop: Header=BB183_97 Depth=1
	s_or_b64 exec, exec, s[16:17]
	v_cmp_gt_i32_e32 vcc, s26, v151
	v_mov_b64_e32 v[118:119], 0
	s_and_saveexec_b64 s[16:17], vcc
	s_cbranch_execz .LBB183_133
; %bb.132:                              ;   in Loop: Header=BB183_97 Depth=1
	v_lshl_add_u64 v[10:11], v[66:67], 0, v[38:39]
	flat_load_dwordx2 v[118:119], v[10:11]
.LBB183_133:                            ;   in Loop: Header=BB183_97 Depth=1
	s_or_b64 exec, exec, s[16:17]
	v_cmp_gt_i32_e64 s[16:17], s26, v152
	s_mov_b64 s[22:23], 0
	s_branch .LBB183_136
.LBB183_134:                            ;   in Loop: Header=BB183_97 Depth=1
	s_mov_b64 s[16:17], 0
                                        ; implicit-def: $sgpr22_sgpr23
                                        ; implicit-def: $vgpr118_vgpr119
                                        ; implicit-def: $vgpr114_vgpr115
                                        ; implicit-def: $vgpr116_vgpr117
	s_cbranch_execz .LBB183_136
; %bb.135:                              ;   in Loop: Header=BB183_97 Depth=1
	s_waitcnt vmcnt(0) lgkmcnt(0)
	flat_load_dwordx2 v[116:117], v[8:9]
	v_lshl_add_u64 v[8:9], v[62:63], 0, v[38:39]
	flat_load_dwordx2 v[114:115], v[8:9]
	v_lshl_add_u64 v[8:9], v[60:61], 0, v[38:39]
	flat_load_dwordx2 v[118:119], v[8:9]
	s_or_b64 s[16:17], s[16:17], exec
                                        ; implicit-def: $sgpr22_sgpr23
.LBB183_136:                            ;   in Loop: Header=BB183_97 Depth=1
	v_mov_b64_e32 v[120:121], s[22:23]
	s_and_saveexec_b64 s[22:23], s[16:17]
	s_cbranch_execz .LBB183_138
; %bb.137:                              ;   in Loop: Header=BB183_97 Depth=1
	v_lshl_add_u64 v[8:9], v[68:69], 0, v[38:39]
	flat_load_dwordx2 v[120:121], v[8:9]
.LBB183_138:                            ;   in Loop: Header=BB183_97 Depth=1
	s_or_b64 exec, exec, s[22:23]
	ds_read_b64 v[8:9], v136
	ds_read_b64 v[122:123], v143 offset:256
	s_and_b64 vcc, exec, s[4:5]
	v_lshl_add_u64 v[132:133], v[74:75], 0, v[38:39]
	s_waitcnt vmcnt(0) lgkmcnt(0)
	v_mul_f32_e32 v10, v9, v117
	v_mul_f32_e32 v11, v9, v116
	;; [unrolled: 1-line block ×4, first 2 shown]
	v_fma_f32 v10, v8, v116, -v10
	v_fmac_f32_e32 v11, v8, v117
	v_fma_f32 v20, v8, v114, -v20
	v_fmac_f32_e32 v21, v8, v115
	ds_write2_b64 v144, v[10:11], v[20:21] offset1:67
	v_mul_f32_e32 v10, v9, v119
	v_mul_f32_e32 v11, v9, v118
	;; [unrolled: 1-line block ×4, first 2 shown]
	v_fma_f32 v10, v8, v118, -v10
	v_fmac_f32_e32 v11, v8, v119
	v_fma_f32 v20, v8, v120, -v20
	v_fmac_f32_e32 v21, v9, v120
	ds_write2_b64 v144, v[10:11], v[20:21] offset0:134 offset1:201
	ds_read2_b64 v[8:11], v143 offset0:33 offset1:34
	ds_read_b64 v[126:127], v143 offset:280
	s_waitcnt lgkmcnt(0)
	s_barrier
	ds_read2_b64 v[24:27], v139 offset1:1
	ds_read2_b64 v[20:23], v139 offset0:2 offset1:3
	s_waitcnt lgkmcnt(0)
	s_barrier
	s_cbranch_vccnz .LBB183_146
; %bb.139:                              ;   in Loop: Header=BB183_97 Depth=1
	v_mov_b64_e32 v[124:125], 0
	v_cmp_gt_i32_e32 vcc, s26, v153
	v_mov_b64_e32 v[128:129], v[124:125]
	s_and_saveexec_b64 s[4:5], vcc
	s_cbranch_execz .LBB183_141
; %bb.140:                              ;   in Loop: Header=BB183_97 Depth=1
	flat_load_dwordx2 v[128:129], v[132:133]
.LBB183_141:                            ;   in Loop: Header=BB183_97 Depth=1
	s_or_b64 exec, exec, s[4:5]
	v_cmp_gt_i32_e32 vcc, s26, v154
	s_and_saveexec_b64 s[4:5], vcc
	s_cbranch_execz .LBB183_143
; %bb.142:                              ;   in Loop: Header=BB183_97 Depth=1
	v_lshl_add_u64 v[124:125], v[72:73], 0, v[38:39]
	flat_load_dwordx2 v[124:125], v[124:125]
.LBB183_143:                            ;   in Loop: Header=BB183_97 Depth=1
	s_or_b64 exec, exec, s[4:5]
	v_cmp_gt_i32_e32 vcc, s26, v155
	v_mov_b64_e32 v[130:131], 0
	s_and_saveexec_b64 s[4:5], vcc
	s_cbranch_execz .LBB183_145
; %bb.144:                              ;   in Loop: Header=BB183_97 Depth=1
	v_lshl_add_u64 v[130:131], v[76:77], 0, v[38:39]
	flat_load_dwordx2 v[130:131], v[130:131]
.LBB183_145:                            ;   in Loop: Header=BB183_97 Depth=1
	s_or_b64 exec, exec, s[4:5]
	v_cmp_gt_i32_e64 s[4:5], s26, v156
	s_mov_b64 s[16:17], 0
	s_branch .LBB183_148
.LBB183_146:                            ;   in Loop: Header=BB183_97 Depth=1
	s_mov_b64 s[4:5], 0
                                        ; implicit-def: $sgpr16_sgpr17
                                        ; implicit-def: $vgpr130_vgpr131
                                        ; implicit-def: $vgpr124_vgpr125
                                        ; implicit-def: $vgpr128_vgpr129
	s_cbranch_execz .LBB183_148
; %bb.147:                              ;   in Loop: Header=BB183_97 Depth=1
	s_waitcnt vmcnt(0) lgkmcnt(0)
	v_lshl_add_u64 v[124:125], v[72:73], 0, v[38:39]
	v_lshl_add_u64 v[130:131], v[70:71], 0, v[38:39]
	flat_load_dwordx2 v[128:129], v[132:133]
	s_or_b64 s[4:5], s[4:5], exec
	flat_load_dwordx2 v[124:125], v[124:125]
                                        ; implicit-def: $sgpr16_sgpr17
	s_nop 0
	flat_load_dwordx2 v[130:131], v[130:131]
.LBB183_148:                            ;   in Loop: Header=BB183_97 Depth=1
	v_mov_b64_e32 v[132:133], s[16:17]
	s_and_saveexec_b64 s[16:17], s[4:5]
	s_cbranch_execz .LBB183_150
; %bb.149:                              ;   in Loop: Header=BB183_97 Depth=1
	v_lshl_add_u64 v[132:133], v[78:79], 0, v[38:39]
	flat_load_dwordx2 v[132:133], v[132:133]
.LBB183_150:                            ;   in Loop: Header=BB183_97 Depth=1
	s_or_b64 exec, exec, s[16:17]
	v_pk_add_f32 v[24:25], v[24:25], 0 op_sel_hi:[1,0]
	v_pk_add_f32 v[16:17], v[16:17], 0 op_sel_hi:[1,0]
	v_pk_add_f32 v[24:25], v[24:25], v[26:27]
	v_pk_add_f32 v[16:17], v[16:17], v[18:19]
	;; [unrolled: 1-line block ×5, first 2 shown]
	ds_read_b64 v[20:21], v136
	v_pk_add_f32 v[26:27], v[12:13], v[14:15]
	v_pk_add_f32 v[4:5], v[4:5], 0 op_sel_hi:[1,0]
	v_cmp_gt_i32_e32 vcc, s26, v30
	v_pk_add_f32 v[158:159], v[4:5], v[6:7]
	s_waitcnt vmcnt(0) lgkmcnt(0)
	v_mul_f32_e32 v12, v21, v129
	v_mul_f32_e32 v13, v21, v128
	v_mul_f32_e32 v14, v21, v125
	v_mul_f32_e32 v15, v21, v124
	v_fma_f32 v12, v20, v128, -v12
	v_fmac_f32_e32 v13, v20, v129
	v_fma_f32 v14, v20, v124, -v14
	v_fmac_f32_e32 v15, v20, v125
	ds_write2_b64 v144, v[12:13], v[14:15] offset1:67
	v_mul_f32_e32 v12, v21, v131
	v_mul_f32_e32 v13, v21, v130
	;; [unrolled: 1-line block ×4, first 2 shown]
	v_fma_f32 v12, v20, v130, -v12
	v_fmac_f32_e32 v13, v20, v131
	v_fma_f32 v14, v20, v132, -v14
	v_fmac_f32_e32 v15, v21, v132
	ds_write2_b64 v144, v[12:13], v[14:15] offset0:134 offset1:201
	ds_read_b128 v[16:19], v143 offset:384
	ds_read_b128 v[12:15], v143 offset:400
	s_waitcnt lgkmcnt(0)
	s_barrier
	ds_read2_b64 v[20:23], v139 offset1:1
	ds_read2_b64 v[4:7], v139 offset0:2 offset1:3
	v_pk_add_f32 v[0:1], v[158:159], v[0:1]
	s_or_b64 s[4:5], s[12:13], vcc
	v_pk_add_f32 v[0:1], v[0:1], v[2:3]
	s_waitcnt lgkmcnt(1)
	v_pk_add_f32 v[2:3], v[20:21], 0 op_sel_hi:[1,0]
	s_and_b64 s[12:13], s[0:1], s[4:5]
	v_pk_add_f32 v[2:3], v[2:3], v[22:23]
	s_waitcnt lgkmcnt(0)
	v_pk_add_f32 v[2:3], v[2:3], v[4:5]
	s_barrier
	v_pk_add_f32 v[2:3], v[2:3], v[6:7]
	ds_write2_b64 v157, v[0:1], v[26:27] offset1:16
	ds_write2_b64 v157, v[24:25], v[2:3] offset0:32 offset1:48
	s_waitcnt lgkmcnt(0)
	s_barrier
	s_and_saveexec_b64 s[4:5], s[12:13]
	s_cbranch_execz .LBB183_96
; %bb.151:                              ;   in Loop: Header=BB183_97 Depth=1
	ds_read_b64 v[20:21], v137
	ds_read2_b64 v[0:3], v137 offset0:1 offset1:2
	ds_read2_b64 v[4:7], v137 offset0:3 offset1:4
	v_ashrrev_i32_e32 v37, 31, v36
	v_lshl_add_u64 v[24:25], v[36:37], 3, s[6:7]
	s_waitcnt lgkmcnt(1)
	v_add_f32_e32 v0, v0, v20
	v_add_f32_e32 v1, v1, v21
	;; [unrolled: 1-line block ×4, first 2 shown]
	ds_read2_b64 v[0:3], v137 offset0:5 offset1:6
	s_waitcnt lgkmcnt(1)
	v_add_f32_e32 v4, v20, v4
	v_add_f32_e32 v5, v21, v5
	v_add_f32_e32 v20, v4, v6
	v_add_f32_e32 v21, v5, v7
	ds_read2_b64 v[4:7], v137 offset0:7 offset1:8
	s_waitcnt lgkmcnt(1)
	v_pk_add_f32 v[0:1], v[20:21], v[0:1]
	ds_read2_b64 v[20:23], v137 offset0:9 offset1:10
	v_pk_add_f32 v[0:1], v[0:1], v[2:3]
	s_waitcnt lgkmcnt(1)
	v_pk_add_f32 v[0:1], v[0:1], v[4:5]
	s_nop 0
	v_pk_add_f32 v[4:5], v[0:1], v[6:7]
	ds_read2_b64 v[0:3], v137 offset0:11 offset1:12
	s_waitcnt lgkmcnt(1)
	v_pk_add_f32 v[20:21], v[4:5], v[20:21]
	ds_read2_b64 v[4:7], v137 offset0:13 offset1:14
	v_pk_add_f32 v[20:21], v[20:21], v[22:23]
	ds_read_b64 v[22:23], v138
	s_waitcnt lgkmcnt(2)
	v_pk_add_f32 v[0:1], v[20:21], v[0:1]
	s_nop 0
	v_pk_add_f32 v[0:1], v[0:1], v[2:3]
	s_waitcnt lgkmcnt(1)
	v_pk_add_f32 v[0:1], v[0:1], v[4:5]
	s_nop 0
	v_pk_add_f32 v[0:1], v[0:1], v[6:7]
	s_waitcnt lgkmcnt(0)
	v_pk_add_f32 v[0:1], v[0:1], v[22:23]
	global_store_dwordx2 v[24:25], v[0:1], off
	s_branch .LBB183_96
.LBB183_152:
	s_movk_i32 s0, 0x218
	v_cmp_gt_i32_e32 vcc, s18, v30
	v_mad_u32_u24 v0, v29, s0, v31
	s_or_b64 s[0:1], s[20:21], vcc
	s_and_b64 s[0:1], s[14:15], s[0:1]
	ds_write_b64 v0, v[32:33]
	s_waitcnt lgkmcnt(0)
	s_barrier
	s_and_saveexec_b64 s[2:3], s[0:1]
	s_cbranch_execz .LBB183_154
; %bb.153:
	ds_read2_b64 v[0:3], v31 offset1:67
	ds_read2_b64 v[4:7], v31 offset0:134 offset1:201
	v_ashrrev_i32_e32 v29, 31, v28
	v_lshl_add_u64 v[8:9], v[28:29], 3, s[6:7]
	s_waitcnt lgkmcnt(1)
	v_pk_add_f32 v[0:1], v[2:3], v[0:1]
	s_waitcnt lgkmcnt(0)
	v_pk_add_f32 v[0:1], v[0:1], v[4:5]
	s_nop 0
	v_pk_add_f32 v[0:1], v[0:1], v[6:7]
	global_store_dwordx2 v[8:9], v[0:1], off
.LBB183_154:
	s_endpgm
	.section	.rodata,"a",@progbits
	.p2align	6, 0x0
	.amdhsa_kernel _ZL26rocblas_hemvn_kernel_upperILb0ELi64ELi4ELi33ELi32ELi16Ei19rocblas_complex_numIfEPKPKS1_PS1_EviT6_lT7_lT5_lS8_lS9_lS7_lT8_i
		.amdhsa_group_segment_fixed_size 9600
		.amdhsa_private_segment_fixed_size 0
		.amdhsa_kernarg_size 376
		.amdhsa_user_sgpr_count 2
		.amdhsa_user_sgpr_dispatch_ptr 0
		.amdhsa_user_sgpr_queue_ptr 0
		.amdhsa_user_sgpr_kernarg_segment_ptr 1
		.amdhsa_user_sgpr_dispatch_id 0
		.amdhsa_user_sgpr_kernarg_preload_length 0
		.amdhsa_user_sgpr_kernarg_preload_offset 0
		.amdhsa_user_sgpr_private_segment_size 0
		.amdhsa_uses_dynamic_stack 0
		.amdhsa_enable_private_segment 0
		.amdhsa_system_sgpr_workgroup_id_x 1
		.amdhsa_system_sgpr_workgroup_id_y 0
		.amdhsa_system_sgpr_workgroup_id_z 1
		.amdhsa_system_sgpr_workgroup_info 0
		.amdhsa_system_vgpr_workitem_id 1
		.amdhsa_next_free_vgpr 160
		.amdhsa_next_free_sgpr 44
		.amdhsa_accum_offset 160
		.amdhsa_reserve_vcc 1
		.amdhsa_float_round_mode_32 0
		.amdhsa_float_round_mode_16_64 0
		.amdhsa_float_denorm_mode_32 3
		.amdhsa_float_denorm_mode_16_64 3
		.amdhsa_dx10_clamp 1
		.amdhsa_ieee_mode 1
		.amdhsa_fp16_overflow 0
		.amdhsa_tg_split 0
		.amdhsa_exception_fp_ieee_invalid_op 0
		.amdhsa_exception_fp_denorm_src 0
		.amdhsa_exception_fp_ieee_div_zero 0
		.amdhsa_exception_fp_ieee_overflow 0
		.amdhsa_exception_fp_ieee_underflow 0
		.amdhsa_exception_fp_ieee_inexact 0
		.amdhsa_exception_int_div_zero 0
	.end_amdhsa_kernel
	.section	.text._ZL26rocblas_hemvn_kernel_upperILb0ELi64ELi4ELi33ELi32ELi16Ei19rocblas_complex_numIfEPKPKS1_PS1_EviT6_lT7_lT5_lS8_lS9_lS7_lT8_i,"axG",@progbits,_ZL26rocblas_hemvn_kernel_upperILb0ELi64ELi4ELi33ELi32ELi16Ei19rocblas_complex_numIfEPKPKS1_PS1_EviT6_lT7_lT5_lS8_lS9_lS7_lT8_i,comdat
.Lfunc_end183:
	.size	_ZL26rocblas_hemvn_kernel_upperILb0ELi64ELi4ELi33ELi32ELi16Ei19rocblas_complex_numIfEPKPKS1_PS1_EviT6_lT7_lT5_lS8_lS9_lS7_lT8_i, .Lfunc_end183-_ZL26rocblas_hemvn_kernel_upperILb0ELi64ELi4ELi33ELi32ELi16Ei19rocblas_complex_numIfEPKPKS1_PS1_EviT6_lT7_lT5_lS8_lS9_lS7_lT8_i
                                        ; -- End function
	.section	.AMDGPU.csdata,"",@progbits
; Kernel info:
; codeLenInByte = 8396
; NumSgprs: 50
; NumVgprs: 160
; NumAgprs: 0
; TotalNumVgprs: 160
; ScratchSize: 0
; MemoryBound: 1
; FloatMode: 240
; IeeeMode: 1
; LDSByteSize: 9600 bytes/workgroup (compile time only)
; SGPRBlocks: 6
; VGPRBlocks: 19
; NumSGPRsForWavesPerEU: 50
; NumVGPRsForWavesPerEU: 160
; AccumOffset: 160
; Occupancy: 3
; WaveLimiterHint : 1
; COMPUTE_PGM_RSRC2:SCRATCH_EN: 0
; COMPUTE_PGM_RSRC2:USER_SGPR: 2
; COMPUTE_PGM_RSRC2:TRAP_HANDLER: 0
; COMPUTE_PGM_RSRC2:TGID_X_EN: 1
; COMPUTE_PGM_RSRC2:TGID_Y_EN: 0
; COMPUTE_PGM_RSRC2:TGID_Z_EN: 1
; COMPUTE_PGM_RSRC2:TIDIG_COMP_CNT: 1
; COMPUTE_PGM_RSRC3_GFX90A:ACCUM_OFFSET: 39
; COMPUTE_PGM_RSRC3_GFX90A:TG_SPLIT: 0
	.section	.text._ZL26rocblas_hemvn_kernel_lowerILb0ELi64ELi4ELi33ELi32ELi16ElPK19rocblas_complex_numIfEPKS3_PS1_EviT6_lT7_lT5_lS8_lS9_lS7_lT8_i,"axG",@progbits,_ZL26rocblas_hemvn_kernel_lowerILb0ELi64ELi4ELi33ELi32ELi16ElPK19rocblas_complex_numIfEPKS3_PS1_EviT6_lT7_lT5_lS8_lS9_lS7_lT8_i,comdat
	.globl	_ZL26rocblas_hemvn_kernel_lowerILb0ELi64ELi4ELi33ELi32ELi16ElPK19rocblas_complex_numIfEPKS3_PS1_EviT6_lT7_lT5_lS8_lS9_lS7_lT8_i ; -- Begin function _ZL26rocblas_hemvn_kernel_lowerILb0ELi64ELi4ELi33ELi32ELi16ElPK19rocblas_complex_numIfEPKS3_PS1_EviT6_lT7_lT5_lS8_lS9_lS7_lT8_i
	.p2align	8
	.type	_ZL26rocblas_hemvn_kernel_lowerILb0ELi64ELi4ELi33ELi32ELi16ElPK19rocblas_complex_numIfEPKS3_PS1_EviT6_lT7_lT5_lS8_lS9_lS7_lT8_i,@function
_ZL26rocblas_hemvn_kernel_lowerILb0ELi64ELi4ELi33ELi32ELi16ElPK19rocblas_complex_numIfEPKS3_PS1_EviT6_lT7_lT5_lS8_lS9_lS7_lT8_i: ; @_ZL26rocblas_hemvn_kernel_lowerILb0ELi64ELi4ELi33ELi32ELi16ElPK19rocblas_complex_numIfEPKS3_PS1_EviT6_lT7_lT5_lS8_lS9_lS7_lT8_i
; %bb.0:
	s_load_dwordx2 s[4:5], s[0:1], 0x84
	s_add_u32 s12, s0, 0x78
	s_mov_b32 s26, s3
	s_addc_u32 s13, s1, 0
	s_waitcnt lgkmcnt(0)
	s_and_b32 s3, s5, 0xffff
	s_lshr_b32 s5, s4, 16
	s_and_b32 s4, s4, 0xffff
	s_mul_i32 s4, s5, s4
	s_mul_i32 s4, s4, s3
	s_cmpk_lg_i32 s4, 0x100
	s_cbranch_scc1 .LBB184_103
; %bb.1:
	s_load_dwordx8 s[4:11], s[0:1], 0x8
	s_mov_b32 s27, 0
	s_waitcnt lgkmcnt(0)
	s_mul_i32 s3, s26, s7
	s_mul_hi_u32 s7, s26, s6
	s_add_i32 s7, s7, s3
	s_mul_i32 s6, s26, s6
	s_lshl_b64 s[6:7], s[6:7], 3
	s_add_u32 s14, s4, s6
	s_addc_u32 s15, s5, s7
	s_load_dwordx2 s[16:17], s[14:15], 0x0
	s_load_dwordx2 s[28:29], s[0:1], 0x68
	;; [unrolled: 1-line block ×3, first 2 shown]
	s_load_dwordx4 s[4:7], s[0:1], 0x58
	s_waitcnt lgkmcnt(0)
	s_or_b32 s3, s16, s17
	s_bitset0_b32 s3, 31
	s_cmp_lg_u32 s3, 0
	s_cselect_b64 s[14:15], -1, 0
	s_and_b64 vcc, exec, s[14:15]
	s_cbranch_vccnz .LBB184_4
; %bb.2:
	s_mul_i32 s3, s26, s7
	s_mul_hi_u32 s7, s26, s6
	s_add_i32 s7, s7, s3
	s_mul_i32 s6, s26, s6
	s_lshl_b64 s[6:7], s[6:7], 3
	s_add_u32 s4, s4, s6
	s_addc_u32 s5, s5, s7
	s_load_dwordx2 s[4:5], s[4:5], 0x0
	s_mov_b64 s[16:17], 0
	s_waitcnt lgkmcnt(0)
	v_cmp_eq_f32_e64 s[6:7], s4, 1.0
	v_cmp_eq_f32_e64 s[4:5], s5, 0
	s_and_b64 s[4:5], s[6:7], s[4:5]
	s_andn2_b64 vcc, exec, s[4:5]
	s_mov_b64 s[4:5], 0
                                        ; implicit-def: $sgpr6_sgpr7
	s_cbranch_vccz .LBB184_5
; %bb.3:
	s_mov_b64 s[4:5], -1
	s_mov_b64 s[6:7], 0
	s_branch .LBB184_5
.LBB184_4:
	s_mov_b64 s[16:17], -1
	s_mov_b64 s[4:5], 0
                                        ; implicit-def: $sgpr6_sgpr7
.LBB184_5:
	s_and_b64 vcc, exec, s[16:17]
	s_cbranch_vccz .LBB184_7
; %bb.6:
	s_lshl_b64 s[4:5], s[26:27], 3
	s_add_u32 s4, s8, s4
	s_addc_u32 s5, s9, s5
	s_load_dwordx2 s[4:5], s[4:5], 0x0
	s_lshl_b64 s[6:7], s[10:11], 3
	s_waitcnt lgkmcnt(0)
	s_add_u32 s6, s4, s6
	s_addc_u32 s7, s5, s7
	s_mov_b64 s[4:5], -1
.LBB184_7:
	s_andn2_b64 vcc, exec, s[4:5]
	s_cbranch_vccnz .LBB184_103
; %bb.8:
	s_load_dwordx4 s[8:11], s[0:1], 0x38
	s_load_dwordx2 s[20:21], s[0:1], 0x48
	v_cndmask_b32_e64 v1, 0, 1, s[14:15]
	v_cmp_ne_u32_e64 s[4:5], 1, v1
	s_andn2_b64 vcc, exec, s[14:15]
	s_mov_b64 s[14:15], 0
	s_cbranch_vccnz .LBB184_10
; %bb.9:
	s_lshl_b64 s[14:15], s[26:27], 3
	s_waitcnt lgkmcnt(0)
	s_add_u32 s8, s8, s14
	s_addc_u32 s9, s9, s15
	s_load_dwordx2 s[8:9], s[8:9], 0x0
	s_lshl_b64 s[10:11], s[10:11], 3
	s_waitcnt lgkmcnt(0)
	s_add_u32 s14, s8, s10
	s_addc_u32 s15, s9, s11
.LBB184_10:
	s_and_b64 vcc, exec, s[4:5]
	s_cbranch_vccnz .LBB184_103
; %bb.11:
	s_load_dword s27, s[12:13], 0x0
	s_load_dword s3, s[0:1], 0x0
	v_and_b32_e32 v26, 0x3ff, v0
	s_lshl_b32 s34, s2, 6
	v_add_u32_e32 v16, s34, v26
	s_waitcnt lgkmcnt(0)
	s_add_i32 s0, s27, -1
	s_ashr_i32 s33, s3, 31
	s_lshr_b32 s1, s33, 26
	s_add_i32 s1, s3, s1
	s_andn2_b32 s1, s1, 63
	s_sub_i32 s1, s3, s1
	s_cmp_eq_u32 s2, s0
	v_ashrrev_i32_e32 v17, 31, v16
	v_bfe_u32 v76, v0, 10, 10
	s_cselect_b32 s30, s1, 0
	v_mul_lo_u32 v2, v17, s20
	v_mul_lo_u32 v3, v16, s21
	v_mad_u64_u32 v[0:1], s[0:1], v16, s20, 0
	v_add3_u32 v1, v1, v3, v2
	v_lshl_add_u64 v[20:21], v[0:1], 3, s[14:15]
	v_cmp_ne_u32_e64 s[0:1], 0, v76
	v_cmp_eq_u32_e64 s[16:17], 0, v76
	s_and_saveexec_b64 s[4:5], s[16:17]
	s_cbranch_execz .LBB184_16
; %bb.12:
	s_cmp_lg_u32 s30, 0
	s_cselect_b64 s[8:9], -1, 0
	v_cmp_le_i32_e32 vcc, s30, v26
	v_mov_b32_e32 v0, 0x2380
	s_and_b64 s[8:9], s[8:9], vcc
	v_lshl_add_u32 v0, v26, 3, v0
	s_and_saveexec_b64 s[10:11], s[8:9]
	s_xor_b64 s[8:9], exec, s[10:11]
	s_cbranch_execz .LBB184_14
; %bb.13:
	v_mov_b32_e32 v2, 0
	v_mov_b32_e32 v3, v2
	ds_write_b64 v0, v[2:3]
                                        ; implicit-def: $vgpr0
.LBB184_14:
	s_andn2_saveexec_b64 s[8:9], s[8:9]
	s_cbranch_execz .LBB184_16
; %bb.15:
	flat_load_dwordx2 v[2:3], v[20:21]
	s_waitcnt vmcnt(0) lgkmcnt(0)
	ds_write_b64 v0, v[2:3]
.LBB184_16:
	s_or_b64 exec, exec, s[4:5]
	s_ashr_i32 s35, s34, 31
	v_lshl_add_u32 v27, v76, 6, v26
	s_lshl_b64 s[4:5], s[34:35], 3
	v_and_b32_e32 v0, 31, v26
	v_lshrrev_b32_e32 v10, 5, v27
	s_add_u32 s6, s6, s4
	v_mov_b32_e32 v1, 0
	s_addc_u32 s7, s7, s5
	v_mad_u64_u32 v[22:23], s[4:5], v10, s24, v[0:1]
	v_mov_b32_e32 v2, v23
	v_mad_u64_u32 v[2:3], s[4:5], v10, s25, v[2:3]
	s_mul_i32 s4, s34, s25
	s_mul_hi_u32 s5, s34, s24
	s_add_i32 s4, s5, s4
	s_mul_i32 s5, s35, s24
	s_add_i32 s5, s4, s5
	s_mul_i32 s4, s34, s24
	s_lshl_b64 s[36:37], s[4:5], 3
	s_add_u32 s4, s36, s6
	s_addc_u32 s5, s37, s7
	s_cmp_lg_u32 s30, 0
	v_mov_b32_e32 v23, v2
	s_cselect_b64 s[38:39], -1, 0
	s_cmp_eq_u32 s30, 0
	v_lshl_add_u64 v[2:3], v[22:23], 3, s[4:5]
	s_cselect_b64 s[18:19], -1, 0
	s_and_b64 vcc, exec, s[38:39]
	s_cbranch_vccnz .LBB184_18
; %bb.17:
	flat_load_dwordx2 v[4:5], v[2:3]
	v_mul_u32_u24_e32 v1, 33, v10
	s_lshl_b64 s[4:5], s[24:25], 6
	v_add_lshl_u32 v1, v1, v0, 3
	v_lshl_add_u64 v[6:7], v[2:3], 0, s[4:5]
	s_mul_i32 s6, s25, 0xc0
	s_waitcnt vmcnt(0) lgkmcnt(0)
	ds_write_b64 v1, v[4:5]
	flat_load_dwordx2 v[4:5], v[6:7]
	v_lshl_add_u64 v[6:7], v[6:7], 0, s[4:5]
	s_waitcnt vmcnt(0) lgkmcnt(0)
	ds_write_b64 v1, v[4:5] offset:2112
	flat_load_dwordx2 v[4:5], v[6:7]
	v_mov_b32_e32 v6, 0xc0
	v_mad_u64_u32 v[6:7], s[4:5], s24, v6, v[2:3]
	v_add_u32_e32 v7, s6, v7
	s_waitcnt vmcnt(0) lgkmcnt(0)
	ds_write_b64 v1, v[4:5] offset:4224
	flat_load_dwordx2 v[4:5], v[6:7]
	s_waitcnt vmcnt(0) lgkmcnt(0)
	ds_write_b64 v1, v[4:5] offset:6336
	s_cbranch_execz .LBB184_19
	s_branch .LBB184_34
.LBB184_18:
.LBB184_19:
	v_lshlrev_b32_e32 v4, 3, v0
	v_sub_co_u32_e32 v6, vcc, v2, v4
	s_ashr_i32 s31, s30, 31
	s_nop 0
	v_subbrev_co_u32_e32 v7, vcc, 0, v3, vcc
	v_lshl_add_u64 v[6:7], s[30:31], 3, v[6:7]
	v_lshl_add_u64 v[6:7], v[6:7], 0, -8
	v_cmp_gt_i32_e32 vcc, s30, v0
	v_mov_b32_e32 v8, 0
	v_cmp_gt_i32_e64 s[4:5], s30, v10
	v_cndmask_b32_e32 v7, v7, v3, vcc
	v_cndmask_b32_e32 v6, v6, v2, vcc
	v_mov_b32_e32 v9, v8
	s_and_saveexec_b64 s[6:7], s[4:5]
	s_cbranch_execz .LBB184_21
; %bb.20:
	flat_load_dwordx2 v[8:9], v[6:7]
.LBB184_21:
	s_or_b64 exec, exec, s[6:7]
	v_mul_u32_u24_e32 v1, 33, v10
	v_add_u32_e32 v5, 8, v10
	v_add_lshl_u32 v1, v1, v0, 3
	v_cmp_le_i32_e64 s[4:5], s30, v5
	s_waitcnt vmcnt(0) lgkmcnt(0)
	ds_write_b64 v1, v[8:9]
	s_and_saveexec_b64 s[6:7], s[4:5]
	s_xor_b64 s[4:5], exec, s[6:7]
	s_cbranch_execz .LBB184_23
; %bb.22:
	v_mul_u32_u24_e32 v5, 33, v5
	v_mov_b32_e32 v8, 0
	v_add_lshl_u32 v5, v5, v0, 3
	v_mov_b32_e32 v9, v8
	ds_write_b64 v5, v[8:9]
.LBB184_23:
	s_andn2_saveexec_b64 s[4:5], s[4:5]
	s_cbranch_execz .LBB184_25
; %bb.24:
	s_lshl_b64 s[6:7], s[24:25], 6
	v_lshl_add_u64 v[8:9], v[6:7], 0, s[6:7]
	flat_load_dwordx2 v[8:9], v[8:9]
	s_waitcnt vmcnt(0) lgkmcnt(0)
	ds_write_b64 v1, v[8:9] offset:2112
.LBB184_25:
	s_or_b64 exec, exec, s[4:5]
	v_add_u32_e32 v5, 16, v10
	v_cmp_le_i32_e64 s[4:5], s30, v5
	s_and_saveexec_b64 s[6:7], s[4:5]
	s_xor_b64 s[4:5], exec, s[6:7]
	s_cbranch_execz .LBB184_27
; %bb.26:
	v_mov_b32_e32 v8, 0
	v_mov_b32_e32 v9, v8
	ds_write_b64 v1, v[8:9] offset:4224
.LBB184_27:
	s_andn2_saveexec_b64 s[4:5], s[4:5]
	s_cbranch_execz .LBB184_29
; %bb.28:
	s_lshl_b64 s[6:7], s[24:25], 7
	v_lshl_add_u64 v[8:9], v[6:7], 0, s[6:7]
	flat_load_dwordx2 v[8:9], v[8:9]
	s_waitcnt vmcnt(0) lgkmcnt(0)
	ds_write_b64 v1, v[8:9] offset:4224
.LBB184_29:
	s_or_b64 exec, exec, s[4:5]
	v_add_u32_e32 v5, 24, v10
	v_cmp_le_i32_e64 s[4:5], s30, v5
	s_and_saveexec_b64 s[6:7], s[4:5]
	s_xor_b64 s[4:5], exec, s[6:7]
	s_cbranch_execz .LBB184_31
; %bb.30:
	v_mov_b32_e32 v8, 0
	v_mov_b32_e32 v9, v8
	ds_write_b64 v1, v[8:9] offset:6336
                                        ; implicit-def: $vgpr1
.LBB184_31:
	s_andn2_saveexec_b64 s[4:5], s[4:5]
	s_cbranch_execz .LBB184_33
; %bb.32:
	v_mov_b32_e32 v5, 0xc0
	v_mad_u64_u32 v[8:9], s[6:7], s24, v5, v[6:7]
	s_mul_i32 s6, s25, 0xc0
	s_nop 0
	v_add_u32_e32 v9, s6, v9
	flat_load_dwordx2 v[8:9], v[8:9]
	s_waitcnt vmcnt(0) lgkmcnt(0)
	ds_write_b64 v1, v[8:9] offset:6336
.LBB184_33:
	s_or_b64 exec, exec, s[4:5]
	v_mov_b32_e32 v5, 0
	v_lshl_add_u64 v[4:5], v[6:7], 0, v[4:5]
	s_lshl_b64 s[4:5], s[30:31], 3
	v_mov_b32_e32 v1, s5
	v_subrev_co_u32_e64 v4, s[4:5], s4, v4
	s_nop 1
	v_subb_co_u32_e64 v5, s[4:5], v5, v1, s[4:5]
	v_lshl_add_u64 v[4:5], v[4:5], 0, 8
	v_cndmask_b32_e32 v3, v5, v3, vcc
	v_cndmask_b32_e32 v2, v4, v2, vcc
.LBB184_34:
	v_lshlrev_b32_e32 v4, 2, v10
	v_mul_u32_u24_e32 v28, 33, v0
	v_cmp_lt_u32_e64 s[6:7], v4, v0
	v_add_lshl_u32 v1, v4, v28, 3
	s_waitcnt lgkmcnt(0)
	s_barrier
	s_and_saveexec_b64 s[4:5], s[6:7]
	s_cbranch_execz .LBB184_36
; %bb.35:
	v_mul_u32_u24_e32 v5, 0x84, v10
	v_add_lshl_u32 v5, v5, v0, 3
	ds_read_b64 v[6:7], v5
	s_waitcnt lgkmcnt(0)
	ds_write_b64 v1, v[6:7]
.LBB184_36:
	s_or_b64 exec, exec, s[4:5]
	v_or_b32_e32 v5, 1, v4
	v_cmp_lt_u32_e64 s[8:9], v5, v0
	s_and_saveexec_b64 s[4:5], s[8:9]
	s_cbranch_execz .LBB184_38
; %bb.37:
	v_mul_u32_u24_e32 v5, 33, v5
	v_add_lshl_u32 v5, v5, v0, 3
	ds_read_b64 v[6:7], v5
	s_waitcnt lgkmcnt(0)
	ds_write_b64 v1, v[6:7] offset:8
.LBB184_38:
	s_or_b64 exec, exec, s[4:5]
	v_or_b32_e32 v5, 2, v4
	v_cmp_lt_u32_e64 s[10:11], v5, v0
	s_and_saveexec_b64 s[4:5], s[10:11]
	s_cbranch_execz .LBB184_40
; %bb.39:
	v_mul_u32_u24_e32 v5, 33, v5
	v_add_lshl_u32 v5, v5, v0, 3
	ds_read_b64 v[6:7], v5
	s_waitcnt lgkmcnt(0)
	ds_write_b64 v1, v[6:7] offset:16
.LBB184_40:
	s_or_b64 exec, exec, s[4:5]
	v_or_b32_e32 v5, 3, v4
	v_cmp_lt_u32_e64 s[12:13], v5, v0
	v_mad_u32_u24 v5, v5, 33, v0
	v_lshlrev_b32_e32 v8, 3, v5
	s_and_saveexec_b64 s[4:5], s[12:13]
	s_cbranch_execz .LBB184_42
; %bb.41:
	ds_read_b64 v[6:7], v8
	s_waitcnt lgkmcnt(0)
	ds_write_b64 v1, v[6:7] offset:24
.LBB184_42:
	s_or_b64 exec, exec, s[4:5]
	v_mul_u32_u24_e32 v5, 0x84, v10
	v_add_lshl_u32 v11, v5, v0, 3
	s_waitcnt lgkmcnt(0)
	s_barrier
	v_lshlrev_b32_e32 v12, 3, v4
	v_add_u32_e32 v9, 0xfffffdf0, v8
	ds_read_b64 v[14:15], v11
	ds_read_b128 v[4:7], v12 offset:9088
	ds_read2_b64 v[30:33], v9 offset1:33
	ds_read_b64 v[18:19], v8
	ds_read_b128 v[34:37], v12 offset:9104
	s_mov_b32 s14, 0
	s_mov_b32 s15, s14
	s_waitcnt lgkmcnt(3)
	v_pk_mul_f32 v[24:25], v[4:5], v[14:15] op_sel:[0,1]
	v_add_lshl_u32 v29, v10, v28, 3
	v_pk_fma_f32 v[38:39], v[4:5], v[14:15], v[24:25] op_sel:[0,0,1] op_sel_hi:[1,1,0] neg_lo:[0,0,1] neg_hi:[0,0,1]
	v_pk_fma_f32 v[4:5], v[4:5], v[14:15], v[24:25] op_sel:[0,0,1] op_sel_hi:[1,0,0]
	s_waitcnt lgkmcnt(2)
	v_pk_mul_f32 v[14:15], v[6:7], v[30:31] op_sel:[0,1]
	v_mov_b32_e32 v39, v5
	v_pk_fma_f32 v[24:25], v[6:7], v[30:31], v[14:15] op_sel:[0,0,1] op_sel_hi:[1,1,0] neg_lo:[0,0,1] neg_hi:[0,0,1]
	v_pk_fma_f32 v[6:7], v[6:7], v[30:31], v[14:15] op_sel:[0,0,1] op_sel_hi:[1,0,0]
	v_pk_add_f32 v[4:5], v[38:39], 0 op_sel_hi:[1,0]
	v_mov_b32_e32 v25, v7
	s_waitcnt lgkmcnt(0)
	v_pk_mul_f32 v[6:7], v[34:35], v[32:33] op_sel:[0,1]
	v_pk_add_f32 v[4:5], v[4:5], v[24:25]
	v_pk_fma_f32 v[14:15], v[34:35], v[32:33], v[6:7] op_sel:[0,0,1] op_sel_hi:[1,1,0] neg_lo:[0,0,1] neg_hi:[0,0,1]
	v_pk_fma_f32 v[6:7], v[34:35], v[32:33], v[6:7] op_sel:[0,0,1] op_sel_hi:[1,0,0]
	v_cmp_gt_u32_e64 s[4:5], 32, v27
	v_mov_b32_e32 v15, v7
	v_pk_mul_f32 v[6:7], v[36:37], v[18:19] op_sel:[0,1]
	v_pk_add_f32 v[4:5], v[4:5], v[14:15]
	v_pk_fma_f32 v[14:15], v[36:37], v[18:19], v[6:7] op_sel:[0,0,1] op_sel_hi:[1,1,0] neg_lo:[0,0,1] neg_hi:[0,0,1]
	v_pk_fma_f32 v[6:7], v[36:37], v[18:19], v[6:7] op_sel:[0,0,1] op_sel_hi:[1,0,0]
	v_mov_b64_e32 v[18:19], s[14:15]
	v_mov_b32_e32 v15, v7
	v_pk_add_f32 v[4:5], v[4:5], v[14:15]
	s_barrier
	ds_write_b64 v29, v[4:5]
	s_waitcnt lgkmcnt(0)
	s_barrier
	s_and_saveexec_b64 s[14:15], s[4:5]
	s_cbranch_execz .LBB184_44
; %bb.43:
	v_lshlrev_b32_e32 v13, 3, v28
	ds_read2_b64 v[4:7], v13 offset1:7
	ds_read2_b64 v[30:33], v13 offset0:1 offset1:2
	ds_read2_b64 v[34:37], v13 offset0:3 offset1:4
	s_waitcnt lgkmcnt(1)
	v_add_f32_e32 v4, v30, v4
	v_add_f32_e32 v5, v31, v5
	;; [unrolled: 1-line block ×4, first 2 shown]
	ds_read2_b64 v[30:33], v13 offset0:5 offset1:6
	s_waitcnt lgkmcnt(1)
	v_add_f32_e32 v4, v4, v34
	v_add_f32_e32 v5, v5, v35
	;; [unrolled: 1-line block ×4, first 2 shown]
	s_waitcnt lgkmcnt(0)
	v_add_f32_e32 v4, v4, v30
	v_add_f32_e32 v5, v5, v31
	;; [unrolled: 1-line block ×4, first 2 shown]
	v_pk_add_f32 v[18:19], v[4:5], v[6:7]
.LBB184_44:
	s_or_b64 exec, exec, s[14:15]
	s_lshl_b64 s[22:23], s[24:25], 8
	v_lshl_add_u64 v[4:5], v[2:3], 0, s[22:23]
	s_mov_b64 s[40:41], 0x100
	v_cndmask_b32_e64 v2, 0, 1, s[18:19]
	v_cmp_ne_u32_e64 s[14:15], 1, v2
	s_andn2_b64 vcc, exec, s[18:19]
	v_lshl_add_u64 v[2:3], v[4:5], 0, s[40:41]
	s_barrier
	s_cbranch_vccnz .LBB184_46
; %bb.45:
	flat_load_dwordx2 v[6:7], v[4:5] offset:256
	v_mul_u32_u24_e32 v13, 33, v10
	s_lshl_b64 s[18:19], s[24:25], 6
	v_add_lshl_u32 v13, v13, v0, 3
	v_lshl_add_u64 v[14:15], v[4:5], 0, s[18:19]
	s_mul_i32 s31, s25, 0xc0
	s_waitcnt vmcnt(0) lgkmcnt(0)
	ds_write_b64 v13, v[6:7]
	flat_load_dwordx2 v[6:7], v[14:15] offset:256
	v_lshl_add_u64 v[14:15], v[14:15], 0, s[18:19]
	s_waitcnt vmcnt(0) lgkmcnt(0)
	ds_write_b64 v13, v[6:7] offset:2112
	flat_load_dwordx2 v[6:7], v[14:15] offset:256
	v_mov_b32_e32 v14, 0xc0
	v_mad_u64_u32 v[4:5], s[18:19], s24, v14, v[4:5]
	v_add_u32_e32 v5, s31, v5
	s_waitcnt vmcnt(0) lgkmcnt(0)
	ds_write_b64 v13, v[6:7] offset:4224
	flat_load_dwordx2 v[4:5], v[4:5] offset:256
	s_waitcnt vmcnt(0) lgkmcnt(0)
	ds_write_b64 v13, v[4:5] offset:6336
	s_cbranch_execz .LBB184_47
	s_branch .LBB184_62
.LBB184_46:
.LBB184_47:
	v_or_b32_e32 v6, 32, v0
	v_lshlrev_b32_e32 v4, 3, v6
	v_sub_co_u32_e32 v4, vcc, v2, v4
	s_ashr_i32 s31, s30, 31
	s_nop 0
	v_subbrev_co_u32_e32 v5, vcc, 0, v3, vcc
	v_lshl_add_u64 v[4:5], s[30:31], 3, v[4:5]
	v_lshl_add_u64 v[4:5], v[4:5], 0, -8
	v_cmp_gt_i32_e32 vcc, s30, v6
	s_sub_i32 s42, s30, 32
	v_mov_b32_e32 v6, 0
	v_cndmask_b32_e32 v5, v5, v3, vcc
	v_cndmask_b32_e32 v4, v4, v2, vcc
	v_cmp_gt_i32_e64 s[18:19], s42, v10
	v_mov_b32_e32 v7, v6
	s_and_saveexec_b64 s[40:41], s[18:19]
	s_cbranch_execz .LBB184_49
; %bb.48:
	flat_load_dwordx2 v[6:7], v[4:5]
.LBB184_49:
	s_or_b64 exec, exec, s[40:41]
	v_mul_u32_u24_e32 v13, 33, v10
	v_add_lshl_u32 v13, v13, v0, 3
	s_waitcnt vmcnt(0) lgkmcnt(0)
	ds_write_b64 v13, v[6:7]
	v_add_u32_e32 v6, 8, v10
	v_cmp_le_i32_e64 s[18:19], s42, v6
	s_and_saveexec_b64 s[40:41], s[18:19]
	s_xor_b64 s[18:19], exec, s[40:41]
	s_cbranch_execz .LBB184_51
; %bb.50:
	v_mul_u32_u24_e32 v6, 33, v6
	v_add_lshl_u32 v14, v6, v0, 3
	v_mov_b32_e32 v6, 0
	v_mov_b32_e32 v7, v6
	ds_write_b64 v14, v[6:7]
.LBB184_51:
	s_andn2_saveexec_b64 s[18:19], s[18:19]
	s_cbranch_execz .LBB184_53
; %bb.52:
	s_lshl_b64 s[40:41], s[24:25], 6
	v_lshl_add_u64 v[6:7], v[4:5], 0, s[40:41]
	flat_load_dwordx2 v[6:7], v[6:7]
	s_waitcnt vmcnt(0) lgkmcnt(0)
	ds_write_b64 v13, v[6:7] offset:2112
.LBB184_53:
	s_or_b64 exec, exec, s[18:19]
	v_add_u32_e32 v6, 16, v10
	v_cmp_le_i32_e64 s[18:19], s42, v6
	s_and_saveexec_b64 s[40:41], s[18:19]
	s_xor_b64 s[18:19], exec, s[40:41]
	s_cbranch_execz .LBB184_55
; %bb.54:
	v_mov_b32_e32 v6, 0
	v_mov_b32_e32 v7, v6
	ds_write_b64 v13, v[6:7] offset:4224
.LBB184_55:
	s_andn2_saveexec_b64 s[18:19], s[18:19]
	s_cbranch_execz .LBB184_57
; %bb.56:
	s_lshl_b64 s[40:41], s[24:25], 7
	v_lshl_add_u64 v[6:7], v[4:5], 0, s[40:41]
	flat_load_dwordx2 v[6:7], v[6:7]
	s_waitcnt vmcnt(0) lgkmcnt(0)
	ds_write_b64 v13, v[6:7] offset:4224
.LBB184_57:
	s_or_b64 exec, exec, s[18:19]
	v_add_u32_e32 v6, 24, v10
	v_cmp_le_i32_e64 s[18:19], s42, v6
	s_and_saveexec_b64 s[40:41], s[18:19]
	s_xor_b64 s[18:19], exec, s[40:41]
	s_cbranch_execz .LBB184_59
; %bb.58:
	v_mov_b32_e32 v6, 0
	v_mov_b32_e32 v7, v6
	ds_write_b64 v13, v[6:7] offset:6336
                                        ; implicit-def: $vgpr13
.LBB184_59:
	s_andn2_saveexec_b64 s[18:19], s[18:19]
	s_cbranch_execz .LBB184_61
; %bb.60:
	v_mov_b32_e32 v6, 0xc0
	v_mad_u64_u32 v[6:7], s[40:41], s24, v6, v[4:5]
	s_mul_i32 s40, s25, 0xc0
	s_nop 0
	v_add_u32_e32 v7, s40, v7
	flat_load_dwordx2 v[6:7], v[6:7]
	s_waitcnt vmcnt(0) lgkmcnt(0)
	ds_write_b64 v13, v[6:7] offset:6336
.LBB184_61:
	s_or_b64 exec, exec, s[18:19]
	v_lshlrev_b32_e32 v6, 3, v0
	v_mov_b32_e32 v7, 0
	v_lshl_add_u64 v[4:5], v[4:5], 0, v[6:7]
	s_lshl_b64 s[18:19], s[30:31], 3
	v_mov_b32_e32 v6, s19
	v_subrev_co_u32_e64 v4, s[18:19], s18, v4
	s_nop 1
	v_subb_co_u32_e64 v5, s[18:19], v5, v6, s[18:19]
	s_mov_b64 s[18:19], 0x108
	s_nop 0
	v_lshl_add_u64 v[4:5], v[4:5], 0, s[18:19]
	v_cndmask_b32_e32 v3, v5, v3, vcc
	v_cndmask_b32_e32 v2, v4, v2, vcc
.LBB184_62:
	v_add_u32_e32 v6, 0x2380, v12
	s_lshl_b64 s[18:19], s[24:25], 5
	s_waitcnt lgkmcnt(0)
	s_barrier
	s_and_saveexec_b64 s[40:41], s[6:7]
	s_cbranch_execnz .LBB184_71
; %bb.63:
	s_or_b64 exec, exec, s[40:41]
	s_and_saveexec_b64 s[6:7], s[8:9]
	s_cbranch_execnz .LBB184_72
.LBB184_64:
	s_or_b64 exec, exec, s[6:7]
	s_and_saveexec_b64 s[6:7], s[10:11]
	s_cbranch_execnz .LBB184_73
.LBB184_65:
	s_or_b64 exec, exec, s[6:7]
	s_and_saveexec_b64 s[6:7], s[12:13]
	s_cbranch_execz .LBB184_67
.LBB184_66:
	ds_read_b64 v[4:5], v8
	s_waitcnt lgkmcnt(0)
	ds_write_b64 v1, v[4:5] offset:24
.LBB184_67:
	s_or_b64 exec, exec, s[6:7]
	s_waitcnt lgkmcnt(0)
	s_barrier
	ds_read_b64 v[4:5], v11
	ds_read_b128 v[12:15], v6 offset:256
	ds_read2_b64 v[30:33], v9 offset1:33
	ds_read_b64 v[8:9], v8
	ds_read_b128 v[34:37], v6 offset:272
	v_cmp_eq_u32_e64 s[6:7], 1, v10
	s_waitcnt lgkmcnt(3)
	v_pk_mul_f32 v[24:25], v[12:13], v[4:5] op_sel:[0,1]
	s_waitcnt lgkmcnt(0)
	v_pk_fma_f32 v[38:39], v[12:13], v[4:5], v[24:25] op_sel:[0,0,1] op_sel_hi:[1,1,0] neg_lo:[0,0,1] neg_hi:[0,0,1]
	v_pk_fma_f32 v[4:5], v[12:13], v[4:5], v[24:25] op_sel:[0,0,1] op_sel_hi:[1,0,0]
	v_pk_mul_f32 v[12:13], v[14:15], v[30:31] op_sel:[0,1]
	v_mov_b32_e32 v39, v5
	v_pk_fma_f32 v[24:25], v[14:15], v[30:31], v[12:13] op_sel:[0,0,1] op_sel_hi:[1,1,0] neg_lo:[0,0,1] neg_hi:[0,0,1]
	v_pk_fma_f32 v[12:13], v[14:15], v[30:31], v[12:13] op_sel:[0,0,1] op_sel_hi:[1,0,0]
	v_pk_add_f32 v[4:5], v[38:39], 0 op_sel_hi:[1,0]
	v_mov_b32_e32 v25, v13
	v_pk_mul_f32 v[12:13], v[34:35], v[32:33] op_sel:[0,1]
	v_pk_add_f32 v[4:5], v[4:5], v[24:25]
	v_pk_fma_f32 v[14:15], v[34:35], v[32:33], v[12:13] op_sel:[0,0,1] op_sel_hi:[1,1,0] neg_lo:[0,0,1] neg_hi:[0,0,1]
	v_pk_fma_f32 v[12:13], v[34:35], v[32:33], v[12:13] op_sel:[0,0,1] op_sel_hi:[1,0,0]
	s_barrier
	v_mov_b32_e32 v15, v13
	v_pk_mul_f32 v[12:13], v[36:37], v[8:9] op_sel:[0,1]
	v_pk_add_f32 v[4:5], v[4:5], v[14:15]
	v_pk_fma_f32 v[14:15], v[36:37], v[8:9], v[12:13] op_sel:[0,0,1] op_sel_hi:[1,1,0] neg_lo:[0,0,1] neg_hi:[0,0,1]
	v_pk_fma_f32 v[8:9], v[36:37], v[8:9], v[12:13] op_sel:[0,0,1] op_sel_hi:[1,0,0]
	s_nop 0
	v_mov_b32_e32 v15, v9
	v_pk_add_f32 v[4:5], v[4:5], v[14:15]
	ds_write_b64 v29, v[4:5]
	s_waitcnt lgkmcnt(0)
	s_barrier
	s_and_saveexec_b64 s[8:9], s[6:7]
	s_cbranch_execz .LBB184_69
; %bb.68:
	v_lshlrev_b32_e32 v4, 3, v28
	ds_read2_b64 v[12:15], v4 offset1:7
	ds_read2_b64 v[30:33], v4 offset0:1 offset1:2
	ds_read2_b64 v[34:37], v4 offset0:3 offset1:4
	s_waitcnt lgkmcnt(1)
	v_add_f32_e32 v5, v30, v12
	v_add_f32_e32 v7, v31, v13
	;; [unrolled: 1-line block ×4, first 2 shown]
	ds_read2_b64 v[30:33], v4 offset0:5 offset1:6
	s_waitcnt lgkmcnt(1)
	v_add_f32_e32 v4, v5, v34
	v_add_f32_e32 v5, v7, v35
	;; [unrolled: 1-line block ×4, first 2 shown]
	s_waitcnt lgkmcnt(0)
	v_add_f32_e32 v4, v4, v30
	v_add_f32_e32 v5, v5, v31
	v_pk_add_f32 v[4:5], v[4:5], v[32:33]
	s_nop 0
	v_pk_add_f32 v[18:19], v[4:5], v[14:15]
.LBB184_69:
	s_or_b64 exec, exec, s[8:9]
	s_lshl_b64 s[8:9], s[18:19], 3
	v_mov_b32_e32 v4, s9
	v_subrev_co_u32_e64 v24, s[8:9], s8, v2
	s_and_b64 vcc, exec, s[14:15]
	s_nop 0
	v_subb_co_u32_e64 v25, s[8:9], v3, v4, s[8:9]
	s_barrier
	s_cbranch_vccnz .LBB184_74
; %bb.70:
	flat_load_dwordx2 v[2:3], v[24:25]
	v_mad_u32_u24 v7, v10, 33, v0
	s_lshl_b64 s[8:9], s[24:25], 6
	v_lshlrev_b32_e32 v11, 3, v7
	v_lshl_add_u64 v[4:5], v[24:25], 0, s[8:9]
	s_mul_i32 s10, s25, 0xc0
	v_add_u32_e32 v8, 24, v10
	v_add_u32_e32 v9, 0x318, v7
	s_waitcnt vmcnt(0) lgkmcnt(0)
	ds_write_b64 v11, v[2:3]
	flat_load_dwordx2 v[2:3], v[4:5]
	v_lshl_add_u64 v[4:5], v[4:5], 0, s[8:9]
	s_waitcnt vmcnt(0) lgkmcnt(0)
	ds_write_b64 v11, v[2:3] offset:2112
	flat_load_dwordx2 v[2:3], v[4:5]
	v_mov_b32_e32 v4, 0xc0
	v_mad_u64_u32 v[4:5], s[8:9], s24, v4, v[24:25]
	v_add_u32_e32 v5, s10, v5
	s_waitcnt vmcnt(0) lgkmcnt(0)
	ds_write_b64 v11, v[2:3] offset:4224
	flat_load_dwordx2 v[12:13], v[4:5]
	v_add_u32_e32 v4, 8, v10
	v_add_u32_e32 v5, 16, v10
	;; [unrolled: 1-line block ×4, first 2 shown]
	s_waitcnt vmcnt(0) lgkmcnt(0)
	ds_write_b64 v11, v[12:13] offset:6336
	s_cbranch_execz .LBB184_75
	s_branch .LBB184_90
.LBB184_71:
	ds_read_b64 v[4:5], v11
	s_waitcnt lgkmcnt(0)
	ds_write_b64 v1, v[4:5]
	s_or_b64 exec, exec, s[40:41]
	s_and_saveexec_b64 s[6:7], s[8:9]
	s_cbranch_execz .LBB184_64
.LBB184_72:
	ds_read_b64 v[4:5], v9
	s_waitcnt lgkmcnt(0)
	ds_write_b64 v1, v[4:5] offset:8
	s_or_b64 exec, exec, s[6:7]
	s_and_saveexec_b64 s[6:7], s[10:11]
	s_cbranch_execz .LBB184_65
.LBB184_73:
	ds_read_b64 v[4:5], v9 offset:264
	s_waitcnt lgkmcnt(0)
	ds_write_b64 v1, v[4:5] offset:16
	s_or_b64 exec, exec, s[6:7]
	s_and_saveexec_b64 s[6:7], s[12:13]
	s_cbranch_execnz .LBB184_66
	s_branch .LBB184_67
.LBB184_74:
                                        ; implicit-def: $vgpr7
                                        ; implicit-def: $vgpr4
                                        ; implicit-def: $vgpr2
                                        ; implicit-def: $vgpr5
                                        ; implicit-def: $vgpr3
                                        ; implicit-def: $vgpr8
                                        ; implicit-def: $vgpr9
.LBB184_75:
	v_or_b32_e32 v4, 32, v0
	v_lshlrev_b32_e32 v2, 3, v4
	v_sub_co_u32_e32 v2, vcc, v24, v2
	s_ashr_i32 s31, s30, 31
	s_nop 0
	v_subbrev_co_u32_e32 v3, vcc, 0, v25, vcc
	v_lshl_add_u64 v[2:3], s[30:31], 3, v[2:3]
	v_lshl_add_u64 v[2:3], v[2:3], 0, -8
	v_cmp_gt_i32_e32 vcc, s30, v4
	v_mov_b32_e32 v4, 0
	v_cmp_gt_i32_e64 s[8:9], s30, v10
	v_cndmask_b32_e32 v3, v3, v25, vcc
	v_cndmask_b32_e32 v2, v2, v24, vcc
	v_mov_b32_e32 v5, v4
	s_and_saveexec_b64 s[10:11], s[8:9]
	s_cbranch_execz .LBB184_77
; %bb.76:
	flat_load_dwordx2 v[4:5], v[2:3]
.LBB184_77:
	s_or_b64 exec, exec, s[10:11]
	v_mad_u32_u24 v7, v10, 33, v0
	v_lshlrev_b32_e32 v11, 3, v7
	s_waitcnt vmcnt(0) lgkmcnt(0)
	ds_write_b64 v11, v[4:5]
	v_add_u32_e32 v4, 8, v10
	v_cmp_le_i32_e64 s[8:9], s30, v4
	s_and_saveexec_b64 s[10:11], s[8:9]
	s_xor_b64 s[8:9], exec, s[10:11]
	s_cbranch_execz .LBB184_79
; %bb.78:
	v_mul_u32_u24_e32 v5, 33, v4
	v_mov_b32_e32 v8, 0
	v_add_lshl_u32 v5, v5, v0, 3
	v_mov_b32_e32 v9, v8
	ds_write_b64 v5, v[8:9]
.LBB184_79:
	s_andn2_saveexec_b64 s[8:9], s[8:9]
	s_cbranch_execz .LBB184_81
; %bb.80:
	s_lshl_b64 s[10:11], s[24:25], 6
	v_lshl_add_u64 v[8:9], v[2:3], 0, s[10:11]
	flat_load_dwordx2 v[8:9], v[8:9]
	s_waitcnt vmcnt(0) lgkmcnt(0)
	ds_write_b64 v11, v[8:9] offset:2112
.LBB184_81:
	s_or_b64 exec, exec, s[8:9]
	v_add_u32_e32 v5, 16, v10
	v_cmp_le_i32_e64 s[8:9], s30, v5
	s_and_saveexec_b64 s[10:11], s[8:9]
	s_xor_b64 s[8:9], exec, s[10:11]
	s_cbranch_execz .LBB184_83
; %bb.82:
	v_mul_u32_u24_e32 v8, 33, v5
	v_add_lshl_u32 v12, v8, v0, 3
	v_mov_b32_e32 v8, 0
	v_mov_b32_e32 v9, v8
	ds_write_b64 v12, v[8:9]
.LBB184_83:
	s_andn2_saveexec_b64 s[8:9], s[8:9]
	s_cbranch_execz .LBB184_85
; %bb.84:
	s_lshl_b64 s[10:11], s[24:25], 7
	v_lshl_add_u64 v[8:9], v[2:3], 0, s[10:11]
	flat_load_dwordx2 v[8:9], v[8:9]
	s_waitcnt vmcnt(0) lgkmcnt(0)
	ds_write_b64 v11, v[8:9] offset:4224
.LBB184_85:
	s_or_b64 exec, exec, s[8:9]
	v_add_u32_e32 v8, 24, v10
	v_cmp_le_i32_e64 s[8:9], s30, v8
                                        ; implicit-def: $vgpr9
	s_and_saveexec_b64 s[10:11], s[8:9]
	s_xor_b64 s[8:9], exec, s[10:11]
	s_cbranch_execz .LBB184_87
; %bb.86:
	v_mov_b32_e32 v12, 0
	v_add_u32_e32 v9, 0x318, v7
	v_mov_b32_e32 v13, v12
	ds_write_b64 v11, v[12:13] offset:6336
                                        ; implicit-def: $vgpr11
.LBB184_87:
	s_andn2_saveexec_b64 s[8:9], s[8:9]
	s_cbranch_execz .LBB184_89
; %bb.88:
	v_mov_b32_e32 v9, 0xc0
	v_mad_u64_u32 v[12:13], s[10:11], s24, v9, v[2:3]
	s_mul_i32 s10, s25, 0xc0
	s_nop 0
	v_add_u32_e32 v13, s10, v13
	flat_load_dwordx2 v[12:13], v[12:13]
	v_add_u32_e32 v9, 0x318, v7
	s_waitcnt vmcnt(0) lgkmcnt(0)
	ds_write_b64 v11, v[12:13] offset:6336
.LBB184_89:
	s_or_b64 exec, exec, s[8:9]
	v_lshlrev_b32_e32 v12, 3, v0
	v_mov_b32_e32 v13, 0
	v_lshl_add_u64 v[2:3], v[2:3], 0, v[12:13]
	s_lshl_b64 s[8:9], s[30:31], 3
	v_mov_b32_e32 v0, s9
	v_subrev_co_u32_e64 v2, s[8:9], s8, v2
	s_nop 1
	v_subb_co_u32_e64 v3, s[8:9], v3, v0, s[8:9]
	s_mov_b64 s[8:9], 0x108
	s_nop 0
	v_lshl_add_u64 v[2:3], v[2:3], 0, s[8:9]
	v_cndmask_b32_e32 v25, v3, v25, vcc
	v_cndmask_b32_e32 v24, v2, v24, vcc
	v_add_u32_e32 v2, 0x108, v7
	v_add_u32_e32 v3, 0x210, v7
.LBB184_90:
	v_lshlrev_b32_e32 v0, 3, v7
	s_waitcnt lgkmcnt(0)
	s_barrier
	ds_read_b64 v[30:31], v0
	v_lshlrev_b32_e32 v7, 3, v10
	v_lshlrev_b32_e32 v12, 3, v2
	;; [unrolled: 1-line block ×7, first 2 shown]
	ds_read_b64 v[32:33], v0
	ds_read2_b64 v[8:11], v1 offset1:1
	ds_read2_b64 v[0:3], v1 offset0:2 offset1:3
	ds_read_b64 v[34:35], v4 offset:9088
	ds_read_b64 v[36:37], v12
	ds_read_b64 v[38:39], v7 offset:9088
	ds_read_b128 v[12:15], v6 offset:256
	ds_read_b128 v[4:7], v6 offset:272
	ds_read_b64 v[40:41], v40 offset:9088
	ds_read_b64 v[42:43], v42
	ds_read_b64 v[44:45], v44 offset:9088
	s_waitcnt lgkmcnt(5)
	v_pk_mul_f32 v[46:47], v[38:39], v[30:31] op_sel:[0,1]
	s_waitcnt lgkmcnt(0)
	v_pk_fma_f32 v[48:49], v[38:39], v[30:31], v[46:47] op_sel:[0,0,1] op_sel_hi:[1,1,0] neg_lo:[0,0,1] neg_hi:[0,0,1]
	v_pk_fma_f32 v[30:31], v[38:39], v[30:31], v[46:47] op_sel:[0,0,1] op_sel_hi:[1,0,0]
	v_pk_mul_f32 v[38:39], v[34:35], v[36:37] op_sel:[0,1]
	v_mov_b32_e32 v49, v31
	v_pk_fma_f32 v[46:47], v[34:35], v[36:37], v[38:39] op_sel:[0,0,1] op_sel_hi:[1,1,0] neg_lo:[0,0,1] neg_hi:[0,0,1]
	v_pk_fma_f32 v[34:35], v[34:35], v[36:37], v[38:39] op_sel:[0,0,1] op_sel_hi:[1,0,0]
	v_pk_add_f32 v[30:31], v[48:49], 0 op_sel_hi:[1,0]
	v_mov_b32_e32 v47, v35
	v_pk_mul_f32 v[34:35], v[44:45], v[32:33] op_sel:[0,1]
	v_pk_add_f32 v[30:31], v[30:31], v[46:47]
	v_pk_fma_f32 v[36:37], v[44:45], v[32:33], v[34:35] op_sel:[0,0,1] op_sel_hi:[1,1,0] neg_lo:[0,0,1] neg_hi:[0,0,1]
	v_pk_fma_f32 v[32:33], v[44:45], v[32:33], v[34:35] op_sel:[0,0,1] op_sel_hi:[1,0,0]
	s_barrier
	v_mov_b32_e32 v37, v33
	v_pk_mul_f32 v[32:33], v[40:41], v[42:43] op_sel:[0,1]
	v_pk_add_f32 v[30:31], v[30:31], v[36:37]
	v_pk_fma_f32 v[34:35], v[40:41], v[42:43], v[32:33] op_sel:[0,0,1] op_sel_hi:[1,1,0] neg_lo:[0,0,1] neg_hi:[0,0,1]
	v_pk_fma_f32 v[32:33], v[40:41], v[42:43], v[32:33] op_sel:[0,0,1] op_sel_hi:[1,0,0]
	s_nop 0
	v_mov_b32_e32 v35, v33
	v_pk_add_f32 v[30:31], v[30:31], v[34:35]
	ds_write_b64 v29, v[30:31]
	s_waitcnt lgkmcnt(0)
	s_barrier
	s_and_saveexec_b64 s[8:9], s[6:7]
	s_cbranch_execz .LBB184_92
; %bb.91:
	v_lshlrev_b32_e32 v42, 3, v28
	ds_read2_b64 v[30:33], v42 offset1:1
	ds_read2_b64 v[34:37], v42 offset0:2 offset1:3
	ds_read2_b64 v[38:41], v42 offset0:4 offset1:5
	s_waitcnt lgkmcnt(2)
	v_pk_add_f32 v[18:19], v[18:19], v[30:31]
	s_nop 0
	v_pk_add_f32 v[18:19], v[18:19], v[32:33]
	ds_read2_b64 v[30:33], v42 offset0:6 offset1:7
	s_waitcnt lgkmcnt(2)
	v_pk_add_f32 v[18:19], v[18:19], v[34:35]
	s_nop 0
	v_pk_add_f32 v[18:19], v[18:19], v[36:37]
	s_waitcnt lgkmcnt(1)
	v_pk_add_f32 v[18:19], v[18:19], v[38:39]
	s_nop 0
	v_pk_add_f32 v[18:19], v[18:19], v[40:41]
	;; [unrolled: 4-line block ×3, first 2 shown]
.LBB184_92:
	s_or_b64 exec, exec, s[8:9]
	v_pk_mul_f32 v[30:31], v[12:13], v[8:9] op_sel:[0,1]
	s_nop 0
	v_pk_fma_f32 v[32:33], v[12:13], v[8:9], v[30:31] op_sel:[0,0,1] op_sel_hi:[1,1,0] neg_lo:[0,0,1] neg_hi:[0,0,1]
	v_pk_fma_f32 v[8:9], v[12:13], v[8:9], v[30:31] op_sel:[0,0,1] op_sel_hi:[1,0,0]
	v_mov_b32_e32 v12, v11
	v_pk_mul_f32 v[12:13], v[14:15], v[12:13] op_sel_hi:[1,0]
	v_mov_b32_e32 v33, v9
	v_pk_fma_f32 v[30:31], v[14:15], v[10:11], v[12:13] op_sel:[0,0,1] op_sel_hi:[1,1,0] neg_lo:[0,0,1] neg_hi:[0,0,1]
	v_pk_fma_f32 v[10:11], v[14:15], v[10:11], v[12:13] op_sel:[0,0,1] op_sel_hi:[1,0,0]
	v_pk_add_f32 v[8:9], v[32:33], 0 op_sel_hi:[1,0]
	v_mov_b32_e32 v31, v11
	v_pk_mul_f32 v[10:11], v[4:5], v[0:1] op_sel:[0,1]
	v_pk_add_f32 v[8:9], v[8:9], v[30:31]
	v_pk_fma_f32 v[12:13], v[4:5], v[0:1], v[10:11] op_sel:[0,0,1] op_sel_hi:[1,1,0] neg_lo:[0,0,1] neg_hi:[0,0,1]
	v_pk_fma_f32 v[0:1], v[4:5], v[0:1], v[10:11] op_sel:[0,0,1] op_sel_hi:[1,0,0]
	v_mov_b32_e32 v4, v3
	v_mov_b32_e32 v13, v1
	v_pk_mul_f32 v[4:5], v[6:7], v[4:5] op_sel_hi:[1,0]
	v_pk_add_f32 v[0:1], v[8:9], v[12:13]
	v_pk_fma_f32 v[8:9], v[6:7], v[2:3], v[4:5] op_sel:[0,0,1] op_sel_hi:[1,1,0] neg_lo:[0,0,1] neg_hi:[0,0,1]
	v_pk_fma_f32 v[2:3], v[6:7], v[2:3], v[4:5] op_sel:[0,0,1] op_sel_hi:[1,0,0]
	s_barrier
	v_mov_b32_e32 v9, v3
	v_pk_add_f32 v[0:1], v[0:1], v[8:9]
	ds_write_b64 v29, v[0:1]
	s_waitcnt lgkmcnt(0)
	s_barrier
	s_and_saveexec_b64 s[6:7], s[4:5]
	s_cbranch_execz .LBB184_94
; %bb.93:
	v_lshlrev_b32_e32 v14, 3, v28
	ds_read2_b64 v[0:3], v14 offset1:1
	ds_read2_b64 v[4:7], v14 offset0:2 offset1:3
	ds_read2_b64 v[8:11], v14 offset0:4 offset1:5
	s_waitcnt lgkmcnt(2)
	v_pk_add_f32 v[0:1], v[18:19], v[0:1]
	s_nop 0
	v_pk_add_f32 v[12:13], v[0:1], v[2:3]
	ds_read2_b64 v[0:3], v14 offset0:6 offset1:7
	s_waitcnt lgkmcnt(2)
	v_pk_add_f32 v[4:5], v[12:13], v[4:5]
	s_nop 0
	v_pk_add_f32 v[4:5], v[4:5], v[6:7]
	s_waitcnt lgkmcnt(1)
	v_pk_add_f32 v[4:5], v[4:5], v[8:9]
	s_nop 0
	v_pk_add_f32 v[4:5], v[4:5], v[10:11]
	s_waitcnt lgkmcnt(0)
	v_pk_add_f32 v[0:1], v[4:5], v[0:1]
	s_nop 0
	v_pk_add_f32 v[18:19], v[0:1], v[2:3]
.LBB184_94:
	s_or_b64 exec, exec, s[6:7]
	s_mul_hi_u32 s4, s3, s26
	s_mul_i32 s33, s33, s26
	s_add_i32 s4, s4, s33
	s_mul_i32 s6, s3, s26
	s_mul_i32 s4, s4, s27
	s_mul_hi_u32 s5, s6, s27
	s_add_i32 s5, s5, s4
	s_mul_i32 s4, s6, s27
	s_lshl_b64 s[4:5], s[4:5], 3
	s_add_u32 s6, s28, s4
	s_mul_i32 s4, s2, s3
	s_addc_u32 s7, s29, s5
	s_ashr_i32 s5, s4, 31
	s_lshl_b64 s[4:5], s[4:5], 3
	s_add_u32 s6, s6, s4
	v_cmp_le_i32_e32 vcc, s30, v26
	s_addc_u32 s7, s7, s5
	s_and_b64 vcc, s[38:39], vcc
	s_cmp_lt_i32 s2, 1
	v_lshlrev_b32_e32 v4, 3, v26
	s_barrier
	s_cbranch_scc1 .LBB184_101
; %bb.95:
	s_mul_i32 s3, s34, s21
	s_mul_hi_u32 s4, s34, s20
	s_add_i32 s3, s4, s3
	s_mul_i32 s4, s35, s20
	s_add_i32 s5, s3, s4
	s_mul_i32 s4, s34, s20
	s_lshl_b64 s[4:5], s[4:5], 3
	v_mov_b32_e32 v0, s5
	v_subrev_co_u32_e64 v6, s[4:5], s4, v20
	v_lshlrev_b32_e32 v5, 2, v76
	s_nop 0
	v_subb_co_u32_e64 v7, s[4:5], v21, v0, s[4:5]
	v_mov_b32_e32 v0, s37
	v_subrev_co_u32_e64 v2, s[4:5], s36, v24
	s_ashr_i32 s31, s30, 31
	s_nop 0
	v_subb_co_u32_e64 v3, s[4:5], v25, v0, s[4:5]
	v_lshlrev_b64 v[0:1], 3, v[22:23]
	v_sub_co_u32_e64 v0, s[4:5], v2, v0
	v_and_b32_e32 v12, 15, v26
	s_nop 0
	v_subb_co_u32_e64 v1, s[4:5], v3, v1, s[4:5]
	v_mad_u64_u32 v[2:3], s[4:5], v5, s24, 0
	v_mov_b32_e32 v8, v3
	v_mad_u64_u32 v[8:9], s[4:5], v5, s25, v[8:9]
	v_mov_b32_e32 v3, v8
	s_movk_i32 s4, 0xff00
	v_lshl_add_u64 v[0:1], v[2:3], 3, v[0:1]
	s_mov_b32 s5, -1
	v_lshl_add_u64 v[0:1], v[0:1], 0, s[4:5]
	v_mov_b32_e32 v9, 0
	v_lshl_add_u64 v[2:3], s[30:31], 3, v[0:1]
	v_mov_b32_e32 v5, v9
	v_lshl_add_u64 v[2:3], v[2:3], 0, -8
	v_lshl_add_u64 v[0:1], v[0:1], 0, v[4:5]
	v_cndmask_b32_e32 v10, v0, v2, vcc
	v_and_b32_e32 v0, 48, v26
	v_cndmask_b32_e32 v11, v1, v3, vcc
	v_lshlrev_b32_e32 v1, 3, v0
	s_movk_i32 s3, 0x218
	v_lshrrev_b32_e32 v13, 4, v27
	v_mad_u32_u24 v78, v12, s3, v1
	v_or_b32_e32 v1, 0x78, v4
	v_mad_u32_u24 v79, v12, s3, v1
	v_lshlrev_b32_e32 v1, 5, v13
	v_mad_u32_u24 v80, v12, s3, v1
	v_mov_b32_e32 v1, 0x2180
	v_lshl_add_u32 v81, v76, 5, v1
	v_lshlrev_b32_e32 v1, 3, v13
	v_mad_u32_u24 v83, v12, s3, v1
	s_mul_i32 s3, s25, 24
	s_mul_hi_u32 s14, s24, 24
	s_add_i32 s15, s14, s3
	s_mul_i32 s3, s25, 0x90
	s_mul_hi_u32 s26, s24, 0x90
	s_add_i32 s27, s26, s3
	;; [unrolled: 3-line block ×8, first 2 shown]
	s_mul_i32 s3, s25, 0x188
	s_mul_hi_u32 s33, s24, 0x188
	s_movk_i32 s8, 0x860
	s_add_i32 s43, s33, s3
	s_mul_i32 s3, s25, 0x108
	s_mul_hi_u32 s33, s24, 0x108
	v_mad_u32_u24 v82, v76, s8, v4
	s_lshl_b64 s[8:9], s[24:25], 3
	s_lshl_b64 s[10:11], s[24:25], 4
	;; [unrolled: 1-line block ×4, first 2 shown]
	s_add_i32 s45, s33, s3
	s_mul_i32 s3, s25, 0x88
	s_mul_hi_u32 s25, s24, 0x88
	v_add_u32_e32 v5, 0x2180, v4
	v_add_u32_e32 v77, 0x2380, v4
	v_cmp_gt_u32_e64 s[4:5], 64, v27
	s_mul_i32 s14, s24, 24
	s_mul_i32 s26, s24, 0x90
	;; [unrolled: 1-line block ×10, first 2 shown]
	s_add_i32 s25, s25, s3
	s_mulk_i32 s24, 0x88
	v_or_b32_e32 v84, v0, v12
	s_mov_b32 s3, 0
	s_branch .LBB184_97
.LBB184_96:                             ;   in Loop: Header=BB184_97 Depth=1
	s_or_b64 exec, exec, s[46:47]
	v_mul_f32_e32 v8, v25, v23
	v_fma_f32 v8, v24, v22, -v8
	v_add_f32_e32 v8, v18, v8
	v_mul_f32_e32 v18, v31, v21
	v_fma_f32 v18, v30, v20, -v18
	v_add_f32_e32 v8, v8, v18
	v_mul_f32_e32 v18, v29, v15
	v_fma_f32 v18, v28, v14, -v18
	v_mul_f32_e32 v22, v25, v22
	v_add_f32_e32 v8, v8, v18
	v_mul_f32_e32 v18, v27, v13
	v_mul_f32_e32 v20, v31, v20
	v_fma_f32 v18, v26, v12, -v18
	v_fmac_f32_e32 v22, v24, v23
	v_mul_f32_e32 v14, v29, v14
	v_add_f32_e32 v8, v8, v18
	v_add_f32_e32 v18, v19, v22
	v_fmac_f32_e32 v20, v30, v21
	v_mul_f32_e32 v12, v27, v12
	v_add_f32_e32 v18, v18, v20
	v_fmac_f32_e32 v14, v28, v15
	v_add_f32_e32 v14, v18, v14
	v_fmac_f32_e32 v12, v26, v13
	v_add_f32_e32 v13, v14, v12
	v_mul_f32_e32 v12, v41, v39
	v_fma_f32 v12, v40, v38, -v12
	v_add_f32_e32 v8, v8, v12
	v_mul_f32_e32 v12, v55, v37
	v_fma_f32 v12, v54, v36, -v12
	v_mul_f32_e32 v20, v41, v38
	v_add_f32_e32 v12, v8, v12
	v_mul_f32_e32 v8, v49, v33
	v_mul_f32_e32 v21, v55, v36
	v_fma_f32 v14, v48, v32, -v8
	v_mul_f32_e32 v8, v51, v35
	v_fmac_f32_e32 v20, v40, v39
	v_mul_f32_e32 v15, v49, v32
	v_fma_f32 v18, v50, v34, -v8
	v_add_f32_e32 v8, v13, v20
	v_fmac_f32_e32 v21, v54, v37
	v_mul_f32_e32 v19, v51, v34
	v_add_f32_e32 v13, v8, v21
	v_fmac_f32_e32 v15, v48, v33
	v_mov_b32_e32 v8, v53
	v_fmac_f32_e32 v19, v50, v35
	v_pk_add_f32 v[12:13], v[12:13], v[14:15]
	v_pk_mul_f32 v[14:15], v[56:57], v[8:9] op_sel_hi:[1,0]
	v_pk_add_f32 v[12:13], v[12:13], v[18:19]
	v_pk_fma_f32 v[18:19], v[56:57], v[52:53], v[14:15] op_sel:[0,0,1] op_sel_hi:[1,1,0] neg_lo:[0,0,1] neg_hi:[0,0,1]
	v_pk_fma_f32 v[14:15], v[56:57], v[52:53], v[14:15] op_sel:[0,0,1] op_sel_hi:[1,0,0]
	v_mov_b32_e32 v8, v47
	v_mov_b32_e32 v19, v15
	v_pk_mul_f32 v[14:15], v[0:1], v[8:9] op_sel_hi:[1,0]
	v_pk_add_f32 v[12:13], v[12:13], v[18:19]
	v_pk_fma_f32 v[18:19], v[0:1], v[46:47], v[14:15] op_sel:[0,0,1] op_sel_hi:[1,1,0] neg_lo:[0,0,1] neg_hi:[0,0,1]
	v_pk_fma_f32 v[0:1], v[0:1], v[46:47], v[14:15] op_sel:[0,0,1] op_sel_hi:[1,0,0]
	v_mov_b32_e32 v8, v45
	v_mov_b32_e32 v19, v1
	v_pk_add_f32 v[0:1], v[12:13], v[18:19]
	v_pk_mul_f32 v[12:13], v[2:3], v[8:9] op_sel_hi:[1,0]
	s_add_i32 s3, s3, 64
	v_pk_fma_f32 v[14:15], v[2:3], v[44:45], v[12:13] op_sel:[0,0,1] op_sel_hi:[1,1,0] neg_lo:[0,0,1] neg_hi:[0,0,1]
	v_pk_fma_f32 v[2:3], v[2:3], v[44:45], v[12:13] op_sel:[0,0,1] op_sel_hi:[1,0,0]
	s_add_i32 s2, s2, -1
	v_mov_b32_e32 v2, v43
	v_mov_b32_e32 v15, v3
	v_pk_mul_f32 v[2:3], v[60:61], v[2:3] op_sel_hi:[1,0]
	v_pk_add_f32 v[0:1], v[0:1], v[14:15]
	v_pk_fma_f32 v[12:13], v[60:61], v[42:43], v[2:3] op_sel:[0,0,1] op_sel_hi:[1,1,0] neg_lo:[0,0,1] neg_hi:[0,0,1]
	v_pk_fma_f32 v[2:3], v[60:61], v[42:43], v[2:3] op_sel:[0,0,1] op_sel_hi:[1,0,0]
	s_cmp_eq_u32 s2, 0
	v_mov_b32_e32 v2, v67
	v_mov_b32_e32 v13, v3
	v_pk_mul_f32 v[2:3], v[68:69], v[2:3] op_sel_hi:[1,0]
	v_pk_add_f32 v[0:1], v[0:1], v[12:13]
	v_pk_fma_f32 v[12:13], v[68:69], v[66:67], v[2:3] op_sel:[0,0,1] op_sel_hi:[1,1,0] neg_lo:[0,0,1] neg_hi:[0,0,1]
	v_pk_fma_f32 v[2:3], v[68:69], v[66:67], v[2:3] op_sel:[0,0,1] op_sel_hi:[1,0,0]
	v_lshl_add_u64 v[10:11], v[10:11], 0, s[12:13]
	v_mov_b32_e32 v2, v65
	v_mov_b32_e32 v13, v3
	v_pk_mul_f32 v[2:3], v[74:75], v[2:3] op_sel_hi:[1,0]
	v_pk_add_f32 v[0:1], v[0:1], v[12:13]
	v_pk_fma_f32 v[14:15], v[74:75], v[64:65], v[2:3] op_sel:[0,0,1] op_sel_hi:[1,1,0] neg_lo:[0,0,1] neg_hi:[0,0,1]
	v_pk_fma_f32 v[2:3], v[74:75], v[64:65], v[2:3] op_sel:[0,0,1] op_sel_hi:[1,0,0]
	s_nop 0
	v_mov_b32_e32 v2, v63
	v_mov_b32_e32 v15, v3
	v_pk_mul_f32 v[2:3], v[72:73], v[2:3] op_sel_hi:[1,0]
	v_pk_add_f32 v[0:1], v[0:1], v[14:15]
	v_pk_fma_f32 v[18:19], v[72:73], v[62:63], v[2:3] op_sel:[0,0,1] op_sel_hi:[1,1,0] neg_lo:[0,0,1] neg_hi:[0,0,1]
	v_pk_fma_f32 v[2:3], v[72:73], v[62:63], v[2:3] op_sel:[0,0,1] op_sel_hi:[1,0,0]
	s_barrier
	v_mov_b32_e32 v2, v59
	v_mov_b32_e32 v19, v3
	v_pk_mul_f32 v[2:3], v[70:71], v[2:3] op_sel_hi:[1,0]
	v_pk_add_f32 v[0:1], v[0:1], v[18:19]
	v_pk_fma_f32 v[20:21], v[70:71], v[58:59], v[2:3] op_sel:[0,0,1] op_sel_hi:[1,1,0] neg_lo:[0,0,1] neg_hi:[0,0,1]
	v_pk_fma_f32 v[2:3], v[70:71], v[58:59], v[2:3] op_sel:[0,0,1] op_sel_hi:[1,0,0]
	s_nop 0
	v_mov_b32_e32 v21, v3
	v_pk_add_f32 v[18:19], v[0:1], v[20:21]
	s_cbranch_scc1 .LBB184_101
.LBB184_97:                             ; =>This Inner Loop Header: Depth=1
	s_and_saveexec_b64 s[46:47], s[16:17]
	s_cbranch_execz .LBB184_99
; %bb.98:                               ;   in Loop: Header=BB184_97 Depth=1
	s_mul_i32 s33, s3, s21
	s_mul_hi_u32 s48, s3, s20
	s_add_i32 s49, s48, s33
	s_mul_i32 s48, s3, s20
	v_lshl_add_u64 v[0:1], s[48:49], 3, v[6:7]
	flat_load_dwordx2 v[0:1], v[0:1]
	s_waitcnt vmcnt(0) lgkmcnt(0)
	ds_write_b64 v5, v[0:1]
.LBB184_99:                             ;   in Loop: Header=BB184_97 Depth=1
	s_or_b64 exec, exec, s[46:47]
	v_lshl_add_u64 v[0:1], v[10:11], 0, s[8:9]
	s_waitcnt lgkmcnt(0)
	s_barrier
	flat_load_dwordx2 v[22:23], v[10:11]
	flat_load_dwordx2 v[20:21], v[0:1]
	v_lshl_add_u64 v[0:1], v[10:11], 0, s[10:11]
	flat_load_dwordx2 v[14:15], v[0:1]
	v_lshl_add_u64 v[0:1], v[10:11], 0, s[14:15]
	flat_load_dwordx2 v[12:13], v[0:1]
	ds_read_b64 v[0:1], v77
	ds_read_b64 v[24:25], v81
	v_lshl_add_u64 v[2:3], v[10:11], 0, s[18:19]
	v_lshl_add_u64 v[58:59], v[10:11], 0, s[36:37]
	s_waitcnt vmcnt(0) lgkmcnt(0)
	v_mul_f32_e32 v8, v1, v23
	v_mul_f32_e32 v27, v1, v22
	v_fma_f32 v26, v0, v22, -v8
	v_fmac_f32_e32 v27, v0, v23
	v_mul_f32_e32 v8, v1, v21
	v_mul_f32_e32 v29, v1, v20
	v_mul_f32_e32 v30, v1, v15
	v_mul_f32_e32 v33, v1, v14
	v_mul_f32_e32 v31, v1, v13
	ds_write_b64 v82, v[26:27]
	v_fma_f32 v28, v0, v20, -v8
	v_fmac_f32_e32 v29, v0, v21
	v_mul_f32_e32 v35, v0, v13
	v_fma_f32 v32, v0, v14, -v30
	v_fmac_f32_e32 v33, v0, v15
	v_fma_f32 v34, v0, v12, -v31
	ds_read_b64 v[30:31], v81 offset:8
	ds_write_b64 v82, v[28:29] offset:536
	v_fmac_f32_e32 v35, v1, v12
	ds_read_b64 v[28:29], v81 offset:16
	ds_write_b64 v82, v[32:33] offset:1072
	ds_read_b64 v[26:27], v81 offset:24
	ds_write_b64 v82, v[34:35] offset:1608
	s_waitcnt lgkmcnt(0)
	s_barrier
	ds_read2_b64 v[68:71], v80 offset1:1
	ds_read2_b64 v[72:75], v80 offset0:2 offset1:3
	s_waitcnt lgkmcnt(0)
	s_barrier
	flat_load_dwordx2 v[38:39], v[2:3]
	v_lshl_add_u64 v[0:1], v[10:11], 0, s[24:25]
	flat_load_dwordx2 v[36:37], v[0:1]
	v_lshl_add_u64 v[0:1], v[10:11], 0, s[26:27]
	;; [unrolled: 2-line block ×3, first 2 shown]
	flat_load_dwordx2 v[34:35], v[0:1]
	ds_read_b64 v[0:1], v77
	ds_read_b64 v[40:41], v81 offset:128
	v_lshl_add_u64 v[2:3], v[10:11], 0, s[22:23]
	v_pk_add_f32 v[68:69], v[68:69], 0 op_sel_hi:[1,0]
	s_waitcnt vmcnt(0) lgkmcnt(0)
	v_mul_f32_e32 v8, v1, v39
	v_mul_f32_e32 v43, v1, v38
	;; [unrolled: 1-line block ×4, first 2 shown]
	v_fma_f32 v42, v0, v38, -v8
	v_fmac_f32_e32 v43, v0, v39
	v_mul_f32_e32 v46, v1, v33
	v_mul_f32_e32 v47, v1, v32
	v_fma_f32 v44, v0, v36, -v44
	v_fmac_f32_e32 v45, v0, v37
	ds_write_b64 v82, v[42:43]
	v_mul_f32_e32 v48, v1, v35
	v_mul_f32_e32 v53, v0, v35
	v_fma_f32 v46, v0, v32, -v46
	v_fmac_f32_e32 v47, v0, v33
	ds_read_b64 v[54:55], v81 offset:136
	ds_write_b64 v82, v[44:45] offset:536
	v_fma_f32 v52, v0, v34, -v48
	v_fmac_f32_e32 v53, v1, v34
	ds_read_b64 v[48:49], v81 offset:144
	ds_write_b64 v82, v[46:47] offset:1072
	v_lshl_add_u64 v[0:1], v[10:11], 0, s[44:45]
	ds_read_b64 v[50:51], v81 offset:152
	ds_write_b64 v82, v[52:53] offset:1608
	s_waitcnt lgkmcnt(0)
	s_barrier
	ds_read2_b64 v[86:89], v80 offset1:1
	ds_read2_b64 v[90:93], v80 offset0:2 offset1:3
	s_waitcnt lgkmcnt(0)
	s_barrier
	flat_load_dwordx2 v[52:53], v[2:3]
	flat_load_dwordx2 v[46:47], v[0:1]
	v_lshl_add_u64 v[0:1], v[10:11], 0, s[30:31]
	flat_load_dwordx2 v[44:45], v[0:1]
	v_lshl_add_u64 v[0:1], v[10:11], 0, s[34:35]
	flat_load_dwordx2 v[42:43], v[0:1]
	ds_read_b64 v[0:1], v77
	ds_read_b64 v[56:57], v81 offset:256
	v_pk_add_f32 v[68:69], v[68:69], v[70:71]
	s_waitcnt vmcnt(0) lgkmcnt(0)
	v_mul_f32_e32 v2, v1, v53
	v_mul_f32_e32 v3, v1, v52
	;; [unrolled: 1-line block ×8, first 2 shown]
	v_fma_f32 v2, v0, v52, -v2
	v_fmac_f32_e32 v3, v0, v53
	v_fma_f32 v60, v0, v46, -v8
	v_fmac_f32_e32 v61, v0, v47
	;; [unrolled: 2-line block ×4, first 2 shown]
	ds_write2_b64 v82, v[2:3], v[60:61] offset1:67
	ds_write2_b64 v82, v[62:63], v[64:65] offset0:134 offset1:201
	ds_read2_b64 v[0:3], v81 offset0:33 offset1:34
	ds_read_b64 v[60:61], v81 offset:280
	s_waitcnt lgkmcnt(0)
	s_barrier
	ds_read2_b64 v[94:97], v80 offset1:1
	ds_read2_b64 v[98:101], v80 offset0:2 offset1:3
	s_waitcnt lgkmcnt(0)
	s_barrier
	flat_load_dwordx2 v[66:67], v[58:59]
	v_lshl_add_u64 v[58:59], v[10:11], 0, s[42:43]
	flat_load_dwordx2 v[64:65], v[58:59]
	v_lshl_add_u64 v[58:59], v[10:11], 0, s[38:39]
	;; [unrolled: 2-line block ×3, first 2 shown]
	flat_load_dwordx2 v[58:59], v[58:59]
	v_pk_add_f32 v[68:69], v[68:69], v[72:73]
	v_pk_add_f32 v[72:73], v[94:95], 0 op_sel_hi:[1,0]
	v_pk_add_f32 v[102:103], v[68:69], v[74:75]
	v_pk_add_f32 v[68:69], v[86:87], 0 op_sel_hi:[1,0]
	v_pk_add_f32 v[72:73], v[72:73], v[96:97]
	v_pk_add_f32 v[68:69], v[68:69], v[88:89]
	;; [unrolled: 1-line block ×6, first 2 shown]
	ds_read_b64 v[70:71], v77
	ds_read_b64 v[68:69], v81 offset:384
	s_waitcnt vmcnt(0) lgkmcnt(0)
	v_mul_f32_e32 v8, v71, v67
	v_mul_f32_e32 v73, v71, v66
	;; [unrolled: 1-line block ×4, first 2 shown]
	v_fma_f32 v72, v70, v66, -v8
	v_fmac_f32_e32 v73, v70, v67
	v_mul_f32_e32 v75, v71, v63
	v_mul_f32_e32 v89, v71, v62
	v_fma_f32 v86, v70, v64, -v74
	v_fmac_f32_e32 v87, v70, v65
	ds_write_b64 v82, v[72:73]
	v_mul_f32_e32 v85, v71, v59
	v_mul_f32_e32 v91, v70, v59
	v_fma_f32 v88, v70, v62, -v75
	v_fmac_f32_e32 v89, v70, v63
	ds_read_b64 v[74:75], v81 offset:392
	ds_write_b64 v82, v[86:87] offset:536
	v_fma_f32 v90, v70, v58, -v85
	v_fmac_f32_e32 v91, v71, v58
	ds_read_b64 v[72:73], v81 offset:400
	ds_write_b64 v82, v[88:89] offset:1072
	ds_read_b64 v[70:71], v81 offset:408
	ds_write_b64 v82, v[90:91] offset:1608
	s_waitcnt lgkmcnt(0)
	s_barrier
	ds_read2_b64 v[86:89], v80 offset1:1
	ds_read2_b64 v[90:93], v80 offset0:2 offset1:3
	s_waitcnt lgkmcnt(0)
	s_barrier
	v_pk_add_f32 v[86:87], v[86:87], 0 op_sel_hi:[1,0]
	ds_write2_b64 v83, v[102:103], v[104:105] offset1:16
	v_pk_add_f32 v[86:87], v[86:87], v[88:89]
	s_nop 0
	v_pk_add_f32 v[86:87], v[86:87], v[90:91]
	s_nop 0
	v_pk_add_f32 v[86:87], v[86:87], v[92:93]
	ds_write2_b64 v83, v[94:95], v[86:87] offset0:32 offset1:48
	s_waitcnt lgkmcnt(0)
	s_barrier
	s_and_saveexec_b64 s[46:47], s[4:5]
	s_cbranch_execz .LBB184_96
; %bb.100:                              ;   in Loop: Header=BB184_97 Depth=1
	ds_read_b64 v[94:95], v78
	ds_read2_b64 v[86:89], v78 offset0:1 offset1:2
	ds_read2_b64 v[90:93], v78 offset0:3 offset1:4
	s_waitcnt lgkmcnt(1)
	v_add_f32_e32 v8, v86, v94
	v_add_f32_e32 v85, v87, v95
	;; [unrolled: 1-line block ×4, first 2 shown]
	ds_read2_b64 v[86:89], v78 offset0:5 offset1:6
	s_waitcnt lgkmcnt(1)
	v_add_f32_e32 v8, v8, v90
	v_add_f32_e32 v85, v85, v91
	;; [unrolled: 1-line block ×4, first 2 shown]
	ds_read2_b64 v[90:93], v78 offset0:7 offset1:8
	s_waitcnt lgkmcnt(1)
	v_pk_add_f32 v[86:87], v[94:95], v[86:87]
	ds_read2_b64 v[94:97], v78 offset0:9 offset1:10
	v_pk_add_f32 v[86:87], v[86:87], v[88:89]
	v_add_u32_e32 v8, s3, v84
	s_waitcnt lgkmcnt(1)
	v_pk_add_f32 v[86:87], v[86:87], v[90:91]
	v_lshl_add_u64 v[98:99], v[8:9], 3, s[6:7]
	v_pk_add_f32 v[90:91], v[86:87], v[92:93]
	ds_read2_b64 v[86:89], v78 offset0:11 offset1:12
	s_waitcnt lgkmcnt(1)
	v_pk_add_f32 v[94:95], v[90:91], v[94:95]
	ds_read2_b64 v[90:93], v78 offset0:13 offset1:14
	v_pk_add_f32 v[94:95], v[94:95], v[96:97]
	ds_read_b64 v[96:97], v79
	s_waitcnt lgkmcnt(2)
	v_pk_add_f32 v[86:87], v[94:95], v[86:87]
	s_nop 0
	v_pk_add_f32 v[86:87], v[86:87], v[88:89]
	s_waitcnt lgkmcnt(1)
	v_pk_add_f32 v[86:87], v[86:87], v[90:91]
	s_nop 0
	v_pk_add_f32 v[86:87], v[86:87], v[92:93]
	s_waitcnt lgkmcnt(0)
	v_pk_add_f32 v[86:87], v[86:87], v[96:97]
	global_store_dwordx2 v[98:99], v[86:87], off
	s_branch .LBB184_96
.LBB184_101:
	s_movk_i32 s2, 0x218
	s_or_b64 s[0:1], s[0:1], vcc
	v_mad_u32_u24 v0, v76, s2, v4
	s_xor_b64 s[0:1], s[0:1], -1
	ds_write_b64 v0, v[18:19]
	s_waitcnt lgkmcnt(0)
	s_barrier
	s_and_saveexec_b64 s[2:3], s[0:1]
	s_cbranch_execz .LBB184_103
; %bb.102:
	ds_read2_b64 v[0:3], v4 offset1:67
	ds_read2_b64 v[4:7], v4 offset0:134 offset1:201
	v_lshl_add_u64 v[8:9], v[16:17], 3, s[6:7]
	s_waitcnt lgkmcnt(1)
	v_pk_add_f32 v[0:1], v[2:3], v[0:1]
	s_waitcnt lgkmcnt(0)
	v_pk_add_f32 v[0:1], v[0:1], v[4:5]
	s_nop 0
	v_pk_add_f32 v[0:1], v[0:1], v[6:7]
	global_store_dwordx2 v[8:9], v[0:1], off
.LBB184_103:
	s_endpgm
	.section	.rodata,"a",@progbits
	.p2align	6, 0x0
	.amdhsa_kernel _ZL26rocblas_hemvn_kernel_lowerILb0ELi64ELi4ELi33ELi32ELi16ElPK19rocblas_complex_numIfEPKS3_PS1_EviT6_lT7_lT5_lS8_lS9_lS7_lT8_i
		.amdhsa_group_segment_fixed_size 9600
		.amdhsa_private_segment_fixed_size 0
		.amdhsa_kernarg_size 376
		.amdhsa_user_sgpr_count 2
		.amdhsa_user_sgpr_dispatch_ptr 0
		.amdhsa_user_sgpr_queue_ptr 0
		.amdhsa_user_sgpr_kernarg_segment_ptr 1
		.amdhsa_user_sgpr_dispatch_id 0
		.amdhsa_user_sgpr_kernarg_preload_length 0
		.amdhsa_user_sgpr_kernarg_preload_offset 0
		.amdhsa_user_sgpr_private_segment_size 0
		.amdhsa_uses_dynamic_stack 0
		.amdhsa_enable_private_segment 0
		.amdhsa_system_sgpr_workgroup_id_x 1
		.amdhsa_system_sgpr_workgroup_id_y 0
		.amdhsa_system_sgpr_workgroup_id_z 1
		.amdhsa_system_sgpr_workgroup_info 0
		.amdhsa_system_vgpr_workitem_id 1
		.amdhsa_next_free_vgpr 106
		.amdhsa_next_free_sgpr 50
		.amdhsa_accum_offset 108
		.amdhsa_reserve_vcc 1
		.amdhsa_float_round_mode_32 0
		.amdhsa_float_round_mode_16_64 0
		.amdhsa_float_denorm_mode_32 3
		.amdhsa_float_denorm_mode_16_64 3
		.amdhsa_dx10_clamp 1
		.amdhsa_ieee_mode 1
		.amdhsa_fp16_overflow 0
		.amdhsa_tg_split 0
		.amdhsa_exception_fp_ieee_invalid_op 0
		.amdhsa_exception_fp_denorm_src 0
		.amdhsa_exception_fp_ieee_div_zero 0
		.amdhsa_exception_fp_ieee_overflow 0
		.amdhsa_exception_fp_ieee_underflow 0
		.amdhsa_exception_fp_ieee_inexact 0
		.amdhsa_exception_int_div_zero 0
	.end_amdhsa_kernel
	.section	.text._ZL26rocblas_hemvn_kernel_lowerILb0ELi64ELi4ELi33ELi32ELi16ElPK19rocblas_complex_numIfEPKS3_PS1_EviT6_lT7_lT5_lS8_lS9_lS7_lT8_i,"axG",@progbits,_ZL26rocblas_hemvn_kernel_lowerILb0ELi64ELi4ELi33ELi32ELi16ElPK19rocblas_complex_numIfEPKS3_PS1_EviT6_lT7_lT5_lS8_lS9_lS7_lT8_i,comdat
.Lfunc_end184:
	.size	_ZL26rocblas_hemvn_kernel_lowerILb0ELi64ELi4ELi33ELi32ELi16ElPK19rocblas_complex_numIfEPKS3_PS1_EviT6_lT7_lT5_lS8_lS9_lS7_lT8_i, .Lfunc_end184-_ZL26rocblas_hemvn_kernel_lowerILb0ELi64ELi4ELi33ELi32ELi16ElPK19rocblas_complex_numIfEPKS3_PS1_EviT6_lT7_lT5_lS8_lS9_lS7_lT8_i
                                        ; -- End function
	.section	.AMDGPU.csdata,"",@progbits
; Kernel info:
; codeLenInByte = 7636
; NumSgprs: 56
; NumVgprs: 106
; NumAgprs: 0
; TotalNumVgprs: 106
; ScratchSize: 0
; MemoryBound: 1
; FloatMode: 240
; IeeeMode: 1
; LDSByteSize: 9600 bytes/workgroup (compile time only)
; SGPRBlocks: 6
; VGPRBlocks: 13
; NumSGPRsForWavesPerEU: 56
; NumVGPRsForWavesPerEU: 106
; AccumOffset: 108
; Occupancy: 4
; WaveLimiterHint : 1
; COMPUTE_PGM_RSRC2:SCRATCH_EN: 0
; COMPUTE_PGM_RSRC2:USER_SGPR: 2
; COMPUTE_PGM_RSRC2:TRAP_HANDLER: 0
; COMPUTE_PGM_RSRC2:TGID_X_EN: 1
; COMPUTE_PGM_RSRC2:TGID_Y_EN: 0
; COMPUTE_PGM_RSRC2:TGID_Z_EN: 1
; COMPUTE_PGM_RSRC2:TIDIG_COMP_CNT: 1
; COMPUTE_PGM_RSRC3_GFX90A:ACCUM_OFFSET: 26
; COMPUTE_PGM_RSRC3_GFX90A:TG_SPLIT: 0
	.section	.text._ZL26rocblas_hemvn_kernel_lowerILb0ELi64ELi4ELi33ELi32ELi16EiPK19rocblas_complex_numIfEPKS3_PS1_EviT6_lT7_lT5_lS8_lS9_lS7_lT8_i,"axG",@progbits,_ZL26rocblas_hemvn_kernel_lowerILb0ELi64ELi4ELi33ELi32ELi16EiPK19rocblas_complex_numIfEPKS3_PS1_EviT6_lT7_lT5_lS8_lS9_lS7_lT8_i,comdat
	.globl	_ZL26rocblas_hemvn_kernel_lowerILb0ELi64ELi4ELi33ELi32ELi16EiPK19rocblas_complex_numIfEPKS3_PS1_EviT6_lT7_lT5_lS8_lS9_lS7_lT8_i ; -- Begin function _ZL26rocblas_hemvn_kernel_lowerILb0ELi64ELi4ELi33ELi32ELi16EiPK19rocblas_complex_numIfEPKS3_PS1_EviT6_lT7_lT5_lS8_lS9_lS7_lT8_i
	.p2align	8
	.type	_ZL26rocblas_hemvn_kernel_lowerILb0ELi64ELi4ELi33ELi32ELi16EiPK19rocblas_complex_numIfEPKS3_PS1_EviT6_lT7_lT5_lS8_lS9_lS7_lT8_i,@function
_ZL26rocblas_hemvn_kernel_lowerILb0ELi64ELi4ELi33ELi32ELi16EiPK19rocblas_complex_numIfEPKS3_PS1_EviT6_lT7_lT5_lS8_lS9_lS7_lT8_i: ; @_ZL26rocblas_hemvn_kernel_lowerILb0ELi64ELi4ELi33ELi32ELi16EiPK19rocblas_complex_numIfEPKS3_PS1_EviT6_lT7_lT5_lS8_lS9_lS7_lT8_i
; %bb.0:
	s_load_dwordx2 s[4:5], s[0:1], 0x84
	s_add_u32 s12, s0, 0x78
	s_mov_b32 s20, s3
	s_addc_u32 s13, s1, 0
	s_waitcnt lgkmcnt(0)
	s_and_b32 s3, s5, 0xffff
	s_lshr_b32 s5, s4, 16
	s_and_b32 s4, s4, 0xffff
	s_mul_i32 s4, s5, s4
	s_mul_i32 s4, s4, s3
	s_cmpk_lg_i32 s4, 0x100
	s_cbranch_scc1 .LBB185_103
; %bb.1:
	s_load_dwordx8 s[4:11], s[0:1], 0x8
	s_mov_b32 s21, 0
	s_waitcnt lgkmcnt(0)
	s_mul_i32 s3, s20, s7
	s_mul_hi_u32 s7, s20, s6
	s_add_i32 s7, s7, s3
	s_mul_i32 s6, s20, s6
	s_lshl_b64 s[6:7], s[6:7], 3
	s_add_u32 s14, s4, s6
	s_addc_u32 s15, s5, s7
	s_load_dwordx2 s[16:17], s[14:15], 0x0
	s_load_dwordx2 s[22:23], s[0:1], 0x68
	s_load_dwordx4 s[4:7], s[0:1], 0x58
	s_waitcnt lgkmcnt(0)
	s_or_b32 s3, s16, s17
	s_bitset0_b32 s3, 31
	s_cmp_lg_u32 s3, 0
	s_cselect_b64 s[14:15], -1, 0
	s_and_b64 vcc, exec, s[14:15]
	s_cbranch_vccnz .LBB185_4
; %bb.2:
	s_mul_i32 s3, s20, s7
	s_mul_hi_u32 s7, s20, s6
	s_add_i32 s7, s7, s3
	s_mul_i32 s6, s20, s6
	s_lshl_b64 s[6:7], s[6:7], 3
	s_add_u32 s4, s4, s6
	s_addc_u32 s5, s5, s7
	s_load_dwordx2 s[4:5], s[4:5], 0x0
	s_mov_b64 s[16:17], 0
	s_waitcnt lgkmcnt(0)
	v_cmp_eq_f32_e64 s[6:7], s4, 1.0
	v_cmp_eq_f32_e64 s[4:5], s5, 0
	s_and_b64 s[4:5], s[6:7], s[4:5]
	s_andn2_b64 vcc, exec, s[4:5]
	s_mov_b64 s[4:5], 0
                                        ; implicit-def: $sgpr6_sgpr7
	s_cbranch_vccz .LBB185_5
; %bb.3:
	s_mov_b64 s[4:5], -1
	s_mov_b64 s[6:7], 0
	s_branch .LBB185_5
.LBB185_4:
	s_mov_b64 s[16:17], -1
	s_mov_b64 s[4:5], 0
                                        ; implicit-def: $sgpr6_sgpr7
.LBB185_5:
	s_and_b64 vcc, exec, s[16:17]
	s_cbranch_vccz .LBB185_7
; %bb.6:
	s_lshl_b64 s[4:5], s[20:21], 3
	s_add_u32 s4, s8, s4
	s_addc_u32 s5, s9, s5
	s_load_dwordx2 s[4:5], s[4:5], 0x0
	s_lshl_b64 s[6:7], s[10:11], 3
	s_waitcnt lgkmcnt(0)
	s_add_u32 s6, s4, s6
	s_addc_u32 s7, s5, s7
	s_mov_b64 s[4:5], -1
.LBB185_7:
	s_andn2_b64 vcc, exec, s[4:5]
	s_cbranch_vccnz .LBB185_103
; %bb.8:
	v_cndmask_b32_e64 v1, 0, 1, s[14:15]
	v_cmp_ne_u32_e64 s[4:5], 1, v1
	s_andn2_b64 vcc, exec, s[14:15]
	s_mov_b64 s[8:9], 0
	s_cbranch_vccnz .LBB185_10
; %bb.9:
	s_load_dwordx4 s[8:11], s[0:1], 0x38
	s_lshl_b64 s[14:15], s[20:21], 3
	s_waitcnt lgkmcnt(0)
	s_add_u32 s8, s8, s14
	s_addc_u32 s9, s9, s15
	s_load_dwordx2 s[8:9], s[8:9], 0x0
	s_lshl_b64 s[10:11], s[10:11], 3
	s_waitcnt lgkmcnt(0)
	s_add_u32 s8, s8, s10
	s_addc_u32 s9, s9, s11
.LBB185_10:
	s_and_b64 vcc, exec, s[4:5]
	s_cbranch_vccnz .LBB185_103
; %bb.11:
	s_load_dword s33, s[12:13], 0x0
	s_load_dword s21, s[0:1], 0x0
	;; [unrolled: 1-line block ×3, first 2 shown]
	v_and_b32_e32 v26, 0x3ff, v0
	s_lshl_b32 s28, s2, 6
	v_add_u32_e32 v16, s28, v26
	s_waitcnt lgkmcnt(0)
	s_ashr_i32 s40, s21, 31
	s_lshr_b32 s5, s40, 26
	s_add_i32 s5, s21, s5
	s_andn2_b32 s5, s5, 63
	v_bfe_u32 v17, v0, 10, 10
	s_add_i32 s4, s33, -1
	s_sub_i32 s5, s21, s5
	v_mul_lo_u32 v0, v16, s3
	s_cmp_eq_u32 s2, s4
	v_ashrrev_i32_e32 v1, 31, v0
	s_cselect_b32 s26, s5, 0
	v_lshl_add_u64 v[20:21], v[0:1], 3, s[8:9]
	v_cmp_ne_u32_e64 s[16:17], 0, v17
	v_cmp_eq_u32_e64 s[18:19], 0, v17
	s_and_saveexec_b64 s[4:5], s[18:19]
	s_cbranch_execz .LBB185_16
; %bb.12:
	s_cmp_lg_u32 s26, 0
	s_cselect_b64 s[8:9], -1, 0
	v_cmp_le_i32_e32 vcc, s26, v26
	v_mov_b32_e32 v0, 0x2380
	s_and_b64 s[8:9], s[8:9], vcc
	v_lshl_add_u32 v0, v26, 3, v0
	s_and_saveexec_b64 s[10:11], s[8:9]
	s_xor_b64 s[8:9], exec, s[10:11]
	s_cbranch_execz .LBB185_14
; %bb.13:
	v_mov_b32_e32 v2, 0
	v_mov_b32_e32 v3, v2
	ds_write_b64 v0, v[2:3]
                                        ; implicit-def: $vgpr0
.LBB185_14:
	s_andn2_saveexec_b64 s[8:9], s[8:9]
	s_cbranch_execz .LBB185_16
; %bb.15:
	flat_load_dwordx2 v[2:3], v[20:21]
	s_waitcnt vmcnt(0) lgkmcnt(0)
	ds_write_b64 v0, v[2:3]
.LBB185_16:
	s_or_b64 exec, exec, s[4:5]
	s_load_dword s24, s[0:1], 0x28
	s_ashr_i32 s29, s28, 31
	v_lshl_add_u32 v27, v17, 6, v26
	s_lshl_b64 s[0:1], s[28:29], 3
	v_and_b32_e32 v0, 31, v26
	v_lshrrev_b32_e32 v1, 5, v27
	s_add_u32 s4, s6, s0
	s_addc_u32 s5, s7, s1
	s_waitcnt lgkmcnt(0)
	v_mad_u64_u32 v[22:23], s[0:1], v1, s24, v[0:1]
	s_mul_i32 s0, s28, s24
	s_ashr_i32 s1, s0, 31
	s_lshl_b64 s[30:31], s[0:1], 3
	s_add_u32 s0, s30, s4
	s_addc_u32 s1, s31, s5
	s_cmp_lg_u32 s26, 0
	v_ashrrev_i32_e32 v23, 31, v22
	s_cselect_b64 s[34:35], -1, 0
	s_cmp_eq_u32 s26, 0
	v_lshl_add_u64 v[2:3], v[22:23], 3, s[0:1]
	s_cselect_b64 s[36:37], -1, 0
	s_and_b64 vcc, exec, s[34:35]
	s_cbranch_vccnz .LBB185_18
; %bb.17:
	flat_load_dwordx2 v[4:5], v[2:3]
	v_mul_u32_u24_e32 v6, 33, v1
	s_lshl_b32 s0, s24, 3
	v_add_lshl_u32 v8, v6, v0, 3
	s_ashr_i32 s1, s0, 31
	v_lshl_add_u64 v[6:7], s[0:1], 3, v[2:3]
	s_ashr_i32 s25, s24, 31
	s_lshl_b64 s[0:1], s[24:25], 6
	s_waitcnt vmcnt(0) lgkmcnt(0)
	ds_write_b64 v8, v[4:5]
	flat_load_dwordx2 v[4:5], v[6:7]
	v_lshl_add_u64 v[6:7], v[6:7], 0, s[0:1]
	s_waitcnt vmcnt(0) lgkmcnt(0)
	ds_write_b64 v8, v[4:5] offset:2112
	flat_load_dwordx2 v[4:5], v[6:7]
	v_lshl_add_u64 v[6:7], v[6:7], 0, s[0:1]
	s_waitcnt vmcnt(0) lgkmcnt(0)
	ds_write_b64 v8, v[4:5] offset:4224
	flat_load_dwordx2 v[4:5], v[6:7]
	s_waitcnt vmcnt(0) lgkmcnt(0)
	ds_write_b64 v8, v[4:5] offset:6336
	s_cbranch_execz .LBB185_19
	s_branch .LBB185_34
.LBB185_18:
.LBB185_19:
	v_lshlrev_b32_e32 v4, 3, v0
	v_sub_co_u32_e32 v6, vcc, v2, v4
	s_ashr_i32 s27, s26, 31
	s_nop 0
	v_subbrev_co_u32_e32 v7, vcc, 0, v3, vcc
	v_lshl_add_u64 v[6:7], s[26:27], 3, v[6:7]
	v_lshl_add_u64 v[6:7], v[6:7], 0, -8
	v_cmp_gt_i32_e32 vcc, s26, v0
	v_mov_b32_e32 v8, 0
	v_cmp_gt_i32_e64 s[0:1], s26, v1
	v_cndmask_b32_e32 v7, v7, v3, vcc
	v_cndmask_b32_e32 v6, v6, v2, vcc
	v_mov_b32_e32 v9, v8
	s_and_saveexec_b64 s[4:5], s[0:1]
	s_cbranch_execz .LBB185_21
; %bb.20:
	flat_load_dwordx2 v[8:9], v[6:7]
.LBB185_21:
	s_or_b64 exec, exec, s[4:5]
	v_mul_u32_u24_e32 v5, 33, v1
	v_add_lshl_u32 v5, v5, v0, 3
	s_waitcnt vmcnt(0) lgkmcnt(0)
	ds_write_b64 v5, v[8:9]
	v_add_u32_e32 v8, 8, v1
	v_cmp_le_i32_e64 s[0:1], s26, v8
	s_and_saveexec_b64 s[4:5], s[0:1]
	s_xor_b64 s[0:1], exec, s[4:5]
	s_cbranch_execz .LBB185_23
; %bb.22:
	v_mul_u32_u24_e32 v8, 33, v8
	v_add_lshl_u32 v10, v8, v0, 3
	v_mov_b32_e32 v8, 0
	v_mov_b32_e32 v9, v8
	ds_write_b64 v10, v[8:9]
.LBB185_23:
	s_andn2_saveexec_b64 s[0:1], s[0:1]
	s_cbranch_execz .LBB185_25
; %bb.24:
	s_lshl_b32 s4, s24, 3
	s_ashr_i32 s5, s4, 31
	v_lshl_add_u64 v[8:9], s[4:5], 3, v[6:7]
	flat_load_dwordx2 v[8:9], v[8:9]
	s_waitcnt vmcnt(0) lgkmcnt(0)
	ds_write_b64 v5, v[8:9] offset:2112
.LBB185_25:
	s_or_b64 exec, exec, s[0:1]
	v_add_u32_e32 v8, 16, v1
	v_cmp_le_i32_e64 s[0:1], s26, v8
	s_and_saveexec_b64 s[4:5], s[0:1]
	s_xor_b64 s[0:1], exec, s[4:5]
	s_cbranch_execz .LBB185_27
; %bb.26:
	v_mov_b32_e32 v8, 0
	v_mov_b32_e32 v9, v8
	ds_write_b64 v5, v[8:9] offset:4224
.LBB185_27:
	s_andn2_saveexec_b64 s[0:1], s[0:1]
	s_cbranch_execz .LBB185_29
; %bb.28:
	s_lshl_b32 s4, s24, 4
	s_ashr_i32 s5, s4, 31
	v_lshl_add_u64 v[8:9], s[4:5], 3, v[6:7]
	flat_load_dwordx2 v[8:9], v[8:9]
	s_waitcnt vmcnt(0) lgkmcnt(0)
	ds_write_b64 v5, v[8:9] offset:4224
.LBB185_29:
	s_or_b64 exec, exec, s[0:1]
	v_add_u32_e32 v8, 24, v1
	v_cmp_le_i32_e64 s[0:1], s26, v8
	s_and_saveexec_b64 s[4:5], s[0:1]
	s_xor_b64 s[0:1], exec, s[4:5]
	s_cbranch_execz .LBB185_31
; %bb.30:
	v_mov_b32_e32 v8, 0
	v_mov_b32_e32 v9, v8
	ds_write_b64 v5, v[8:9] offset:6336
                                        ; implicit-def: $vgpr5
.LBB185_31:
	s_andn2_saveexec_b64 s[0:1], s[0:1]
	s_cbranch_execz .LBB185_33
; %bb.32:
	s_mul_i32 s4, s24, 24
	s_ashr_i32 s5, s4, 31
	v_lshl_add_u64 v[8:9], s[4:5], 3, v[6:7]
	flat_load_dwordx2 v[8:9], v[8:9]
	s_waitcnt vmcnt(0) lgkmcnt(0)
	ds_write_b64 v5, v[8:9] offset:6336
.LBB185_33:
	s_or_b64 exec, exec, s[0:1]
	v_mov_b32_e32 v5, 0
	v_lshl_add_u64 v[4:5], v[6:7], 0, v[4:5]
	s_lshl_b64 s[0:1], s[26:27], 3
	v_mov_b32_e32 v6, s1
	v_subrev_co_u32_e64 v4, s[0:1], s0, v4
	s_nop 1
	v_subb_co_u32_e64 v5, s[0:1], v5, v6, s[0:1]
	v_lshl_add_u64 v[4:5], v[4:5], 0, 8
	v_cndmask_b32_e32 v3, v5, v3, vcc
	v_cndmask_b32_e32 v2, v4, v2, vcc
.LBB185_34:
	v_lshlrev_b32_e32 v4, 2, v1
	v_mul_u32_u24_e32 v28, 33, v0
	v_cmp_lt_u32_e64 s[6:7], v4, v0
	v_add_lshl_u32 v12, v4, v28, 3
	s_waitcnt lgkmcnt(0)
	s_barrier
	s_and_saveexec_b64 s[0:1], s[6:7]
	s_cbranch_execz .LBB185_36
; %bb.35:
	v_mul_u32_u24_e32 v5, 0x84, v1
	v_add_lshl_u32 v5, v5, v0, 3
	ds_read_b64 v[6:7], v5
	s_waitcnt lgkmcnt(0)
	ds_write_b64 v12, v[6:7]
.LBB185_36:
	s_or_b64 exec, exec, s[0:1]
	v_or_b32_e32 v5, 1, v4
	v_cmp_lt_u32_e64 s[8:9], v5, v0
	s_and_saveexec_b64 s[0:1], s[8:9]
	s_cbranch_execz .LBB185_38
; %bb.37:
	v_mul_u32_u24_e32 v5, 33, v5
	v_add_lshl_u32 v5, v5, v0, 3
	ds_read_b64 v[6:7], v5
	s_waitcnt lgkmcnt(0)
	ds_write_b64 v12, v[6:7] offset:8
.LBB185_38:
	s_or_b64 exec, exec, s[0:1]
	v_or_b32_e32 v5, 2, v4
	v_cmp_lt_u32_e64 s[10:11], v5, v0
	s_and_saveexec_b64 s[0:1], s[10:11]
	s_cbranch_execz .LBB185_40
; %bb.39:
	v_mul_u32_u24_e32 v5, 33, v5
	v_add_lshl_u32 v5, v5, v0, 3
	ds_read_b64 v[6:7], v5
	s_waitcnt lgkmcnt(0)
	ds_write_b64 v12, v[6:7] offset:16
.LBB185_40:
	s_or_b64 exec, exec, s[0:1]
	v_or_b32_e32 v5, 3, v4
	v_cmp_lt_u32_e64 s[12:13], v5, v0
	v_mad_u32_u24 v5, v5, 33, v0
	v_lshlrev_b32_e32 v8, 3, v5
	s_and_saveexec_b64 s[0:1], s[12:13]
	s_cbranch_execz .LBB185_42
; %bb.41:
	ds_read_b64 v[6:7], v8
	s_waitcnt lgkmcnt(0)
	ds_write_b64 v12, v[6:7] offset:24
.LBB185_42:
	s_or_b64 exec, exec, s[0:1]
	v_mul_u32_u24_e32 v5, 0x84, v1
	v_add_lshl_u32 v10, v5, v0, 3
	s_waitcnt lgkmcnt(0)
	s_barrier
	v_lshlrev_b32_e32 v11, 3, v4
	v_add_u32_e32 v9, 0xfffffdf0, v8
	ds_read_b64 v[14:15], v10
	ds_read_b128 v[4:7], v11 offset:9088
	ds_read2_b64 v[30:33], v9 offset1:33
	ds_read_b64 v[18:19], v8
	ds_read_b128 v[34:37], v11 offset:9104
	s_mov_b32 s0, 0
	s_mov_b32 s1, s0
	s_waitcnt lgkmcnt(3)
	v_pk_mul_f32 v[24:25], v[4:5], v[14:15] op_sel:[0,1]
	v_add_lshl_u32 v29, v1, v28, 3
	v_pk_fma_f32 v[38:39], v[4:5], v[14:15], v[24:25] op_sel:[0,0,1] op_sel_hi:[1,1,0] neg_lo:[0,0,1] neg_hi:[0,0,1]
	v_pk_fma_f32 v[4:5], v[4:5], v[14:15], v[24:25] op_sel:[0,0,1] op_sel_hi:[1,0,0]
	s_waitcnt lgkmcnt(2)
	v_pk_mul_f32 v[14:15], v[6:7], v[30:31] op_sel:[0,1]
	v_mov_b32_e32 v39, v5
	v_pk_fma_f32 v[24:25], v[6:7], v[30:31], v[14:15] op_sel:[0,0,1] op_sel_hi:[1,1,0] neg_lo:[0,0,1] neg_hi:[0,0,1]
	v_pk_fma_f32 v[6:7], v[6:7], v[30:31], v[14:15] op_sel:[0,0,1] op_sel_hi:[1,0,0]
	v_pk_add_f32 v[4:5], v[38:39], 0 op_sel_hi:[1,0]
	v_mov_b32_e32 v25, v7
	s_waitcnt lgkmcnt(0)
	v_pk_mul_f32 v[6:7], v[34:35], v[32:33] op_sel:[0,1]
	v_pk_add_f32 v[4:5], v[4:5], v[24:25]
	v_pk_fma_f32 v[14:15], v[34:35], v[32:33], v[6:7] op_sel:[0,0,1] op_sel_hi:[1,1,0] neg_lo:[0,0,1] neg_hi:[0,0,1]
	v_pk_fma_f32 v[6:7], v[34:35], v[32:33], v[6:7] op_sel:[0,0,1] op_sel_hi:[1,0,0]
	v_cmp_gt_u32_e64 s[4:5], 32, v27
	v_mov_b32_e32 v15, v7
	v_pk_mul_f32 v[6:7], v[36:37], v[18:19] op_sel:[0,1]
	v_pk_add_f32 v[4:5], v[4:5], v[14:15]
	v_pk_fma_f32 v[14:15], v[36:37], v[18:19], v[6:7] op_sel:[0,0,1] op_sel_hi:[1,1,0] neg_lo:[0,0,1] neg_hi:[0,0,1]
	v_pk_fma_f32 v[6:7], v[36:37], v[18:19], v[6:7] op_sel:[0,0,1] op_sel_hi:[1,0,0]
	v_mov_b64_e32 v[18:19], s[0:1]
	v_mov_b32_e32 v15, v7
	v_pk_add_f32 v[4:5], v[4:5], v[14:15]
	s_barrier
	ds_write_b64 v29, v[4:5]
	s_waitcnt lgkmcnt(0)
	s_barrier
	s_and_saveexec_b64 s[0:1], s[4:5]
	s_cbranch_execz .LBB185_44
; %bb.43:
	v_lshlrev_b32_e32 v13, 3, v28
	ds_read2_b64 v[4:7], v13 offset1:7
	ds_read2_b64 v[30:33], v13 offset0:1 offset1:2
	ds_read2_b64 v[34:37], v13 offset0:3 offset1:4
	s_waitcnt lgkmcnt(1)
	v_add_f32_e32 v4, v30, v4
	v_add_f32_e32 v5, v31, v5
	;; [unrolled: 1-line block ×4, first 2 shown]
	ds_read2_b64 v[30:33], v13 offset0:5 offset1:6
	s_waitcnt lgkmcnt(1)
	v_add_f32_e32 v4, v4, v34
	v_add_f32_e32 v5, v5, v35
	;; [unrolled: 1-line block ×4, first 2 shown]
	s_waitcnt lgkmcnt(0)
	v_add_f32_e32 v4, v4, v30
	v_add_f32_e32 v5, v5, v31
	;; [unrolled: 1-line block ×4, first 2 shown]
	v_pk_add_f32 v[18:19], v[4:5], v[6:7]
.LBB185_44:
	s_or_b64 exec, exec, s[0:1]
	s_lshl_b32 s38, s24, 5
	s_ashr_i32 s39, s38, 31
	v_lshl_add_u64 v[4:5], s[38:39], 3, v[2:3]
	s_mov_b64 s[0:1], 0x100
	v_cndmask_b32_e64 v2, 0, 1, s[36:37]
	v_cmp_ne_u32_e64 s[14:15], 1, v2
	s_andn2_b64 vcc, exec, s[36:37]
	v_lshl_add_u64 v[2:3], v[4:5], 0, s[0:1]
	s_barrier
	s_cbranch_vccnz .LBB185_46
; %bb.45:
	flat_load_dwordx2 v[6:7], v[4:5] offset:256
	v_mul_u32_u24_e32 v13, 33, v1
	s_lshl_b32 s0, s24, 3
	v_add_lshl_u32 v13, v13, v0, 3
	s_ashr_i32 s1, s0, 31
	v_lshl_add_u64 v[4:5], s[0:1], 3, v[4:5]
	s_ashr_i32 s25, s24, 31
	s_lshl_b64 s[0:1], s[24:25], 6
	s_waitcnt vmcnt(0) lgkmcnt(0)
	ds_write_b64 v13, v[6:7]
	flat_load_dwordx2 v[6:7], v[4:5] offset:256
	v_lshl_add_u64 v[4:5], v[4:5], 0, s[0:1]
	s_waitcnt vmcnt(0) lgkmcnt(0)
	ds_write_b64 v13, v[6:7] offset:2112
	flat_load_dwordx2 v[6:7], v[4:5] offset:256
	v_lshl_add_u64 v[4:5], v[4:5], 0, s[0:1]
	s_waitcnt vmcnt(0) lgkmcnt(0)
	ds_write_b64 v13, v[6:7] offset:4224
	flat_load_dwordx2 v[4:5], v[4:5] offset:256
	s_waitcnt vmcnt(0) lgkmcnt(0)
	ds_write_b64 v13, v[4:5] offset:6336
	s_cbranch_execz .LBB185_47
	s_branch .LBB185_62
.LBB185_46:
.LBB185_47:
	v_or_b32_e32 v6, 32, v0
	v_lshlrev_b32_e32 v4, 3, v6
	v_sub_co_u32_e32 v4, vcc, v2, v4
	s_ashr_i32 s27, s26, 31
	s_nop 0
	v_subbrev_co_u32_e32 v5, vcc, 0, v3, vcc
	v_lshl_add_u64 v[4:5], s[26:27], 3, v[4:5]
	v_lshl_add_u64 v[4:5], v[4:5], 0, -8
	v_cmp_gt_i32_e32 vcc, s26, v6
	s_sub_i32 s25, s26, 32
	v_mov_b32_e32 v6, 0
	v_cndmask_b32_e32 v5, v5, v3, vcc
	v_cndmask_b32_e32 v4, v4, v2, vcc
	v_cmp_gt_i32_e64 s[0:1], s25, v1
	v_mov_b32_e32 v7, v6
	s_and_saveexec_b64 s[36:37], s[0:1]
	s_cbranch_execz .LBB185_49
; %bb.48:
	flat_load_dwordx2 v[6:7], v[4:5]
.LBB185_49:
	s_or_b64 exec, exec, s[36:37]
	v_mul_u32_u24_e32 v13, 33, v1
	v_add_lshl_u32 v13, v13, v0, 3
	s_waitcnt vmcnt(0) lgkmcnt(0)
	ds_write_b64 v13, v[6:7]
	v_add_u32_e32 v6, 8, v1
	v_cmp_le_i32_e64 s[0:1], s25, v6
	s_and_saveexec_b64 s[36:37], s[0:1]
	s_xor_b64 s[0:1], exec, s[36:37]
	s_cbranch_execz .LBB185_51
; %bb.50:
	v_mul_u32_u24_e32 v6, 33, v6
	v_add_lshl_u32 v14, v6, v0, 3
	v_mov_b32_e32 v6, 0
	v_mov_b32_e32 v7, v6
	ds_write_b64 v14, v[6:7]
.LBB185_51:
	s_andn2_saveexec_b64 s[0:1], s[0:1]
	s_cbranch_execz .LBB185_53
; %bb.52:
	s_lshl_b32 s36, s24, 3
	s_ashr_i32 s37, s36, 31
	v_lshl_add_u64 v[6:7], s[36:37], 3, v[4:5]
	flat_load_dwordx2 v[6:7], v[6:7]
	s_waitcnt vmcnt(0) lgkmcnt(0)
	ds_write_b64 v13, v[6:7] offset:2112
.LBB185_53:
	s_or_b64 exec, exec, s[0:1]
	v_add_u32_e32 v6, 16, v1
	v_cmp_le_i32_e64 s[0:1], s25, v6
	s_and_saveexec_b64 s[36:37], s[0:1]
	s_xor_b64 s[0:1], exec, s[36:37]
	s_cbranch_execz .LBB185_55
; %bb.54:
	v_mul_u32_u24_e32 v6, 33, v6
	v_add_lshl_u32 v14, v6, v0, 3
	v_mov_b32_e32 v6, 0
	v_mov_b32_e32 v7, v6
	ds_write_b64 v14, v[6:7]
.LBB185_55:
	s_andn2_saveexec_b64 s[0:1], s[0:1]
	s_cbranch_execz .LBB185_57
; %bb.56:
	s_lshl_b32 s36, s24, 4
	s_ashr_i32 s37, s36, 31
	v_lshl_add_u64 v[6:7], s[36:37], 3, v[4:5]
	flat_load_dwordx2 v[6:7], v[6:7]
	s_waitcnt vmcnt(0) lgkmcnt(0)
	ds_write_b64 v13, v[6:7] offset:4224
.LBB185_57:
	s_or_b64 exec, exec, s[0:1]
	v_add_u32_e32 v6, 24, v1
	v_cmp_le_i32_e64 s[0:1], s25, v6
	s_and_saveexec_b64 s[36:37], s[0:1]
	s_xor_b64 s[0:1], exec, s[36:37]
	s_cbranch_execz .LBB185_59
; %bb.58:
	v_mov_b32_e32 v6, 0
	v_mov_b32_e32 v7, v6
	ds_write_b64 v13, v[6:7] offset:6336
                                        ; implicit-def: $vgpr13
.LBB185_59:
	s_andn2_saveexec_b64 s[0:1], s[0:1]
	s_cbranch_execz .LBB185_61
; %bb.60:
	s_mul_i32 s36, s24, 24
	s_ashr_i32 s37, s36, 31
	v_lshl_add_u64 v[6:7], s[36:37], 3, v[4:5]
	flat_load_dwordx2 v[6:7], v[6:7]
	s_waitcnt vmcnt(0) lgkmcnt(0)
	ds_write_b64 v13, v[6:7] offset:6336
.LBB185_61:
	s_or_b64 exec, exec, s[0:1]
	v_lshlrev_b32_e32 v6, 3, v0
	v_mov_b32_e32 v7, 0
	v_lshl_add_u64 v[4:5], v[4:5], 0, v[6:7]
	s_lshl_b64 s[0:1], s[26:27], 3
	v_mov_b32_e32 v6, s1
	v_subrev_co_u32_e64 v4, s[0:1], s0, v4
	s_nop 1
	v_subb_co_u32_e64 v5, s[0:1], v5, v6, s[0:1]
	s_mov_b64 s[0:1], 0x108
	s_nop 0
	v_lshl_add_u64 v[4:5], v[4:5], 0, s[0:1]
	v_cndmask_b32_e32 v3, v5, v3, vcc
	v_cndmask_b32_e32 v2, v4, v2, vcc
.LBB185_62:
	v_add_u32_e32 v6, 0x2380, v11
	s_waitcnt lgkmcnt(0)
	s_barrier
	s_and_saveexec_b64 s[0:1], s[6:7]
	s_cbranch_execnz .LBB185_71
; %bb.63:
	s_or_b64 exec, exec, s[0:1]
	s_and_saveexec_b64 s[0:1], s[8:9]
	s_cbranch_execnz .LBB185_72
.LBB185_64:
	s_or_b64 exec, exec, s[0:1]
	s_and_saveexec_b64 s[0:1], s[10:11]
	s_cbranch_execnz .LBB185_73
.LBB185_65:
	s_or_b64 exec, exec, s[0:1]
	s_and_saveexec_b64 s[0:1], s[12:13]
	s_cbranch_execz .LBB185_67
.LBB185_66:
	ds_read_b64 v[4:5], v8
	s_waitcnt lgkmcnt(0)
	ds_write_b64 v12, v[4:5] offset:24
.LBB185_67:
	s_or_b64 exec, exec, s[0:1]
	s_waitcnt lgkmcnt(0)
	s_barrier
	ds_read_b64 v[4:5], v10
	ds_read_b128 v[30:33], v6 offset:256
	ds_read2_b64 v[34:37], v9 offset1:33
	ds_read_b64 v[14:15], v8
	ds_read_b128 v[8:11], v6 offset:272
	v_cmp_eq_u32_e64 s[6:7], 1, v1
	s_waitcnt lgkmcnt(3)
	v_pk_mul_f32 v[24:25], v[30:31], v[4:5] op_sel:[0,1]
	s_waitcnt lgkmcnt(0)
	v_pk_fma_f32 v[38:39], v[30:31], v[4:5], v[24:25] op_sel:[0,0,1] op_sel_hi:[1,1,0] neg_lo:[0,0,1] neg_hi:[0,0,1]
	v_pk_fma_f32 v[4:5], v[30:31], v[4:5], v[24:25] op_sel:[0,0,1] op_sel_hi:[1,0,0]
	v_pk_mul_f32 v[24:25], v[32:33], v[34:35] op_sel:[0,1]
	v_mov_b32_e32 v39, v5
	v_pk_fma_f32 v[30:31], v[32:33], v[34:35], v[24:25] op_sel:[0,0,1] op_sel_hi:[1,1,0] neg_lo:[0,0,1] neg_hi:[0,0,1]
	v_pk_fma_f32 v[24:25], v[32:33], v[34:35], v[24:25] op_sel:[0,0,1] op_sel_hi:[1,0,0]
	v_pk_add_f32 v[4:5], v[38:39], 0 op_sel_hi:[1,0]
	v_mov_b32_e32 v31, v25
	v_pk_mul_f32 v[24:25], v[8:9], v[36:37] op_sel:[0,1]
	v_pk_add_f32 v[4:5], v[4:5], v[30:31]
	v_pk_fma_f32 v[30:31], v[8:9], v[36:37], v[24:25] op_sel:[0,0,1] op_sel_hi:[1,1,0] neg_lo:[0,0,1] neg_hi:[0,0,1]
	v_pk_fma_f32 v[8:9], v[8:9], v[36:37], v[24:25] op_sel:[0,0,1] op_sel_hi:[1,0,0]
	s_barrier
	v_mov_b32_e32 v31, v9
	v_pk_mul_f32 v[8:9], v[10:11], v[14:15] op_sel:[0,1]
	v_pk_add_f32 v[4:5], v[4:5], v[30:31]
	v_pk_fma_f32 v[24:25], v[10:11], v[14:15], v[8:9] op_sel:[0,0,1] op_sel_hi:[1,1,0] neg_lo:[0,0,1] neg_hi:[0,0,1]
	v_pk_fma_f32 v[8:9], v[10:11], v[14:15], v[8:9] op_sel:[0,0,1] op_sel_hi:[1,0,0]
	s_nop 0
	v_mov_b32_e32 v25, v9
	v_pk_add_f32 v[4:5], v[4:5], v[24:25]
	ds_write_b64 v29, v[4:5]
	s_waitcnt lgkmcnt(0)
	s_barrier
	s_and_saveexec_b64 s[0:1], s[6:7]
	s_cbranch_execz .LBB185_69
; %bb.68:
	v_lshlrev_b32_e32 v4, 3, v28
	ds_read2_b64 v[8:11], v4 offset1:7
	ds_read2_b64 v[30:33], v4 offset0:1 offset1:2
	ds_read2_b64 v[34:37], v4 offset0:3 offset1:4
	s_waitcnt lgkmcnt(1)
	v_add_f32_e32 v5, v30, v8
	v_add_f32_e32 v7, v31, v9
	;; [unrolled: 1-line block ×4, first 2 shown]
	ds_read2_b64 v[30:33], v4 offset0:5 offset1:6
	s_waitcnt lgkmcnt(1)
	v_add_f32_e32 v4, v5, v34
	v_add_f32_e32 v5, v7, v35
	v_add_f32_e32 v4, v4, v36
	v_add_f32_e32 v5, v5, v37
	s_waitcnt lgkmcnt(0)
	v_add_f32_e32 v4, v4, v30
	v_add_f32_e32 v5, v5, v31
	v_pk_add_f32 v[4:5], v[4:5], v[32:33]
	s_nop 0
	v_pk_add_f32 v[18:19], v[4:5], v[10:11]
.LBB185_69:
	s_or_b64 exec, exec, s[0:1]
	s_lshl_b64 s[0:1], s[38:39], 3
	v_mov_b32_e32 v4, s1
	v_subrev_co_u32_e64 v24, s[0:1], s0, v2
	s_and_b64 vcc, exec, s[14:15]
	s_nop 0
	v_subb_co_u32_e64 v25, s[0:1], v3, v4, s[0:1]
	s_barrier
	s_cbranch_vccnz .LBB185_74
; %bb.70:
	flat_load_dwordx2 v[2:3], v[24:25]
	v_mad_u32_u24 v7, v1, 33, v0
	s_lshl_b32 s0, s24, 3
	v_lshlrev_b32_e32 v13, 3, v7
	s_ashr_i32 s1, s0, 31
	v_lshl_add_u64 v[4:5], s[0:1], 3, v[24:25]
	s_ashr_i32 s25, s24, 31
	s_lshl_b64 s[0:1], s[24:25], 6
	v_add_u32_e32 v8, 24, v1
	v_add_u32_e32 v9, 0x318, v7
	s_waitcnt vmcnt(0) lgkmcnt(0)
	ds_write_b64 v13, v[2:3]
	flat_load_dwordx2 v[2:3], v[4:5]
	v_lshl_add_u64 v[4:5], v[4:5], 0, s[0:1]
	s_waitcnt vmcnt(0) lgkmcnt(0)
	ds_write_b64 v13, v[2:3] offset:2112
	flat_load_dwordx2 v[2:3], v[4:5]
	v_lshl_add_u64 v[4:5], v[4:5], 0, s[0:1]
	s_waitcnt vmcnt(0) lgkmcnt(0)
	ds_write_b64 v13, v[2:3] offset:4224
	flat_load_dwordx2 v[10:11], v[4:5]
	v_add_u32_e32 v4, 8, v1
	v_add_u32_e32 v5, 16, v1
	;; [unrolled: 1-line block ×4, first 2 shown]
	s_waitcnt vmcnt(0) lgkmcnt(0)
	ds_write_b64 v13, v[10:11] offset:6336
	s_cbranch_execz .LBB185_75
	s_branch .LBB185_90
.LBB185_71:
	ds_read_b64 v[4:5], v10
	s_waitcnt lgkmcnt(0)
	ds_write_b64 v12, v[4:5]
	s_or_b64 exec, exec, s[0:1]
	s_and_saveexec_b64 s[0:1], s[8:9]
	s_cbranch_execz .LBB185_64
.LBB185_72:
	ds_read_b64 v[4:5], v9
	s_waitcnt lgkmcnt(0)
	ds_write_b64 v12, v[4:5] offset:8
	s_or_b64 exec, exec, s[0:1]
	s_and_saveexec_b64 s[0:1], s[10:11]
	s_cbranch_execz .LBB185_65
.LBB185_73:
	ds_read_b64 v[4:5], v9 offset:264
	s_waitcnt lgkmcnt(0)
	ds_write_b64 v12, v[4:5] offset:16
	s_or_b64 exec, exec, s[0:1]
	s_and_saveexec_b64 s[0:1], s[12:13]
	s_cbranch_execnz .LBB185_66
	s_branch .LBB185_67
.LBB185_74:
                                        ; implicit-def: $vgpr7
                                        ; implicit-def: $vgpr4
                                        ; implicit-def: $vgpr2
                                        ; implicit-def: $vgpr5
                                        ; implicit-def: $vgpr3
                                        ; implicit-def: $vgpr8
                                        ; implicit-def: $vgpr9
.LBB185_75:
	v_or_b32_e32 v4, 32, v0
	v_lshlrev_b32_e32 v2, 3, v4
	v_sub_co_u32_e32 v2, vcc, v24, v2
	s_ashr_i32 s27, s26, 31
	s_nop 0
	v_subbrev_co_u32_e32 v3, vcc, 0, v25, vcc
	v_lshl_add_u64 v[2:3], s[26:27], 3, v[2:3]
	v_lshl_add_u64 v[2:3], v[2:3], 0, -8
	v_cmp_gt_i32_e32 vcc, s26, v4
	v_mov_b32_e32 v4, 0
	v_cmp_gt_i32_e64 s[0:1], s26, v1
	v_cndmask_b32_e32 v3, v3, v25, vcc
	v_cndmask_b32_e32 v2, v2, v24, vcc
	v_mov_b32_e32 v5, v4
	s_and_saveexec_b64 s[8:9], s[0:1]
	s_cbranch_execz .LBB185_77
; %bb.76:
	flat_load_dwordx2 v[4:5], v[2:3]
.LBB185_77:
	s_or_b64 exec, exec, s[8:9]
	v_mad_u32_u24 v7, v1, 33, v0
	v_lshlrev_b32_e32 v10, 3, v7
	s_waitcnt vmcnt(0) lgkmcnt(0)
	ds_write_b64 v10, v[4:5]
	v_add_u32_e32 v4, 8, v1
	v_cmp_le_i32_e64 s[0:1], s26, v4
	s_and_saveexec_b64 s[8:9], s[0:1]
	s_xor_b64 s[0:1], exec, s[8:9]
	s_cbranch_execz .LBB185_79
; %bb.78:
	v_mul_u32_u24_e32 v5, 33, v4
	v_mov_b32_e32 v8, 0
	v_add_lshl_u32 v5, v5, v0, 3
	v_mov_b32_e32 v9, v8
	ds_write_b64 v5, v[8:9]
.LBB185_79:
	s_andn2_saveexec_b64 s[0:1], s[0:1]
	s_cbranch_execz .LBB185_81
; %bb.80:
	s_lshl_b32 s8, s24, 3
	s_ashr_i32 s9, s8, 31
	v_lshl_add_u64 v[8:9], s[8:9], 3, v[2:3]
	flat_load_dwordx2 v[8:9], v[8:9]
	s_waitcnt vmcnt(0) lgkmcnt(0)
	ds_write_b64 v10, v[8:9] offset:2112
.LBB185_81:
	s_or_b64 exec, exec, s[0:1]
	v_add_u32_e32 v5, 16, v1
	v_cmp_le_i32_e64 s[0:1], s26, v5
	s_and_saveexec_b64 s[8:9], s[0:1]
	s_xor_b64 s[0:1], exec, s[8:9]
	s_cbranch_execz .LBB185_83
; %bb.82:
	v_mul_u32_u24_e32 v8, 33, v5
	v_add_lshl_u32 v11, v8, v0, 3
	v_mov_b32_e32 v8, 0
	v_mov_b32_e32 v9, v8
	ds_write_b64 v11, v[8:9]
.LBB185_83:
	s_andn2_saveexec_b64 s[0:1], s[0:1]
	s_cbranch_execz .LBB185_85
; %bb.84:
	s_lshl_b32 s8, s24, 4
	s_ashr_i32 s9, s8, 31
	v_lshl_add_u64 v[8:9], s[8:9], 3, v[2:3]
	flat_load_dwordx2 v[8:9], v[8:9]
	s_waitcnt vmcnt(0) lgkmcnt(0)
	ds_write_b64 v10, v[8:9] offset:4224
.LBB185_85:
	s_or_b64 exec, exec, s[0:1]
	v_add_u32_e32 v8, 24, v1
	v_cmp_le_i32_e64 s[0:1], s26, v8
                                        ; implicit-def: $vgpr9
	s_and_saveexec_b64 s[8:9], s[0:1]
	s_xor_b64 s[0:1], exec, s[8:9]
	s_cbranch_execz .LBB185_87
; %bb.86:
	v_mad_u32_u24 v9, v8, 33, v0
	v_mov_b32_e32 v10, 0
	v_lshlrev_b32_e32 v13, 3, v9
	v_mov_b32_e32 v11, v10
	ds_write_b64 v13, v[10:11]
                                        ; implicit-def: $vgpr10
.LBB185_87:
	s_andn2_saveexec_b64 s[0:1], s[0:1]
	s_cbranch_execz .LBB185_89
; %bb.88:
	s_mul_i32 s8, s24, 24
	s_ashr_i32 s9, s8, 31
	v_lshl_add_u64 v[14:15], s[8:9], 3, v[2:3]
	flat_load_dwordx2 v[14:15], v[14:15]
	v_add_u32_e32 v9, 0x318, v7
	s_waitcnt vmcnt(0) lgkmcnt(0)
	ds_write_b64 v10, v[14:15] offset:6336
.LBB185_89:
	s_or_b64 exec, exec, s[0:1]
	v_lshlrev_b32_e32 v10, 3, v0
	v_mov_b32_e32 v11, 0
	v_lshl_add_u64 v[2:3], v[2:3], 0, v[10:11]
	s_lshl_b64 s[0:1], s[26:27], 3
	v_mov_b32_e32 v0, s1
	v_subrev_co_u32_e64 v2, s[0:1], s0, v2
	s_nop 1
	v_subb_co_u32_e64 v3, s[0:1], v3, v0, s[0:1]
	s_mov_b64 s[0:1], 0x108
	s_nop 0
	v_lshl_add_u64 v[2:3], v[2:3], 0, s[0:1]
	v_cndmask_b32_e32 v25, v3, v25, vcc
	v_cndmask_b32_e32 v24, v2, v24, vcc
	v_add_u32_e32 v2, 0x108, v7
	v_add_u32_e32 v3, 0x210, v7
.LBB185_90:
	v_lshlrev_b32_e32 v0, 3, v7
	s_waitcnt lgkmcnt(0)
	s_barrier
	ds_read_b64 v[30:31], v0
	v_lshlrev_b32_e32 v7, 3, v1
	v_lshlrev_b32_e32 v13, 3, v2
	;; [unrolled: 1-line block ×7, first 2 shown]
	ds_read_b64 v[32:33], v0
	ds_read2_b64 v[8:11], v12 offset1:1
	ds_read2_b64 v[0:3], v12 offset0:2 offset1:3
	ds_read_b64 v[34:35], v4 offset:9088
	ds_read_b64 v[36:37], v13
	ds_read_b64 v[38:39], v7 offset:9088
	ds_read_b128 v[12:15], v6 offset:256
	ds_read_b128 v[4:7], v6 offset:272
	ds_read_b64 v[40:41], v40 offset:9088
	ds_read_b64 v[42:43], v42
	ds_read_b64 v[44:45], v44 offset:9088
	s_waitcnt lgkmcnt(5)
	v_pk_mul_f32 v[46:47], v[38:39], v[30:31] op_sel:[0,1]
	s_waitcnt lgkmcnt(0)
	v_pk_fma_f32 v[48:49], v[38:39], v[30:31], v[46:47] op_sel:[0,0,1] op_sel_hi:[1,1,0] neg_lo:[0,0,1] neg_hi:[0,0,1]
	v_pk_fma_f32 v[30:31], v[38:39], v[30:31], v[46:47] op_sel:[0,0,1] op_sel_hi:[1,0,0]
	v_pk_mul_f32 v[38:39], v[34:35], v[36:37] op_sel:[0,1]
	v_mov_b32_e32 v49, v31
	v_pk_fma_f32 v[46:47], v[34:35], v[36:37], v[38:39] op_sel:[0,0,1] op_sel_hi:[1,1,0] neg_lo:[0,0,1] neg_hi:[0,0,1]
	v_pk_fma_f32 v[34:35], v[34:35], v[36:37], v[38:39] op_sel:[0,0,1] op_sel_hi:[1,0,0]
	v_pk_add_f32 v[30:31], v[48:49], 0 op_sel_hi:[1,0]
	v_mov_b32_e32 v47, v35
	v_pk_mul_f32 v[34:35], v[44:45], v[32:33] op_sel:[0,1]
	v_pk_add_f32 v[30:31], v[30:31], v[46:47]
	v_pk_fma_f32 v[36:37], v[44:45], v[32:33], v[34:35] op_sel:[0,0,1] op_sel_hi:[1,1,0] neg_lo:[0,0,1] neg_hi:[0,0,1]
	v_pk_fma_f32 v[32:33], v[44:45], v[32:33], v[34:35] op_sel:[0,0,1] op_sel_hi:[1,0,0]
	s_barrier
	v_mov_b32_e32 v37, v33
	v_pk_mul_f32 v[32:33], v[40:41], v[42:43] op_sel:[0,1]
	v_pk_add_f32 v[30:31], v[30:31], v[36:37]
	v_pk_fma_f32 v[34:35], v[40:41], v[42:43], v[32:33] op_sel:[0,0,1] op_sel_hi:[1,1,0] neg_lo:[0,0,1] neg_hi:[0,0,1]
	v_pk_fma_f32 v[32:33], v[40:41], v[42:43], v[32:33] op_sel:[0,0,1] op_sel_hi:[1,0,0]
	s_nop 0
	v_mov_b32_e32 v35, v33
	v_pk_add_f32 v[30:31], v[30:31], v[34:35]
	ds_write_b64 v29, v[30:31]
	s_waitcnt lgkmcnt(0)
	s_barrier
	s_and_saveexec_b64 s[0:1], s[6:7]
	s_cbranch_execz .LBB185_92
; %bb.91:
	v_lshlrev_b32_e32 v42, 3, v28
	ds_read2_b64 v[30:33], v42 offset1:1
	ds_read2_b64 v[34:37], v42 offset0:2 offset1:3
	ds_read2_b64 v[38:41], v42 offset0:4 offset1:5
	s_waitcnt lgkmcnt(2)
	v_pk_add_f32 v[18:19], v[18:19], v[30:31]
	s_nop 0
	v_pk_add_f32 v[18:19], v[18:19], v[32:33]
	ds_read2_b64 v[30:33], v42 offset0:6 offset1:7
	s_waitcnt lgkmcnt(2)
	v_pk_add_f32 v[18:19], v[18:19], v[34:35]
	s_nop 0
	v_pk_add_f32 v[18:19], v[18:19], v[36:37]
	s_waitcnt lgkmcnt(1)
	v_pk_add_f32 v[18:19], v[18:19], v[38:39]
	s_nop 0
	v_pk_add_f32 v[18:19], v[18:19], v[40:41]
	;; [unrolled: 4-line block ×3, first 2 shown]
.LBB185_92:
	s_or_b64 exec, exec, s[0:1]
	v_pk_mul_f32 v[30:31], v[12:13], v[8:9] op_sel:[0,1]
	s_nop 0
	v_pk_fma_f32 v[32:33], v[12:13], v[8:9], v[30:31] op_sel:[0,0,1] op_sel_hi:[1,1,0] neg_lo:[0,0,1] neg_hi:[0,0,1]
	v_pk_fma_f32 v[8:9], v[12:13], v[8:9], v[30:31] op_sel:[0,0,1] op_sel_hi:[1,0,0]
	v_mov_b32_e32 v12, v11
	v_pk_mul_f32 v[12:13], v[14:15], v[12:13] op_sel_hi:[1,0]
	v_mov_b32_e32 v33, v9
	v_pk_fma_f32 v[30:31], v[14:15], v[10:11], v[12:13] op_sel:[0,0,1] op_sel_hi:[1,1,0] neg_lo:[0,0,1] neg_hi:[0,0,1]
	v_pk_fma_f32 v[10:11], v[14:15], v[10:11], v[12:13] op_sel:[0,0,1] op_sel_hi:[1,0,0]
	v_pk_add_f32 v[8:9], v[32:33], 0 op_sel_hi:[1,0]
	v_mov_b32_e32 v31, v11
	v_pk_mul_f32 v[10:11], v[4:5], v[0:1] op_sel:[0,1]
	v_pk_add_f32 v[8:9], v[8:9], v[30:31]
	v_pk_fma_f32 v[12:13], v[4:5], v[0:1], v[10:11] op_sel:[0,0,1] op_sel_hi:[1,1,0] neg_lo:[0,0,1] neg_hi:[0,0,1]
	v_pk_fma_f32 v[0:1], v[4:5], v[0:1], v[10:11] op_sel:[0,0,1] op_sel_hi:[1,0,0]
	v_mov_b32_e32 v4, v3
	v_mov_b32_e32 v13, v1
	v_pk_mul_f32 v[4:5], v[6:7], v[4:5] op_sel_hi:[1,0]
	v_pk_add_f32 v[0:1], v[8:9], v[12:13]
	v_pk_fma_f32 v[8:9], v[6:7], v[2:3], v[4:5] op_sel:[0,0,1] op_sel_hi:[1,1,0] neg_lo:[0,0,1] neg_hi:[0,0,1]
	v_pk_fma_f32 v[2:3], v[6:7], v[2:3], v[4:5] op_sel:[0,0,1] op_sel_hi:[1,0,0]
	s_barrier
	v_mov_b32_e32 v9, v3
	v_pk_add_f32 v[0:1], v[0:1], v[8:9]
	ds_write_b64 v29, v[0:1]
	s_waitcnt lgkmcnt(0)
	s_barrier
	s_and_saveexec_b64 s[0:1], s[4:5]
	s_cbranch_execz .LBB185_94
; %bb.93:
	v_lshlrev_b32_e32 v14, 3, v28
	ds_read2_b64 v[0:3], v14 offset1:1
	ds_read2_b64 v[4:7], v14 offset0:2 offset1:3
	ds_read2_b64 v[8:11], v14 offset0:4 offset1:5
	s_waitcnt lgkmcnt(2)
	v_pk_add_f32 v[0:1], v[18:19], v[0:1]
	s_nop 0
	v_pk_add_f32 v[12:13], v[0:1], v[2:3]
	ds_read2_b64 v[0:3], v14 offset0:6 offset1:7
	s_waitcnt lgkmcnt(2)
	v_pk_add_f32 v[4:5], v[12:13], v[4:5]
	s_nop 0
	v_pk_add_f32 v[4:5], v[4:5], v[6:7]
	s_waitcnt lgkmcnt(1)
	v_pk_add_f32 v[4:5], v[4:5], v[8:9]
	s_nop 0
	v_pk_add_f32 v[4:5], v[4:5], v[10:11]
	;; [unrolled: 4-line block ×3, first 2 shown]
.LBB185_94:
	s_or_b64 exec, exec, s[0:1]
	s_mul_hi_u32 s0, s21, s20
	s_mul_i32 s40, s40, s20
	s_add_i32 s0, s0, s40
	s_mul_i32 s4, s21, s20
	s_mul_i32 s0, s0, s33
	s_mul_hi_u32 s1, s4, s33
	s_add_i32 s1, s1, s0
	s_mul_i32 s0, s4, s33
	s_lshl_b64 s[0:1], s[0:1], 3
	s_add_u32 s4, s22, s0
	s_mul_i32 s0, s2, s21
	s_addc_u32 s5, s23, s1
	s_ashr_i32 s1, s0, 31
	s_lshl_b64 s[0:1], s[0:1], 3
	s_add_u32 s6, s4, s0
	v_cmp_le_i32_e32 vcc, s26, v26
	s_addc_u32 s7, s5, s1
	s_and_b64 vcc, s[34:35], vcc
	s_cmp_lt_i32 s2, 1
	v_lshlrev_b32_e32 v74, 3, v26
	s_barrier
	s_cbranch_scc1 .LBB185_101
; %bb.95:
	s_mul_i32 s0, s28, s3
	s_ashr_i32 s1, s0, 31
	s_lshl_b64 s[0:1], s[0:1], 3
	v_mov_b32_e32 v0, s1
	v_subrev_co_u32_e64 v4, s[0:1], s0, v20
	s_ashr_i32 s27, s26, 31
	s_nop 0
	v_subb_co_u32_e64 v5, s[0:1], v21, v0, s[0:1]
	v_mov_b32_e32 v0, s31
	v_subrev_co_u32_e64 v2, s[0:1], s30, v24
	v_and_b32_e32 v6, 15, v26
	s_nop 0
	v_subb_co_u32_e64 v3, s[0:1], v25, v0, s[0:1]
	v_lshlrev_b64 v[0:1], 3, v[22:23]
	v_sub_co_u32_e64 v0, s[0:1], v2, v0
	v_mul_lo_u32 v2, v17, s24
	s_nop 0
	v_subb_co_u32_e64 v1, s[0:1], v3, v1, s[0:1]
	v_lshl_add_u32 v2, v2, 2, v26
	v_ashrrev_i32_e32 v3, 31, v2
	s_movk_i32 s0, 0xff00
	v_lshl_add_u64 v[0:1], v[2:3], 3, v[0:1]
	s_mov_b32 s1, -1
	v_lshl_add_u64 v[0:1], v[0:1], 0, s[0:1]
	v_sub_co_u32_e64 v2, s[0:1], v0, v74
	v_lshrrev_b32_e32 v10, 4, v27
	s_nop 0
	v_subbrev_co_u32_e64 v3, s[0:1], 0, v1, s[0:1]
	v_lshl_add_u64 v[2:3], s[26:27], 3, v[2:3]
	v_lshl_add_u64 v[2:3], v[2:3], 0, -8
	v_cndmask_b32_e32 v8, v0, v2, vcc
	v_and_b32_e32 v0, 48, v26
	v_cndmask_b32_e32 v9, v1, v3, vcc
	v_lshlrev_b32_e32 v1, 3, v0
	s_movk_i32 s0, 0x218
	v_mad_u32_u24 v77, v6, s0, v1
	v_or_b32_e32 v1, 0x78, v74
	v_mad_u32_u24 v78, v6, s0, v1
	v_lshlrev_b32_e32 v1, 5, v10
	v_mad_u32_u24 v79, v6, s0, v1
	v_mov_b32_e32 v1, 0x2180
	s_ashr_i32 s25, s24, 31
	v_lshl_add_u32 v80, v17, 5, v1
	s_movk_i32 s1, 0x860
	v_lshlrev_b32_e32 v1, 3, v10
	v_mov_b32_e32 v7, 0
	s_lshl_b32 s3, s3, 6
	v_add_u32_e32 v75, 0x2180, v74
	v_add_u32_e32 v76, 0x2380, v74
	v_cmp_gt_u32_e64 s[4:5], 64, v27
	v_mad_u32_u24 v81, v17, s1, v74
	v_mad_u32_u24 v82, v6, s0, v1
	s_lshl_b64 s[0:1], s[24:25], 3
	s_lshl_b64 s[8:9], s[24:25], 4
	;; [unrolled: 1-line block ×3, first 2 shown]
	s_mul_hi_i32 s13, s24, 24
	s_mul_i32 s12, s24, 24
	s_lshl_b64 s[14:15], s[24:25], 7
	s_mul_hi_i32 s21, s24, 0x90
	s_mul_i32 s20, s24, 0x90
	s_mul_hi_i32 s23, s24, 0x98
	s_mul_i32 s22, s24, 0x98
	s_lshl_b64 s[26:27], s[24:25], 8
	s_mul_hi_i32 s29, s24, 0x110
	s_mul_i32 s28, s24, 0x110
	s_mul_hi_i32 s31, s24, 0x118
	s_mul_i32 s30, s24, 0x118
	;; [unrolled: 2-line block ×7, first 2 shown]
	s_mul_hi_i32 s25, s24, 0x88
	s_mulk_i32 s24, 0x88
	v_or_b32_e32 v6, v0, v6
	s_mov_b32 s44, 0
	s_branch .LBB185_97
.LBB185_96:                             ;   in Loop: Header=BB185_97 Depth=1
	s_or_b64 exec, exec, s[46:47]
	v_mul_f32_e32 v83, v23, v21
	v_fma_f32 v83, v22, v20, -v83
	v_mul_f32_e32 v20, v23, v20
	v_mul_f32_e32 v23, v29, v15
	v_add_f32_e32 v18, v18, v83
	v_fma_f32 v23, v28, v14, -v23
	v_add_f32_e32 v18, v18, v23
	v_mul_f32_e32 v23, v27, v13
	v_mul_f32_e32 v14, v29, v14
	v_fma_f32 v23, v26, v12, -v23
	v_fmac_f32_e32 v20, v22, v21
	v_mul_f32_e32 v12, v27, v12
	v_add_f32_e32 v18, v18, v23
	v_mul_f32_e32 v23, v25, v11
	v_add_f32_e32 v19, v19, v20
	v_fmac_f32_e32 v14, v28, v15
	v_fma_f32 v23, v24, v10, -v23
	v_mul_f32_e32 v10, v25, v10
	v_add_f32_e32 v14, v19, v14
	v_fmac_f32_e32 v12, v26, v13
	v_add_f32_e32 v12, v14, v12
	v_fmac_f32_e32 v10, v24, v11
	v_add_f32_e32 v11, v12, v10
	v_mul_f32_e32 v10, v39, v37
	v_add_f32_e32 v18, v18, v23
	v_fma_f32 v10, v38, v36, -v10
	v_mul_f32_e32 v19, v39, v36
	v_mul_f32_e32 v12, v53, v35
	v_add_f32_e32 v10, v18, v10
	v_fma_f32 v12, v52, v34, -v12
	v_mul_f32_e32 v18, v53, v34
	v_fmac_f32_e32 v19, v38, v37
	v_add_f32_e32 v10, v10, v12
	v_mul_f32_e32 v12, v47, v31
	v_mul_f32_e32 v13, v47, v30
	v_add_f32_e32 v11, v11, v19
	v_fmac_f32_e32 v18, v52, v35
	v_fma_f32 v12, v46, v30, -v12
	v_add_f32_e32 v11, v11, v18
	v_fmac_f32_e32 v13, v46, v31
	v_mul_f32_e32 v14, v49, v33
	v_mul_f32_e32 v15, v49, v32
	v_pk_add_f32 v[10:11], v[10:11], v[12:13]
	v_mov_b32_e32 v12, v51
	v_fma_f32 v14, v48, v32, -v14
	v_fmac_f32_e32 v15, v48, v33
	v_pk_mul_f32 v[12:13], v[54:55], v[12:13] op_sel_hi:[1,0]
	v_pk_add_f32 v[10:11], v[10:11], v[14:15]
	v_pk_fma_f32 v[14:15], v[54:55], v[50:51], v[12:13] op_sel:[0,0,1] op_sel_hi:[1,1,0] neg_lo:[0,0,1] neg_hi:[0,0,1]
	v_pk_fma_f32 v[12:13], v[54:55], v[50:51], v[12:13] op_sel:[0,0,1] op_sel_hi:[1,0,0]
	s_add_i32 s2, s2, -1
	v_mov_b32_e32 v12, v45
	v_mov_b32_e32 v15, v13
	v_pk_mul_f32 v[12:13], v[0:1], v[12:13] op_sel_hi:[1,0]
	v_pk_add_f32 v[10:11], v[10:11], v[14:15]
	v_pk_fma_f32 v[14:15], v[0:1], v[44:45], v[12:13] op_sel:[0,0,1] op_sel_hi:[1,1,0] neg_lo:[0,0,1] neg_hi:[0,0,1]
	v_pk_fma_f32 v[0:1], v[0:1], v[44:45], v[12:13] op_sel:[0,0,1] op_sel_hi:[1,0,0]
	s_add_i32 s44, s44, s3
	v_mov_b32_e32 v15, v1
	v_pk_add_f32 v[0:1], v[10:11], v[14:15]
	v_mov_b32_e32 v10, v43
	v_pk_mul_f32 v[10:11], v[2:3], v[10:11] op_sel_hi:[1,0]
	v_lshl_add_u64 v[8:9], v[8:9], 0, s[10:11]
	v_pk_fma_f32 v[12:13], v[2:3], v[42:43], v[10:11] op_sel:[0,0,1] op_sel_hi:[1,1,0] neg_lo:[0,0,1] neg_hi:[0,0,1]
	v_pk_fma_f32 v[2:3], v[2:3], v[42:43], v[10:11] op_sel:[0,0,1] op_sel_hi:[1,0,0]
	s_cmp_eq_u32 s2, 0
	v_mov_b32_e32 v2, v41
	v_mov_b32_e32 v13, v3
	v_pk_mul_f32 v[2:3], v[58:59], v[2:3] op_sel_hi:[1,0]
	v_pk_add_f32 v[0:1], v[0:1], v[12:13]
	v_pk_fma_f32 v[10:11], v[58:59], v[40:41], v[2:3] op_sel:[0,0,1] op_sel_hi:[1,1,0] neg_lo:[0,0,1] neg_hi:[0,0,1]
	v_pk_fma_f32 v[2:3], v[58:59], v[40:41], v[2:3] op_sel:[0,0,1] op_sel_hi:[1,0,0]
	v_add_u32_e32 v6, 64, v6
	v_mov_b32_e32 v2, v65
	v_mov_b32_e32 v11, v3
	v_pk_mul_f32 v[2:3], v[66:67], v[2:3] op_sel_hi:[1,0]
	v_pk_add_f32 v[0:1], v[0:1], v[10:11]
	v_pk_fma_f32 v[10:11], v[66:67], v[64:65], v[2:3] op_sel:[0,0,1] op_sel_hi:[1,1,0] neg_lo:[0,0,1] neg_hi:[0,0,1]
	v_pk_fma_f32 v[2:3], v[66:67], v[64:65], v[2:3] op_sel:[0,0,1] op_sel_hi:[1,0,0]
	s_nop 0
	v_mov_b32_e32 v2, v63
	v_mov_b32_e32 v11, v3
	v_pk_mul_f32 v[2:3], v[72:73], v[2:3] op_sel_hi:[1,0]
	v_pk_add_f32 v[0:1], v[0:1], v[10:11]
	v_pk_fma_f32 v[12:13], v[72:73], v[62:63], v[2:3] op_sel:[0,0,1] op_sel_hi:[1,1,0] neg_lo:[0,0,1] neg_hi:[0,0,1]
	v_pk_fma_f32 v[2:3], v[72:73], v[62:63], v[2:3] op_sel:[0,0,1] op_sel_hi:[1,0,0]
	s_barrier
	v_mov_b32_e32 v2, v61
	v_mov_b32_e32 v13, v3
	v_pk_mul_f32 v[2:3], v[70:71], v[2:3] op_sel_hi:[1,0]
	v_pk_add_f32 v[0:1], v[0:1], v[12:13]
	v_pk_fma_f32 v[14:15], v[70:71], v[60:61], v[2:3] op_sel:[0,0,1] op_sel_hi:[1,1,0] neg_lo:[0,0,1] neg_hi:[0,0,1]
	v_pk_fma_f32 v[2:3], v[70:71], v[60:61], v[2:3] op_sel:[0,0,1] op_sel_hi:[1,0,0]
	s_nop 0
	v_mov_b32_e32 v2, v57
	v_mov_b32_e32 v15, v3
	v_pk_mul_f32 v[2:3], v[68:69], v[2:3] op_sel_hi:[1,0]
	v_pk_add_f32 v[0:1], v[0:1], v[14:15]
	v_pk_fma_f32 v[18:19], v[68:69], v[56:57], v[2:3] op_sel:[0,0,1] op_sel_hi:[1,1,0] neg_lo:[0,0,1] neg_hi:[0,0,1]
	v_pk_fma_f32 v[2:3], v[68:69], v[56:57], v[2:3] op_sel:[0,0,1] op_sel_hi:[1,0,0]
	s_nop 0
	v_mov_b32_e32 v19, v3
	v_pk_add_f32 v[18:19], v[0:1], v[18:19]
	s_cbranch_scc1 .LBB185_101
.LBB185_97:                             ; =>This Inner Loop Header: Depth=1
	s_and_saveexec_b64 s[46:47], s[18:19]
	s_cbranch_execz .LBB185_99
; %bb.98:                               ;   in Loop: Header=BB185_97 Depth=1
	s_ashr_i32 s45, s44, 31
	v_lshl_add_u64 v[0:1], s[44:45], 3, v[4:5]
	flat_load_dwordx2 v[0:1], v[0:1]
	s_waitcnt vmcnt(0) lgkmcnt(0)
	ds_write_b64 v75, v[0:1]
.LBB185_99:                             ;   in Loop: Header=BB185_97 Depth=1
	s_or_b64 exec, exec, s[46:47]
	v_lshl_add_u64 v[0:1], v[8:9], 0, s[0:1]
	s_waitcnt lgkmcnt(0)
	s_barrier
	flat_load_dwordx2 v[20:21], v[8:9]
	flat_load_dwordx2 v[14:15], v[0:1]
	v_lshl_add_u64 v[0:1], v[8:9], 0, s[8:9]
	flat_load_dwordx2 v[12:13], v[0:1]
	v_lshl_add_u64 v[0:1], v[8:9], 0, s[12:13]
	flat_load_dwordx2 v[10:11], v[0:1]
	ds_read_b64 v[0:1], v76
	ds_read_b64 v[22:23], v80
	v_lshl_add_u64 v[2:3], v[8:9], 0, s[14:15]
	v_lshl_add_u64 v[56:57], v[8:9], 0, s[34:35]
	s_waitcnt vmcnt(0) lgkmcnt(0)
	v_mul_f32_e32 v24, v1, v21
	v_mul_f32_e32 v25, v1, v20
	v_fma_f32 v24, v0, v20, -v24
	v_fmac_f32_e32 v25, v0, v21
	v_mul_f32_e32 v26, v1, v15
	v_mul_f32_e32 v27, v1, v14
	v_mul_f32_e32 v28, v1, v13
	v_mul_f32_e32 v31, v1, v12
	v_mul_f32_e32 v29, v1, v11
	ds_write_b64 v81, v[24:25]
	v_fma_f32 v26, v0, v14, -v26
	v_fmac_f32_e32 v27, v0, v15
	v_mul_f32_e32 v33, v0, v11
	v_fma_f32 v30, v0, v12, -v28
	v_fmac_f32_e32 v31, v0, v13
	v_fma_f32 v32, v0, v10, -v29
	ds_read_b64 v[28:29], v80 offset:8
	ds_write_b64 v81, v[26:27] offset:536
	v_fmac_f32_e32 v33, v1, v10
	ds_read_b64 v[26:27], v80 offset:16
	ds_write_b64 v81, v[30:31] offset:1072
	ds_read_b64 v[24:25], v80 offset:24
	ds_write_b64 v81, v[32:33] offset:1608
	s_waitcnt lgkmcnt(0)
	s_barrier
	ds_read2_b64 v[66:69], v79 offset1:1
	ds_read2_b64 v[70:73], v79 offset0:2 offset1:3
	s_waitcnt lgkmcnt(0)
	s_barrier
	flat_load_dwordx2 v[36:37], v[2:3]
	v_lshl_add_u64 v[0:1], v[8:9], 0, s[24:25]
	flat_load_dwordx2 v[34:35], v[0:1]
	v_lshl_add_u64 v[0:1], v[8:9], 0, s[20:21]
	;; [unrolled: 2-line block ×3, first 2 shown]
	flat_load_dwordx2 v[32:33], v[0:1]
	ds_read_b64 v[0:1], v76
	ds_read_b64 v[38:39], v80 offset:128
	v_lshl_add_u64 v[2:3], v[8:9], 0, s[26:27]
	v_pk_add_f32 v[66:67], v[66:67], 0 op_sel_hi:[1,0]
	s_waitcnt vmcnt(0) lgkmcnt(0)
	v_mul_f32_e32 v40, v1, v37
	v_mul_f32_e32 v41, v1, v36
	;; [unrolled: 1-line block ×4, first 2 shown]
	v_fma_f32 v40, v0, v36, -v40
	v_fmac_f32_e32 v41, v0, v37
	v_mul_f32_e32 v44, v1, v31
	v_mul_f32_e32 v45, v1, v30
	v_fma_f32 v42, v0, v34, -v42
	v_fmac_f32_e32 v43, v0, v35
	ds_write_b64 v81, v[40:41]
	v_mul_f32_e32 v46, v1, v33
	v_mul_f32_e32 v51, v0, v33
	v_fma_f32 v44, v0, v30, -v44
	v_fmac_f32_e32 v45, v0, v31
	ds_read_b64 v[52:53], v80 offset:136
	ds_write_b64 v81, v[42:43] offset:536
	v_fma_f32 v50, v0, v32, -v46
	v_fmac_f32_e32 v51, v1, v32
	ds_read_b64 v[46:47], v80 offset:144
	ds_write_b64 v81, v[44:45] offset:1072
	v_lshl_add_u64 v[0:1], v[8:9], 0, s[42:43]
	ds_read_b64 v[48:49], v80 offset:152
	ds_write_b64 v81, v[50:51] offset:1608
	s_waitcnt lgkmcnt(0)
	s_barrier
	ds_read2_b64 v[84:87], v79 offset1:1
	ds_read2_b64 v[88:91], v79 offset0:2 offset1:3
	s_waitcnt lgkmcnt(0)
	s_barrier
	flat_load_dwordx2 v[50:51], v[2:3]
	flat_load_dwordx2 v[44:45], v[0:1]
	v_lshl_add_u64 v[0:1], v[8:9], 0, s[28:29]
	flat_load_dwordx2 v[42:43], v[0:1]
	v_lshl_add_u64 v[0:1], v[8:9], 0, s[30:31]
	flat_load_dwordx2 v[40:41], v[0:1]
	ds_read_b64 v[0:1], v76
	ds_read_b64 v[54:55], v80 offset:256
	v_pk_add_f32 v[66:67], v[66:67], v[68:69]
	s_waitcnt vmcnt(0) lgkmcnt(0)
	v_mul_f32_e32 v2, v1, v51
	v_mul_f32_e32 v3, v1, v50
	;; [unrolled: 1-line block ×8, first 2 shown]
	v_fma_f32 v2, v0, v50, -v2
	v_fmac_f32_e32 v3, v0, v51
	v_fma_f32 v58, v0, v44, -v58
	v_fmac_f32_e32 v59, v0, v45
	;; [unrolled: 2-line block ×4, first 2 shown]
	ds_write2_b64 v81, v[2:3], v[58:59] offset1:67
	ds_write2_b64 v81, v[60:61], v[62:63] offset0:134 offset1:201
	ds_read2_b64 v[0:3], v80 offset0:33 offset1:34
	ds_read_b64 v[58:59], v80 offset:280
	s_waitcnt lgkmcnt(0)
	s_barrier
	ds_read2_b64 v[92:95], v79 offset1:1
	ds_read2_b64 v[96:99], v79 offset0:2 offset1:3
	s_waitcnt lgkmcnt(0)
	s_barrier
	flat_load_dwordx2 v[64:65], v[56:57]
	v_lshl_add_u64 v[56:57], v[8:9], 0, s[40:41]
	flat_load_dwordx2 v[62:63], v[56:57]
	v_lshl_add_u64 v[56:57], v[8:9], 0, s[36:37]
	;; [unrolled: 2-line block ×3, first 2 shown]
	flat_load_dwordx2 v[56:57], v[56:57]
	v_pk_add_f32 v[66:67], v[66:67], v[70:71]
	v_pk_add_f32 v[70:71], v[92:93], 0 op_sel_hi:[1,0]
	v_pk_add_f32 v[100:101], v[66:67], v[72:73]
	v_pk_add_f32 v[66:67], v[84:85], 0 op_sel_hi:[1,0]
	v_pk_add_f32 v[70:71], v[70:71], v[94:95]
	v_pk_add_f32 v[66:67], v[66:67], v[86:87]
	;; [unrolled: 1-line block ×6, first 2 shown]
	ds_read_b64 v[68:69], v76
	ds_read_b64 v[66:67], v80 offset:384
	s_waitcnt vmcnt(0) lgkmcnt(0)
	v_mul_f32_e32 v70, v69, v65
	v_mul_f32_e32 v71, v69, v64
	;; [unrolled: 1-line block ×4, first 2 shown]
	v_fma_f32 v70, v68, v64, -v70
	v_fmac_f32_e32 v71, v68, v65
	v_mul_f32_e32 v73, v69, v61
	v_mul_f32_e32 v87, v69, v60
	v_fma_f32 v84, v68, v62, -v72
	v_fmac_f32_e32 v85, v68, v63
	ds_write_b64 v81, v[70:71]
	v_mul_f32_e32 v83, v69, v57
	v_mul_f32_e32 v89, v68, v57
	v_fma_f32 v86, v68, v60, -v73
	v_fmac_f32_e32 v87, v68, v61
	ds_read_b64 v[72:73], v80 offset:392
	ds_write_b64 v81, v[84:85] offset:536
	v_fma_f32 v88, v68, v56, -v83
	v_fmac_f32_e32 v89, v69, v56
	ds_read_b64 v[70:71], v80 offset:400
	ds_write_b64 v81, v[86:87] offset:1072
	ds_read_b64 v[68:69], v80 offset:408
	ds_write_b64 v81, v[88:89] offset:1608
	s_waitcnt lgkmcnt(0)
	s_barrier
	ds_read2_b64 v[84:87], v79 offset1:1
	ds_read2_b64 v[88:91], v79 offset0:2 offset1:3
	s_waitcnt lgkmcnt(0)
	s_barrier
	v_pk_add_f32 v[84:85], v[84:85], 0 op_sel_hi:[1,0]
	ds_write2_b64 v82, v[100:101], v[102:103] offset1:16
	v_pk_add_f32 v[84:85], v[84:85], v[86:87]
	s_nop 0
	v_pk_add_f32 v[84:85], v[84:85], v[88:89]
	s_nop 0
	v_pk_add_f32 v[84:85], v[84:85], v[90:91]
	ds_write2_b64 v82, v[92:93], v[84:85] offset0:32 offset1:48
	s_waitcnt lgkmcnt(0)
	s_barrier
	s_and_saveexec_b64 s[46:47], s[4:5]
	s_cbranch_execz .LBB185_96
; %bb.100:                              ;   in Loop: Header=BB185_97 Depth=1
	ds_read_b64 v[92:93], v77
	ds_read2_b64 v[84:87], v77 offset0:1 offset1:2
	ds_read2_b64 v[88:91], v77 offset0:3 offset1:4
	v_lshl_add_u64 v[96:97], v[6:7], 3, s[6:7]
	s_waitcnt lgkmcnt(1)
	v_add_f32_e32 v83, v84, v92
	v_add_f32_e32 v84, v85, v93
	;; [unrolled: 1-line block ×4, first 2 shown]
	ds_read2_b64 v[84:87], v77 offset0:5 offset1:6
	s_waitcnt lgkmcnt(1)
	v_add_f32_e32 v83, v83, v88
	v_add_f32_e32 v88, v92, v89
	;; [unrolled: 1-line block ×4, first 2 shown]
	ds_read2_b64 v[88:91], v77 offset0:7 offset1:8
	s_waitcnt lgkmcnt(1)
	v_pk_add_f32 v[84:85], v[92:93], v[84:85]
	ds_read2_b64 v[92:95], v77 offset0:9 offset1:10
	v_pk_add_f32 v[84:85], v[84:85], v[86:87]
	s_waitcnt lgkmcnt(1)
	v_pk_add_f32 v[84:85], v[84:85], v[88:89]
	s_nop 0
	v_pk_add_f32 v[88:89], v[84:85], v[90:91]
	ds_read2_b64 v[84:87], v77 offset0:11 offset1:12
	s_waitcnt lgkmcnt(1)
	v_pk_add_f32 v[92:93], v[88:89], v[92:93]
	ds_read2_b64 v[88:91], v77 offset0:13 offset1:14
	v_pk_add_f32 v[92:93], v[92:93], v[94:95]
	ds_read_b64 v[94:95], v78
	s_waitcnt lgkmcnt(2)
	v_pk_add_f32 v[84:85], v[92:93], v[84:85]
	s_nop 0
	v_pk_add_f32 v[84:85], v[84:85], v[86:87]
	s_waitcnt lgkmcnt(1)
	v_pk_add_f32 v[84:85], v[84:85], v[88:89]
	s_nop 0
	v_pk_add_f32 v[84:85], v[84:85], v[90:91]
	s_waitcnt lgkmcnt(0)
	v_pk_add_f32 v[84:85], v[84:85], v[94:95]
	global_store_dwordx2 v[96:97], v[84:85], off
	s_branch .LBB185_96
.LBB185_101:
	s_movk_i32 s0, 0x218
	v_mad_u32_u24 v0, v17, s0, v74
	s_or_b64 s[0:1], s[16:17], vcc
	s_xor_b64 s[0:1], s[0:1], -1
	ds_write_b64 v0, v[18:19]
	s_waitcnt lgkmcnt(0)
	s_barrier
	s_and_saveexec_b64 s[2:3], s[0:1]
	s_cbranch_execz .LBB185_103
; %bb.102:
	ds_read2_b64 v[0:3], v74 offset1:67
	ds_read2_b64 v[4:7], v74 offset0:134 offset1:201
	v_ashrrev_i32_e32 v17, 31, v16
	v_lshl_add_u64 v[8:9], v[16:17], 3, s[6:7]
	s_waitcnt lgkmcnt(1)
	v_pk_add_f32 v[0:1], v[2:3], v[0:1]
	s_waitcnt lgkmcnt(0)
	v_pk_add_f32 v[0:1], v[0:1], v[4:5]
	s_nop 0
	v_pk_add_f32 v[0:1], v[0:1], v[6:7]
	global_store_dwordx2 v[8:9], v[0:1], off
.LBB185_103:
	s_endpgm
	.section	.rodata,"a",@progbits
	.p2align	6, 0x0
	.amdhsa_kernel _ZL26rocblas_hemvn_kernel_lowerILb0ELi64ELi4ELi33ELi32ELi16EiPK19rocblas_complex_numIfEPKS3_PS1_EviT6_lT7_lT5_lS8_lS9_lS7_lT8_i
		.amdhsa_group_segment_fixed_size 9600
		.amdhsa_private_segment_fixed_size 0
		.amdhsa_kernarg_size 376
		.amdhsa_user_sgpr_count 2
		.amdhsa_user_sgpr_dispatch_ptr 0
		.amdhsa_user_sgpr_queue_ptr 0
		.amdhsa_user_sgpr_kernarg_segment_ptr 1
		.amdhsa_user_sgpr_dispatch_id 0
		.amdhsa_user_sgpr_kernarg_preload_length 0
		.amdhsa_user_sgpr_kernarg_preload_offset 0
		.amdhsa_user_sgpr_private_segment_size 0
		.amdhsa_uses_dynamic_stack 0
		.amdhsa_enable_private_segment 0
		.amdhsa_system_sgpr_workgroup_id_x 1
		.amdhsa_system_sgpr_workgroup_id_y 0
		.amdhsa_system_sgpr_workgroup_id_z 1
		.amdhsa_system_sgpr_workgroup_info 0
		.amdhsa_system_vgpr_workitem_id 1
		.amdhsa_next_free_vgpr 104
		.amdhsa_next_free_sgpr 48
		.amdhsa_accum_offset 104
		.amdhsa_reserve_vcc 1
		.amdhsa_float_round_mode_32 0
		.amdhsa_float_round_mode_16_64 0
		.amdhsa_float_denorm_mode_32 3
		.amdhsa_float_denorm_mode_16_64 3
		.amdhsa_dx10_clamp 1
		.amdhsa_ieee_mode 1
		.amdhsa_fp16_overflow 0
		.amdhsa_tg_split 0
		.amdhsa_exception_fp_ieee_invalid_op 0
		.amdhsa_exception_fp_denorm_src 0
		.amdhsa_exception_fp_ieee_div_zero 0
		.amdhsa_exception_fp_ieee_overflow 0
		.amdhsa_exception_fp_ieee_underflow 0
		.amdhsa_exception_fp_ieee_inexact 0
		.amdhsa_exception_int_div_zero 0
	.end_amdhsa_kernel
	.section	.text._ZL26rocblas_hemvn_kernel_lowerILb0ELi64ELi4ELi33ELi32ELi16EiPK19rocblas_complex_numIfEPKS3_PS1_EviT6_lT7_lT5_lS8_lS9_lS7_lT8_i,"axG",@progbits,_ZL26rocblas_hemvn_kernel_lowerILb0ELi64ELi4ELi33ELi32ELi16EiPK19rocblas_complex_numIfEPKS3_PS1_EviT6_lT7_lT5_lS8_lS9_lS7_lT8_i,comdat
.Lfunc_end185:
	.size	_ZL26rocblas_hemvn_kernel_lowerILb0ELi64ELi4ELi33ELi32ELi16EiPK19rocblas_complex_numIfEPKS3_PS1_EviT6_lT7_lT5_lS8_lS9_lS7_lT8_i, .Lfunc_end185-_ZL26rocblas_hemvn_kernel_lowerILb0ELi64ELi4ELi33ELi32ELi16EiPK19rocblas_complex_numIfEPKS3_PS1_EviT6_lT7_lT5_lS8_lS9_lS7_lT8_i
                                        ; -- End function
	.section	.AMDGPU.csdata,"",@progbits
; Kernel info:
; codeLenInByte = 7420
; NumSgprs: 54
; NumVgprs: 104
; NumAgprs: 0
; TotalNumVgprs: 104
; ScratchSize: 0
; MemoryBound: 1
; FloatMode: 240
; IeeeMode: 1
; LDSByteSize: 9600 bytes/workgroup (compile time only)
; SGPRBlocks: 6
; VGPRBlocks: 12
; NumSGPRsForWavesPerEU: 54
; NumVGPRsForWavesPerEU: 104
; AccumOffset: 104
; Occupancy: 4
; WaveLimiterHint : 1
; COMPUTE_PGM_RSRC2:SCRATCH_EN: 0
; COMPUTE_PGM_RSRC2:USER_SGPR: 2
; COMPUTE_PGM_RSRC2:TRAP_HANDLER: 0
; COMPUTE_PGM_RSRC2:TGID_X_EN: 1
; COMPUTE_PGM_RSRC2:TGID_Y_EN: 0
; COMPUTE_PGM_RSRC2:TGID_Z_EN: 1
; COMPUTE_PGM_RSRC2:TIDIG_COMP_CNT: 1
; COMPUTE_PGM_RSRC3_GFX90A:ACCUM_OFFSET: 25
; COMPUTE_PGM_RSRC3_GFX90A:TG_SPLIT: 0
	.section	.text._ZL26rocblas_hemvn_kernel_lowerILb0ELi64ELi4ELi33ELi32ELi16El19rocblas_complex_numIfEPKPKS1_PS1_EviT6_lT7_lT5_lS8_lS9_lS7_lT8_i,"axG",@progbits,_ZL26rocblas_hemvn_kernel_lowerILb0ELi64ELi4ELi33ELi32ELi16El19rocblas_complex_numIfEPKPKS1_PS1_EviT6_lT7_lT5_lS8_lS9_lS7_lT8_i,comdat
	.globl	_ZL26rocblas_hemvn_kernel_lowerILb0ELi64ELi4ELi33ELi32ELi16El19rocblas_complex_numIfEPKPKS1_PS1_EviT6_lT7_lT5_lS8_lS9_lS7_lT8_i ; -- Begin function _ZL26rocblas_hemvn_kernel_lowerILb0ELi64ELi4ELi33ELi32ELi16El19rocblas_complex_numIfEPKPKS1_PS1_EviT6_lT7_lT5_lS8_lS9_lS7_lT8_i
	.p2align	8
	.type	_ZL26rocblas_hemvn_kernel_lowerILb0ELi64ELi4ELi33ELi32ELi16El19rocblas_complex_numIfEPKPKS1_PS1_EviT6_lT7_lT5_lS8_lS9_lS7_lT8_i,@function
_ZL26rocblas_hemvn_kernel_lowerILb0ELi64ELi4ELi33ELi32ELi16El19rocblas_complex_numIfEPKPKS1_PS1_EviT6_lT7_lT5_lS8_lS9_lS7_lT8_i: ; @_ZL26rocblas_hemvn_kernel_lowerILb0ELi64ELi4ELi33ELi32ELi16El19rocblas_complex_numIfEPKPKS1_PS1_EviT6_lT7_lT5_lS8_lS9_lS7_lT8_i
; %bb.0:
	s_load_dwordx2 s[4:5], s[0:1], 0x84
	s_add_u32 s14, s0, 0x78
	s_mov_b32 s28, s3
	s_addc_u32 s15, s1, 0
	s_waitcnt lgkmcnt(0)
	s_and_b32 s3, s5, 0xffff
	s_lshr_b32 s5, s4, 16
	s_and_b32 s4, s4, 0xffff
	s_mul_i32 s4, s5, s4
	s_mul_i32 s4, s4, s3
	s_cmpk_lg_i32 s4, 0x100
	s_cbranch_scc1 .LBB186_103
; %bb.1:
	s_load_dwordx2 s[8:9], s[0:1], 0x4
	s_load_dwordx4 s[4:7], s[0:1], 0x18
	s_load_dwordx2 s[26:27], s[0:1], 0x28
	s_waitcnt lgkmcnt(0)
	s_or_b32 s3, s8, s9
	s_bitset0_b32 s3, 31
	s_cmp_lg_u32 s3, 0
	s_cselect_b64 s[16:17], -1, 0
	s_and_b64 vcc, exec, s[16:17]
	s_cbranch_vccnz .LBB186_4
; %bb.2:
	s_load_dwordx2 s[8:9], s[0:1], 0x58
                                        ; implicit-def: $sgpr12_sgpr13
	s_waitcnt lgkmcnt(0)
	v_cmp_eq_f32_e64 s[10:11], s8, 1.0
	v_cmp_eq_f32_e64 s[8:9], s9, 0
	s_and_b64 s[8:9], s[10:11], s[8:9]
	s_mov_b64 s[10:11], 0
	s_andn2_b64 vcc, exec, s[8:9]
	s_mov_b64 s[8:9], 0
	s_cbranch_vccz .LBB186_5
; %bb.3:
	s_mov_b64 s[8:9], -1
	s_mov_b64 s[12:13], 0
	s_branch .LBB186_5
.LBB186_4:
	s_mov_b64 s[10:11], -1
	s_mov_b64 s[8:9], 0
                                        ; implicit-def: $sgpr12_sgpr13
.LBB186_5:
	s_and_b64 vcc, exec, s[10:11]
	s_cbranch_vccz .LBB186_7
; %bb.6:
	s_mov_b32 s29, 0
	s_lshl_b64 s[8:9], s[28:29], 3
	s_add_u32 s4, s4, s8
	s_addc_u32 s5, s5, s9
	s_load_dwordx2 s[4:5], s[4:5], 0x0
	s_lshl_b64 s[6:7], s[6:7], 3
	s_mov_b64 s[8:9], -1
	s_waitcnt lgkmcnt(0)
	s_add_u32 s12, s4, s6
	s_addc_u32 s13, s5, s7
.LBB186_7:
	s_andn2_b64 vcc, exec, s[8:9]
	s_cbranch_vccnz .LBB186_103
; %bb.8:
	s_load_dwordx4 s[8:11], s[0:1], 0x38
	s_load_dwordx2 s[22:23], s[0:1], 0x48
	v_cndmask_b32_e64 v1, 0, 1, s[16:17]
	v_cmp_ne_u32_e64 s[4:5], 1, v1
	s_andn2_b64 vcc, exec, s[16:17]
	s_mov_b64 s[6:7], 0
	s_cbranch_vccnz .LBB186_10
; %bb.9:
	s_mov_b32 s29, 0
	s_lshl_b64 s[6:7], s[28:29], 3
	s_waitcnt lgkmcnt(0)
	s_add_u32 s6, s8, s6
	s_addc_u32 s7, s9, s7
	s_load_dwordx2 s[6:7], s[6:7], 0x0
	s_lshl_b64 s[8:9], s[10:11], 3
	s_waitcnt lgkmcnt(0)
	s_add_u32 s6, s6, s8
	s_addc_u32 s7, s7, s9
.LBB186_10:
	s_and_b64 vcc, exec, s[4:5]
	s_cbranch_vccnz .LBB186_103
; %bb.11:
	s_load_dword s29, s[14:15], 0x0
	s_load_dword s3, s[0:1], 0x0
	v_and_b32_e32 v26, 0x3ff, v0
	s_lshl_b32 s34, s2, 6
	v_add_u32_e32 v16, s34, v26
	s_waitcnt lgkmcnt(0)
	s_add_i32 s4, s29, -1
	s_ashr_i32 s33, s3, 31
	s_lshr_b32 s5, s33, 26
	s_add_i32 s5, s3, s5
	s_andn2_b32 s5, s5, 63
	s_sub_i32 s5, s3, s5
	s_cmp_eq_u32 s2, s4
	v_ashrrev_i32_e32 v17, 31, v16
	v_bfe_u32 v76, v0, 10, 10
	s_cselect_b32 s30, s5, 0
	v_mul_lo_u32 v2, v17, s22
	v_mul_lo_u32 v3, v16, s23
	v_mad_u64_u32 v[0:1], s[4:5], v16, s22, 0
	v_add3_u32 v1, v1, v3, v2
	v_lshl_add_u64 v[20:21], v[0:1], 3, s[6:7]
	v_cmp_ne_u32_e64 s[4:5], 0, v76
	v_cmp_eq_u32_e64 s[18:19], 0, v76
	s_and_saveexec_b64 s[6:7], s[18:19]
	s_cbranch_execz .LBB186_16
; %bb.12:
	s_cmp_lg_u32 s30, 0
	s_cselect_b64 s[8:9], -1, 0
	v_cmp_le_i32_e32 vcc, s30, v26
	v_mov_b32_e32 v0, 0x2380
	s_and_b64 s[8:9], s[8:9], vcc
	v_lshl_add_u32 v0, v26, 3, v0
	s_and_saveexec_b64 s[10:11], s[8:9]
	s_xor_b64 s[8:9], exec, s[10:11]
	s_cbranch_execz .LBB186_14
; %bb.13:
	v_mov_b32_e32 v2, 0
	v_mov_b32_e32 v3, v2
	ds_write_b64 v0, v[2:3]
                                        ; implicit-def: $vgpr0
.LBB186_14:
	s_andn2_saveexec_b64 s[8:9], s[8:9]
	s_cbranch_execz .LBB186_16
; %bb.15:
	flat_load_dwordx2 v[2:3], v[20:21]
	s_waitcnt vmcnt(0) lgkmcnt(0)
	ds_write_b64 v0, v[2:3]
.LBB186_16:
	s_or_b64 exec, exec, s[6:7]
	s_ashr_i32 s35, s34, 31
	v_lshl_add_u32 v27, v76, 6, v26
	s_lshl_b64 s[6:7], s[34:35], 3
	v_and_b32_e32 v0, 31, v26
	v_lshrrev_b32_e32 v10, 5, v27
	s_add_u32 s8, s12, s6
	v_mov_b32_e32 v1, 0
	s_addc_u32 s9, s13, s7
	v_mad_u64_u32 v[22:23], s[6:7], v10, s26, v[0:1]
	v_mov_b32_e32 v2, v23
	v_mad_u64_u32 v[2:3], s[6:7], v10, s27, v[2:3]
	s_mul_i32 s6, s34, s27
	s_mul_hi_u32 s7, s34, s26
	s_add_i32 s6, s7, s6
	s_mul_i32 s7, s35, s26
	s_add_i32 s7, s6, s7
	s_mul_i32 s6, s34, s26
	s_lshl_b64 s[36:37], s[6:7], 3
	s_add_u32 s6, s36, s8
	s_addc_u32 s7, s37, s9
	s_cmp_lg_u32 s30, 0
	v_mov_b32_e32 v23, v2
	s_cselect_b64 s[38:39], -1, 0
	s_cmp_eq_u32 s30, 0
	v_lshl_add_u64 v[2:3], v[22:23], 3, s[6:7]
	s_cselect_b64 s[20:21], -1, 0
	s_and_b64 vcc, exec, s[38:39]
	s_cbranch_vccnz .LBB186_18
; %bb.17:
	flat_load_dwordx2 v[4:5], v[2:3]
	v_mul_u32_u24_e32 v1, 33, v10
	s_lshl_b64 s[6:7], s[26:27], 6
	v_add_lshl_u32 v1, v1, v0, 3
	v_lshl_add_u64 v[6:7], v[2:3], 0, s[6:7]
	s_mul_i32 s8, s27, 0xc0
	s_waitcnt vmcnt(0) lgkmcnt(0)
	ds_write_b64 v1, v[4:5]
	flat_load_dwordx2 v[4:5], v[6:7]
	v_lshl_add_u64 v[6:7], v[6:7], 0, s[6:7]
	s_waitcnt vmcnt(0) lgkmcnt(0)
	ds_write_b64 v1, v[4:5] offset:2112
	flat_load_dwordx2 v[4:5], v[6:7]
	v_mov_b32_e32 v6, 0xc0
	v_mad_u64_u32 v[6:7], s[6:7], s26, v6, v[2:3]
	v_add_u32_e32 v7, s8, v7
	s_waitcnt vmcnt(0) lgkmcnt(0)
	ds_write_b64 v1, v[4:5] offset:4224
	flat_load_dwordx2 v[4:5], v[6:7]
	s_waitcnt vmcnt(0) lgkmcnt(0)
	ds_write_b64 v1, v[4:5] offset:6336
	s_cbranch_execz .LBB186_19
	s_branch .LBB186_34
.LBB186_18:
.LBB186_19:
	v_lshlrev_b32_e32 v4, 3, v0
	v_sub_co_u32_e32 v6, vcc, v2, v4
	s_ashr_i32 s31, s30, 31
	s_nop 0
	v_subbrev_co_u32_e32 v7, vcc, 0, v3, vcc
	v_lshl_add_u64 v[6:7], s[30:31], 3, v[6:7]
	v_lshl_add_u64 v[6:7], v[6:7], 0, -8
	v_cmp_gt_i32_e32 vcc, s30, v0
	v_mov_b32_e32 v8, 0
	v_cmp_gt_i32_e64 s[6:7], s30, v10
	v_cndmask_b32_e32 v7, v7, v3, vcc
	v_cndmask_b32_e32 v6, v6, v2, vcc
	v_mov_b32_e32 v9, v8
	s_and_saveexec_b64 s[8:9], s[6:7]
	s_cbranch_execz .LBB186_21
; %bb.20:
	flat_load_dwordx2 v[8:9], v[6:7]
.LBB186_21:
	s_or_b64 exec, exec, s[8:9]
	v_mul_u32_u24_e32 v1, 33, v10
	v_add_u32_e32 v5, 8, v10
	v_add_lshl_u32 v1, v1, v0, 3
	v_cmp_le_i32_e64 s[6:7], s30, v5
	s_waitcnt vmcnt(0) lgkmcnt(0)
	ds_write_b64 v1, v[8:9]
	s_and_saveexec_b64 s[8:9], s[6:7]
	s_xor_b64 s[6:7], exec, s[8:9]
	s_cbranch_execz .LBB186_23
; %bb.22:
	v_mul_u32_u24_e32 v5, 33, v5
	v_mov_b32_e32 v8, 0
	v_add_lshl_u32 v5, v5, v0, 3
	v_mov_b32_e32 v9, v8
	ds_write_b64 v5, v[8:9]
.LBB186_23:
	s_andn2_saveexec_b64 s[6:7], s[6:7]
	s_cbranch_execz .LBB186_25
; %bb.24:
	s_lshl_b64 s[8:9], s[26:27], 6
	v_lshl_add_u64 v[8:9], v[6:7], 0, s[8:9]
	flat_load_dwordx2 v[8:9], v[8:9]
	s_waitcnt vmcnt(0) lgkmcnt(0)
	ds_write_b64 v1, v[8:9] offset:2112
.LBB186_25:
	s_or_b64 exec, exec, s[6:7]
	v_add_u32_e32 v5, 16, v10
	v_cmp_le_i32_e64 s[6:7], s30, v5
	s_and_saveexec_b64 s[8:9], s[6:7]
	s_xor_b64 s[6:7], exec, s[8:9]
	s_cbranch_execz .LBB186_27
; %bb.26:
	v_mov_b32_e32 v8, 0
	v_mov_b32_e32 v9, v8
	ds_write_b64 v1, v[8:9] offset:4224
.LBB186_27:
	s_andn2_saveexec_b64 s[6:7], s[6:7]
	s_cbranch_execz .LBB186_29
; %bb.28:
	s_lshl_b64 s[8:9], s[26:27], 7
	v_lshl_add_u64 v[8:9], v[6:7], 0, s[8:9]
	flat_load_dwordx2 v[8:9], v[8:9]
	s_waitcnt vmcnt(0) lgkmcnt(0)
	ds_write_b64 v1, v[8:9] offset:4224
.LBB186_29:
	s_or_b64 exec, exec, s[6:7]
	v_add_u32_e32 v5, 24, v10
	v_cmp_le_i32_e64 s[6:7], s30, v5
	s_and_saveexec_b64 s[8:9], s[6:7]
	s_xor_b64 s[6:7], exec, s[8:9]
	s_cbranch_execz .LBB186_31
; %bb.30:
	v_mov_b32_e32 v8, 0
	v_mov_b32_e32 v9, v8
	ds_write_b64 v1, v[8:9] offset:6336
                                        ; implicit-def: $vgpr1
.LBB186_31:
	s_andn2_saveexec_b64 s[6:7], s[6:7]
	s_cbranch_execz .LBB186_33
; %bb.32:
	v_mov_b32_e32 v5, 0xc0
	v_mad_u64_u32 v[8:9], s[8:9], s26, v5, v[6:7]
	s_mul_i32 s8, s27, 0xc0
	s_nop 0
	v_add_u32_e32 v9, s8, v9
	flat_load_dwordx2 v[8:9], v[8:9]
	s_waitcnt vmcnt(0) lgkmcnt(0)
	ds_write_b64 v1, v[8:9] offset:6336
.LBB186_33:
	s_or_b64 exec, exec, s[6:7]
	v_mov_b32_e32 v5, 0
	v_lshl_add_u64 v[4:5], v[6:7], 0, v[4:5]
	s_lshl_b64 s[6:7], s[30:31], 3
	v_mov_b32_e32 v1, s7
	v_subrev_co_u32_e64 v4, s[6:7], s6, v4
	s_nop 1
	v_subb_co_u32_e64 v5, s[6:7], v5, v1, s[6:7]
	v_lshl_add_u64 v[4:5], v[4:5], 0, 8
	v_cndmask_b32_e32 v3, v5, v3, vcc
	v_cndmask_b32_e32 v2, v4, v2, vcc
.LBB186_34:
	v_lshlrev_b32_e32 v4, 2, v10
	v_mul_u32_u24_e32 v28, 33, v0
	v_cmp_lt_u32_e64 s[8:9], v4, v0
	v_add_lshl_u32 v1, v4, v28, 3
	s_waitcnt lgkmcnt(0)
	s_barrier
	s_and_saveexec_b64 s[6:7], s[8:9]
	s_cbranch_execz .LBB186_36
; %bb.35:
	v_mul_u32_u24_e32 v5, 0x84, v10
	v_add_lshl_u32 v5, v5, v0, 3
	ds_read_b64 v[6:7], v5
	s_waitcnt lgkmcnt(0)
	ds_write_b64 v1, v[6:7]
.LBB186_36:
	s_or_b64 exec, exec, s[6:7]
	v_or_b32_e32 v5, 1, v4
	v_cmp_lt_u32_e64 s[10:11], v5, v0
	s_and_saveexec_b64 s[6:7], s[10:11]
	s_cbranch_execz .LBB186_38
; %bb.37:
	v_mul_u32_u24_e32 v5, 33, v5
	v_add_lshl_u32 v5, v5, v0, 3
	ds_read_b64 v[6:7], v5
	s_waitcnt lgkmcnt(0)
	ds_write_b64 v1, v[6:7] offset:8
.LBB186_38:
	s_or_b64 exec, exec, s[6:7]
	v_or_b32_e32 v5, 2, v4
	v_cmp_lt_u32_e64 s[12:13], v5, v0
	s_and_saveexec_b64 s[6:7], s[12:13]
	s_cbranch_execz .LBB186_40
; %bb.39:
	v_mul_u32_u24_e32 v5, 33, v5
	v_add_lshl_u32 v5, v5, v0, 3
	ds_read_b64 v[6:7], v5
	s_waitcnt lgkmcnt(0)
	ds_write_b64 v1, v[6:7] offset:16
.LBB186_40:
	s_or_b64 exec, exec, s[6:7]
	v_or_b32_e32 v5, 3, v4
	v_cmp_lt_u32_e64 s[14:15], v5, v0
	v_mad_u32_u24 v5, v5, 33, v0
	v_lshlrev_b32_e32 v8, 3, v5
	s_and_saveexec_b64 s[6:7], s[14:15]
	s_cbranch_execz .LBB186_42
; %bb.41:
	ds_read_b64 v[6:7], v8
	s_waitcnt lgkmcnt(0)
	ds_write_b64 v1, v[6:7] offset:24
.LBB186_42:
	s_or_b64 exec, exec, s[6:7]
	v_mul_u32_u24_e32 v5, 0x84, v10
	v_add_lshl_u32 v11, v5, v0, 3
	s_waitcnt lgkmcnt(0)
	s_barrier
	v_lshlrev_b32_e32 v12, 3, v4
	v_add_u32_e32 v9, 0xfffffdf0, v8
	ds_read_b64 v[14:15], v11
	ds_read_b128 v[4:7], v12 offset:9088
	ds_read2_b64 v[30:33], v9 offset1:33
	ds_read_b64 v[18:19], v8
	ds_read_b128 v[34:37], v12 offset:9104
	s_mov_b32 s16, 0
	s_mov_b32 s17, s16
	s_waitcnt lgkmcnt(3)
	v_pk_mul_f32 v[24:25], v[4:5], v[14:15] op_sel:[0,1]
	v_add_lshl_u32 v29, v10, v28, 3
	v_pk_fma_f32 v[38:39], v[4:5], v[14:15], v[24:25] op_sel:[0,0,1] op_sel_hi:[1,1,0] neg_lo:[0,0,1] neg_hi:[0,0,1]
	v_pk_fma_f32 v[4:5], v[4:5], v[14:15], v[24:25] op_sel:[0,0,1] op_sel_hi:[1,0,0]
	s_waitcnt lgkmcnt(2)
	v_pk_mul_f32 v[14:15], v[6:7], v[30:31] op_sel:[0,1]
	v_mov_b32_e32 v39, v5
	v_pk_fma_f32 v[24:25], v[6:7], v[30:31], v[14:15] op_sel:[0,0,1] op_sel_hi:[1,1,0] neg_lo:[0,0,1] neg_hi:[0,0,1]
	v_pk_fma_f32 v[6:7], v[6:7], v[30:31], v[14:15] op_sel:[0,0,1] op_sel_hi:[1,0,0]
	v_pk_add_f32 v[4:5], v[38:39], 0 op_sel_hi:[1,0]
	v_mov_b32_e32 v25, v7
	s_waitcnt lgkmcnt(0)
	v_pk_mul_f32 v[6:7], v[34:35], v[32:33] op_sel:[0,1]
	v_pk_add_f32 v[4:5], v[4:5], v[24:25]
	v_pk_fma_f32 v[14:15], v[34:35], v[32:33], v[6:7] op_sel:[0,0,1] op_sel_hi:[1,1,0] neg_lo:[0,0,1] neg_hi:[0,0,1]
	v_pk_fma_f32 v[6:7], v[34:35], v[32:33], v[6:7] op_sel:[0,0,1] op_sel_hi:[1,0,0]
	v_cmp_gt_u32_e64 s[6:7], 32, v27
	v_mov_b32_e32 v15, v7
	v_pk_mul_f32 v[6:7], v[36:37], v[18:19] op_sel:[0,1]
	v_pk_add_f32 v[4:5], v[4:5], v[14:15]
	v_pk_fma_f32 v[14:15], v[36:37], v[18:19], v[6:7] op_sel:[0,0,1] op_sel_hi:[1,1,0] neg_lo:[0,0,1] neg_hi:[0,0,1]
	v_pk_fma_f32 v[6:7], v[36:37], v[18:19], v[6:7] op_sel:[0,0,1] op_sel_hi:[1,0,0]
	v_mov_b64_e32 v[18:19], s[16:17]
	v_mov_b32_e32 v15, v7
	v_pk_add_f32 v[4:5], v[4:5], v[14:15]
	s_barrier
	ds_write_b64 v29, v[4:5]
	s_waitcnt lgkmcnt(0)
	s_barrier
	s_and_saveexec_b64 s[16:17], s[6:7]
	s_cbranch_execz .LBB186_44
; %bb.43:
	v_lshlrev_b32_e32 v13, 3, v28
	ds_read2_b64 v[4:7], v13 offset1:7
	ds_read2_b64 v[30:33], v13 offset0:1 offset1:2
	ds_read2_b64 v[34:37], v13 offset0:3 offset1:4
	s_waitcnt lgkmcnt(1)
	v_add_f32_e32 v4, v30, v4
	v_add_f32_e32 v5, v31, v5
	;; [unrolled: 1-line block ×4, first 2 shown]
	ds_read2_b64 v[30:33], v13 offset0:5 offset1:6
	s_waitcnt lgkmcnt(1)
	v_add_f32_e32 v4, v4, v34
	v_add_f32_e32 v5, v5, v35
	;; [unrolled: 1-line block ×4, first 2 shown]
	s_waitcnt lgkmcnt(0)
	v_add_f32_e32 v4, v4, v30
	v_add_f32_e32 v5, v5, v31
	v_add_f32_e32 v4, v4, v32
	v_add_f32_e32 v5, v5, v33
	v_pk_add_f32 v[18:19], v[4:5], v[6:7]
.LBB186_44:
	s_or_b64 exec, exec, s[16:17]
	s_lshl_b64 s[24:25], s[26:27], 8
	v_lshl_add_u64 v[4:5], v[2:3], 0, s[24:25]
	s_mov_b64 s[40:41], 0x100
	v_cndmask_b32_e64 v2, 0, 1, s[20:21]
	v_cmp_ne_u32_e64 s[16:17], 1, v2
	s_andn2_b64 vcc, exec, s[20:21]
	v_lshl_add_u64 v[2:3], v[4:5], 0, s[40:41]
	s_barrier
	s_cbranch_vccnz .LBB186_46
; %bb.45:
	flat_load_dwordx2 v[6:7], v[4:5] offset:256
	v_mul_u32_u24_e32 v13, 33, v10
	s_lshl_b64 s[20:21], s[26:27], 6
	v_add_lshl_u32 v13, v13, v0, 3
	v_lshl_add_u64 v[14:15], v[4:5], 0, s[20:21]
	s_mul_i32 s31, s27, 0xc0
	s_waitcnt vmcnt(0) lgkmcnt(0)
	ds_write_b64 v13, v[6:7]
	flat_load_dwordx2 v[6:7], v[14:15] offset:256
	v_lshl_add_u64 v[14:15], v[14:15], 0, s[20:21]
	s_waitcnt vmcnt(0) lgkmcnt(0)
	ds_write_b64 v13, v[6:7] offset:2112
	flat_load_dwordx2 v[6:7], v[14:15] offset:256
	v_mov_b32_e32 v14, 0xc0
	v_mad_u64_u32 v[4:5], s[20:21], s26, v14, v[4:5]
	v_add_u32_e32 v5, s31, v5
	s_waitcnt vmcnt(0) lgkmcnt(0)
	ds_write_b64 v13, v[6:7] offset:4224
	flat_load_dwordx2 v[4:5], v[4:5] offset:256
	s_waitcnt vmcnt(0) lgkmcnt(0)
	ds_write_b64 v13, v[4:5] offset:6336
	s_cbranch_execz .LBB186_47
	s_branch .LBB186_62
.LBB186_46:
.LBB186_47:
	v_or_b32_e32 v6, 32, v0
	v_lshlrev_b32_e32 v4, 3, v6
	v_sub_co_u32_e32 v4, vcc, v2, v4
	s_ashr_i32 s31, s30, 31
	s_nop 0
	v_subbrev_co_u32_e32 v5, vcc, 0, v3, vcc
	v_lshl_add_u64 v[4:5], s[30:31], 3, v[4:5]
	v_lshl_add_u64 v[4:5], v[4:5], 0, -8
	v_cmp_gt_i32_e32 vcc, s30, v6
	s_sub_i32 s42, s30, 32
	v_mov_b32_e32 v6, 0
	v_cndmask_b32_e32 v5, v5, v3, vcc
	v_cndmask_b32_e32 v4, v4, v2, vcc
	v_cmp_gt_i32_e64 s[20:21], s42, v10
	v_mov_b32_e32 v7, v6
	s_and_saveexec_b64 s[40:41], s[20:21]
	s_cbranch_execz .LBB186_49
; %bb.48:
	flat_load_dwordx2 v[6:7], v[4:5]
.LBB186_49:
	s_or_b64 exec, exec, s[40:41]
	v_mul_u32_u24_e32 v13, 33, v10
	v_add_lshl_u32 v13, v13, v0, 3
	s_waitcnt vmcnt(0) lgkmcnt(0)
	ds_write_b64 v13, v[6:7]
	v_add_u32_e32 v6, 8, v10
	v_cmp_le_i32_e64 s[20:21], s42, v6
	s_and_saveexec_b64 s[40:41], s[20:21]
	s_xor_b64 s[20:21], exec, s[40:41]
	s_cbranch_execz .LBB186_51
; %bb.50:
	v_mul_u32_u24_e32 v6, 33, v6
	v_add_lshl_u32 v14, v6, v0, 3
	v_mov_b32_e32 v6, 0
	v_mov_b32_e32 v7, v6
	ds_write_b64 v14, v[6:7]
.LBB186_51:
	s_andn2_saveexec_b64 s[20:21], s[20:21]
	s_cbranch_execz .LBB186_53
; %bb.52:
	s_lshl_b64 s[40:41], s[26:27], 6
	v_lshl_add_u64 v[6:7], v[4:5], 0, s[40:41]
	flat_load_dwordx2 v[6:7], v[6:7]
	s_waitcnt vmcnt(0) lgkmcnt(0)
	ds_write_b64 v13, v[6:7] offset:2112
.LBB186_53:
	s_or_b64 exec, exec, s[20:21]
	v_add_u32_e32 v6, 16, v10
	v_cmp_le_i32_e64 s[20:21], s42, v6
	s_and_saveexec_b64 s[40:41], s[20:21]
	s_xor_b64 s[20:21], exec, s[40:41]
	s_cbranch_execz .LBB186_55
; %bb.54:
	v_mov_b32_e32 v6, 0
	v_mov_b32_e32 v7, v6
	ds_write_b64 v13, v[6:7] offset:4224
.LBB186_55:
	s_andn2_saveexec_b64 s[20:21], s[20:21]
	s_cbranch_execz .LBB186_57
; %bb.56:
	s_lshl_b64 s[40:41], s[26:27], 7
	v_lshl_add_u64 v[6:7], v[4:5], 0, s[40:41]
	flat_load_dwordx2 v[6:7], v[6:7]
	s_waitcnt vmcnt(0) lgkmcnt(0)
	ds_write_b64 v13, v[6:7] offset:4224
.LBB186_57:
	s_or_b64 exec, exec, s[20:21]
	v_add_u32_e32 v6, 24, v10
	v_cmp_le_i32_e64 s[20:21], s42, v6
	s_and_saveexec_b64 s[40:41], s[20:21]
	s_xor_b64 s[20:21], exec, s[40:41]
	s_cbranch_execz .LBB186_59
; %bb.58:
	v_mov_b32_e32 v6, 0
	v_mov_b32_e32 v7, v6
	ds_write_b64 v13, v[6:7] offset:6336
                                        ; implicit-def: $vgpr13
.LBB186_59:
	s_andn2_saveexec_b64 s[20:21], s[20:21]
	s_cbranch_execz .LBB186_61
; %bb.60:
	v_mov_b32_e32 v6, 0xc0
	v_mad_u64_u32 v[6:7], s[40:41], s26, v6, v[4:5]
	s_mul_i32 s40, s27, 0xc0
	s_nop 0
	v_add_u32_e32 v7, s40, v7
	flat_load_dwordx2 v[6:7], v[6:7]
	s_waitcnt vmcnt(0) lgkmcnt(0)
	ds_write_b64 v13, v[6:7] offset:6336
.LBB186_61:
	s_or_b64 exec, exec, s[20:21]
	v_lshlrev_b32_e32 v6, 3, v0
	v_mov_b32_e32 v7, 0
	v_lshl_add_u64 v[4:5], v[4:5], 0, v[6:7]
	s_lshl_b64 s[20:21], s[30:31], 3
	v_mov_b32_e32 v6, s21
	v_subrev_co_u32_e64 v4, s[20:21], s20, v4
	s_nop 1
	v_subb_co_u32_e64 v5, s[20:21], v5, v6, s[20:21]
	s_mov_b64 s[20:21], 0x108
	s_nop 0
	v_lshl_add_u64 v[4:5], v[4:5], 0, s[20:21]
	v_cndmask_b32_e32 v3, v5, v3, vcc
	v_cndmask_b32_e32 v2, v4, v2, vcc
.LBB186_62:
	v_add_u32_e32 v6, 0x2380, v12
	s_lshl_b64 s[20:21], s[26:27], 5
	s_waitcnt lgkmcnt(0)
	s_barrier
	s_and_saveexec_b64 s[40:41], s[8:9]
	s_cbranch_execnz .LBB186_71
; %bb.63:
	s_or_b64 exec, exec, s[40:41]
	s_and_saveexec_b64 s[8:9], s[10:11]
	s_cbranch_execnz .LBB186_72
.LBB186_64:
	s_or_b64 exec, exec, s[8:9]
	s_and_saveexec_b64 s[8:9], s[12:13]
	s_cbranch_execnz .LBB186_73
.LBB186_65:
	s_or_b64 exec, exec, s[8:9]
	s_and_saveexec_b64 s[8:9], s[14:15]
	s_cbranch_execz .LBB186_67
.LBB186_66:
	ds_read_b64 v[4:5], v8
	s_waitcnt lgkmcnt(0)
	ds_write_b64 v1, v[4:5] offset:24
.LBB186_67:
	s_or_b64 exec, exec, s[8:9]
	s_waitcnt lgkmcnt(0)
	s_barrier
	ds_read_b64 v[4:5], v11
	ds_read_b128 v[12:15], v6 offset:256
	ds_read2_b64 v[30:33], v9 offset1:33
	ds_read_b64 v[8:9], v8
	ds_read_b128 v[34:37], v6 offset:272
	v_cmp_eq_u32_e64 s[8:9], 1, v10
	s_waitcnt lgkmcnt(3)
	v_pk_mul_f32 v[24:25], v[12:13], v[4:5] op_sel:[0,1]
	s_waitcnt lgkmcnt(0)
	v_pk_fma_f32 v[38:39], v[12:13], v[4:5], v[24:25] op_sel:[0,0,1] op_sel_hi:[1,1,0] neg_lo:[0,0,1] neg_hi:[0,0,1]
	v_pk_fma_f32 v[4:5], v[12:13], v[4:5], v[24:25] op_sel:[0,0,1] op_sel_hi:[1,0,0]
	v_pk_mul_f32 v[12:13], v[14:15], v[30:31] op_sel:[0,1]
	v_mov_b32_e32 v39, v5
	v_pk_fma_f32 v[24:25], v[14:15], v[30:31], v[12:13] op_sel:[0,0,1] op_sel_hi:[1,1,0] neg_lo:[0,0,1] neg_hi:[0,0,1]
	v_pk_fma_f32 v[12:13], v[14:15], v[30:31], v[12:13] op_sel:[0,0,1] op_sel_hi:[1,0,0]
	v_pk_add_f32 v[4:5], v[38:39], 0 op_sel_hi:[1,0]
	v_mov_b32_e32 v25, v13
	v_pk_mul_f32 v[12:13], v[34:35], v[32:33] op_sel:[0,1]
	v_pk_add_f32 v[4:5], v[4:5], v[24:25]
	v_pk_fma_f32 v[14:15], v[34:35], v[32:33], v[12:13] op_sel:[0,0,1] op_sel_hi:[1,1,0] neg_lo:[0,0,1] neg_hi:[0,0,1]
	v_pk_fma_f32 v[12:13], v[34:35], v[32:33], v[12:13] op_sel:[0,0,1] op_sel_hi:[1,0,0]
	s_barrier
	v_mov_b32_e32 v15, v13
	v_pk_mul_f32 v[12:13], v[36:37], v[8:9] op_sel:[0,1]
	v_pk_add_f32 v[4:5], v[4:5], v[14:15]
	v_pk_fma_f32 v[14:15], v[36:37], v[8:9], v[12:13] op_sel:[0,0,1] op_sel_hi:[1,1,0] neg_lo:[0,0,1] neg_hi:[0,0,1]
	v_pk_fma_f32 v[8:9], v[36:37], v[8:9], v[12:13] op_sel:[0,0,1] op_sel_hi:[1,0,0]
	s_nop 0
	v_mov_b32_e32 v15, v9
	v_pk_add_f32 v[4:5], v[4:5], v[14:15]
	ds_write_b64 v29, v[4:5]
	s_waitcnt lgkmcnt(0)
	s_barrier
	s_and_saveexec_b64 s[10:11], s[8:9]
	s_cbranch_execz .LBB186_69
; %bb.68:
	v_lshlrev_b32_e32 v4, 3, v28
	ds_read2_b64 v[12:15], v4 offset1:7
	ds_read2_b64 v[30:33], v4 offset0:1 offset1:2
	ds_read2_b64 v[34:37], v4 offset0:3 offset1:4
	s_waitcnt lgkmcnt(1)
	v_add_f32_e32 v5, v30, v12
	v_add_f32_e32 v7, v31, v13
	;; [unrolled: 1-line block ×4, first 2 shown]
	ds_read2_b64 v[30:33], v4 offset0:5 offset1:6
	s_waitcnt lgkmcnt(1)
	v_add_f32_e32 v4, v5, v34
	v_add_f32_e32 v5, v7, v35
	;; [unrolled: 1-line block ×4, first 2 shown]
	s_waitcnt lgkmcnt(0)
	v_add_f32_e32 v4, v4, v30
	v_add_f32_e32 v5, v5, v31
	v_pk_add_f32 v[4:5], v[4:5], v[32:33]
	s_nop 0
	v_pk_add_f32 v[18:19], v[4:5], v[14:15]
.LBB186_69:
	s_or_b64 exec, exec, s[10:11]
	s_lshl_b64 s[10:11], s[20:21], 3
	v_mov_b32_e32 v4, s11
	v_subrev_co_u32_e64 v24, s[10:11], s10, v2
	s_and_b64 vcc, exec, s[16:17]
	s_nop 0
	v_subb_co_u32_e64 v25, s[10:11], v3, v4, s[10:11]
	s_barrier
	s_cbranch_vccnz .LBB186_74
; %bb.70:
	flat_load_dwordx2 v[2:3], v[24:25]
	v_mad_u32_u24 v7, v10, 33, v0
	s_lshl_b64 s[10:11], s[26:27], 6
	v_lshlrev_b32_e32 v11, 3, v7
	v_lshl_add_u64 v[4:5], v[24:25], 0, s[10:11]
	s_mul_i32 s12, s27, 0xc0
	v_add_u32_e32 v8, 24, v10
	v_add_u32_e32 v9, 0x318, v7
	s_waitcnt vmcnt(0) lgkmcnt(0)
	ds_write_b64 v11, v[2:3]
	flat_load_dwordx2 v[2:3], v[4:5]
	v_lshl_add_u64 v[4:5], v[4:5], 0, s[10:11]
	s_waitcnt vmcnt(0) lgkmcnt(0)
	ds_write_b64 v11, v[2:3] offset:2112
	flat_load_dwordx2 v[2:3], v[4:5]
	v_mov_b32_e32 v4, 0xc0
	v_mad_u64_u32 v[4:5], s[10:11], s26, v4, v[24:25]
	v_add_u32_e32 v5, s12, v5
	s_waitcnt vmcnt(0) lgkmcnt(0)
	ds_write_b64 v11, v[2:3] offset:4224
	flat_load_dwordx2 v[12:13], v[4:5]
	v_add_u32_e32 v4, 8, v10
	v_add_u32_e32 v5, 16, v10
	;; [unrolled: 1-line block ×4, first 2 shown]
	s_waitcnt vmcnt(0) lgkmcnt(0)
	ds_write_b64 v11, v[12:13] offset:6336
	s_cbranch_execz .LBB186_75
	s_branch .LBB186_90
.LBB186_71:
	ds_read_b64 v[4:5], v11
	s_waitcnt lgkmcnt(0)
	ds_write_b64 v1, v[4:5]
	s_or_b64 exec, exec, s[40:41]
	s_and_saveexec_b64 s[8:9], s[10:11]
	s_cbranch_execz .LBB186_64
.LBB186_72:
	ds_read_b64 v[4:5], v9
	s_waitcnt lgkmcnt(0)
	ds_write_b64 v1, v[4:5] offset:8
	s_or_b64 exec, exec, s[8:9]
	s_and_saveexec_b64 s[8:9], s[12:13]
	s_cbranch_execz .LBB186_65
.LBB186_73:
	ds_read_b64 v[4:5], v9 offset:264
	s_waitcnt lgkmcnt(0)
	ds_write_b64 v1, v[4:5] offset:16
	s_or_b64 exec, exec, s[8:9]
	s_and_saveexec_b64 s[8:9], s[14:15]
	s_cbranch_execnz .LBB186_66
	s_branch .LBB186_67
.LBB186_74:
                                        ; implicit-def: $vgpr7
                                        ; implicit-def: $vgpr4
                                        ; implicit-def: $vgpr2
                                        ; implicit-def: $vgpr5
                                        ; implicit-def: $vgpr3
                                        ; implicit-def: $vgpr8
                                        ; implicit-def: $vgpr9
.LBB186_75:
	v_or_b32_e32 v4, 32, v0
	v_lshlrev_b32_e32 v2, 3, v4
	v_sub_co_u32_e32 v2, vcc, v24, v2
	s_ashr_i32 s31, s30, 31
	s_nop 0
	v_subbrev_co_u32_e32 v3, vcc, 0, v25, vcc
	v_lshl_add_u64 v[2:3], s[30:31], 3, v[2:3]
	v_lshl_add_u64 v[2:3], v[2:3], 0, -8
	v_cmp_gt_i32_e32 vcc, s30, v4
	v_mov_b32_e32 v4, 0
	v_cmp_gt_i32_e64 s[10:11], s30, v10
	v_cndmask_b32_e32 v3, v3, v25, vcc
	v_cndmask_b32_e32 v2, v2, v24, vcc
	v_mov_b32_e32 v5, v4
	s_and_saveexec_b64 s[12:13], s[10:11]
	s_cbranch_execz .LBB186_77
; %bb.76:
	flat_load_dwordx2 v[4:5], v[2:3]
.LBB186_77:
	s_or_b64 exec, exec, s[12:13]
	v_mad_u32_u24 v7, v10, 33, v0
	v_lshlrev_b32_e32 v11, 3, v7
	s_waitcnt vmcnt(0) lgkmcnt(0)
	ds_write_b64 v11, v[4:5]
	v_add_u32_e32 v4, 8, v10
	v_cmp_le_i32_e64 s[10:11], s30, v4
	s_and_saveexec_b64 s[12:13], s[10:11]
	s_xor_b64 s[10:11], exec, s[12:13]
	s_cbranch_execz .LBB186_79
; %bb.78:
	v_mul_u32_u24_e32 v5, 33, v4
	v_mov_b32_e32 v8, 0
	v_add_lshl_u32 v5, v5, v0, 3
	v_mov_b32_e32 v9, v8
	ds_write_b64 v5, v[8:9]
.LBB186_79:
	s_andn2_saveexec_b64 s[10:11], s[10:11]
	s_cbranch_execz .LBB186_81
; %bb.80:
	s_lshl_b64 s[12:13], s[26:27], 6
	v_lshl_add_u64 v[8:9], v[2:3], 0, s[12:13]
	flat_load_dwordx2 v[8:9], v[8:9]
	s_waitcnt vmcnt(0) lgkmcnt(0)
	ds_write_b64 v11, v[8:9] offset:2112
.LBB186_81:
	s_or_b64 exec, exec, s[10:11]
	v_add_u32_e32 v5, 16, v10
	v_cmp_le_i32_e64 s[10:11], s30, v5
	s_and_saveexec_b64 s[12:13], s[10:11]
	s_xor_b64 s[10:11], exec, s[12:13]
	s_cbranch_execz .LBB186_83
; %bb.82:
	v_mul_u32_u24_e32 v8, 33, v5
	v_add_lshl_u32 v12, v8, v0, 3
	v_mov_b32_e32 v8, 0
	v_mov_b32_e32 v9, v8
	ds_write_b64 v12, v[8:9]
.LBB186_83:
	s_andn2_saveexec_b64 s[10:11], s[10:11]
	s_cbranch_execz .LBB186_85
; %bb.84:
	s_lshl_b64 s[12:13], s[26:27], 7
	v_lshl_add_u64 v[8:9], v[2:3], 0, s[12:13]
	flat_load_dwordx2 v[8:9], v[8:9]
	s_waitcnt vmcnt(0) lgkmcnt(0)
	ds_write_b64 v11, v[8:9] offset:4224
.LBB186_85:
	s_or_b64 exec, exec, s[10:11]
	v_add_u32_e32 v8, 24, v10
	v_cmp_le_i32_e64 s[10:11], s30, v8
                                        ; implicit-def: $vgpr9
	s_and_saveexec_b64 s[12:13], s[10:11]
	s_xor_b64 s[10:11], exec, s[12:13]
	s_cbranch_execz .LBB186_87
; %bb.86:
	v_mov_b32_e32 v12, 0
	v_add_u32_e32 v9, 0x318, v7
	v_mov_b32_e32 v13, v12
	ds_write_b64 v11, v[12:13] offset:6336
                                        ; implicit-def: $vgpr11
.LBB186_87:
	s_andn2_saveexec_b64 s[10:11], s[10:11]
	s_cbranch_execz .LBB186_89
; %bb.88:
	v_mov_b32_e32 v9, 0xc0
	v_mad_u64_u32 v[12:13], s[12:13], s26, v9, v[2:3]
	s_mul_i32 s12, s27, 0xc0
	s_nop 0
	v_add_u32_e32 v13, s12, v13
	flat_load_dwordx2 v[12:13], v[12:13]
	v_add_u32_e32 v9, 0x318, v7
	s_waitcnt vmcnt(0) lgkmcnt(0)
	ds_write_b64 v11, v[12:13] offset:6336
.LBB186_89:
	s_or_b64 exec, exec, s[10:11]
	v_lshlrev_b32_e32 v12, 3, v0
	v_mov_b32_e32 v13, 0
	v_lshl_add_u64 v[2:3], v[2:3], 0, v[12:13]
	s_lshl_b64 s[10:11], s[30:31], 3
	v_mov_b32_e32 v0, s11
	v_subrev_co_u32_e64 v2, s[10:11], s10, v2
	s_nop 1
	v_subb_co_u32_e64 v3, s[10:11], v3, v0, s[10:11]
	s_mov_b64 s[10:11], 0x108
	s_nop 0
	v_lshl_add_u64 v[2:3], v[2:3], 0, s[10:11]
	v_cndmask_b32_e32 v25, v3, v25, vcc
	v_cndmask_b32_e32 v24, v2, v24, vcc
	v_add_u32_e32 v2, 0x108, v7
	v_add_u32_e32 v3, 0x210, v7
.LBB186_90:
	v_lshlrev_b32_e32 v0, 3, v7
	s_waitcnt lgkmcnt(0)
	s_barrier
	ds_read_b64 v[30:31], v0
	v_lshlrev_b32_e32 v7, 3, v10
	v_lshlrev_b32_e32 v12, 3, v2
	;; [unrolled: 1-line block ×7, first 2 shown]
	ds_read_b64 v[32:33], v0
	ds_read2_b64 v[8:11], v1 offset1:1
	ds_read2_b64 v[0:3], v1 offset0:2 offset1:3
	ds_read_b64 v[34:35], v4 offset:9088
	ds_read_b64 v[36:37], v12
	ds_read_b64 v[38:39], v7 offset:9088
	ds_read_b128 v[12:15], v6 offset:256
	ds_read_b128 v[4:7], v6 offset:272
	ds_read_b64 v[40:41], v40 offset:9088
	ds_read_b64 v[42:43], v42
	ds_read_b64 v[44:45], v44 offset:9088
	s_waitcnt lgkmcnt(5)
	v_pk_mul_f32 v[46:47], v[38:39], v[30:31] op_sel:[0,1]
	s_waitcnt lgkmcnt(0)
	v_pk_fma_f32 v[48:49], v[38:39], v[30:31], v[46:47] op_sel:[0,0,1] op_sel_hi:[1,1,0] neg_lo:[0,0,1] neg_hi:[0,0,1]
	v_pk_fma_f32 v[30:31], v[38:39], v[30:31], v[46:47] op_sel:[0,0,1] op_sel_hi:[1,0,0]
	v_pk_mul_f32 v[38:39], v[34:35], v[36:37] op_sel:[0,1]
	v_mov_b32_e32 v49, v31
	v_pk_fma_f32 v[46:47], v[34:35], v[36:37], v[38:39] op_sel:[0,0,1] op_sel_hi:[1,1,0] neg_lo:[0,0,1] neg_hi:[0,0,1]
	v_pk_fma_f32 v[34:35], v[34:35], v[36:37], v[38:39] op_sel:[0,0,1] op_sel_hi:[1,0,0]
	v_pk_add_f32 v[30:31], v[48:49], 0 op_sel_hi:[1,0]
	v_mov_b32_e32 v47, v35
	v_pk_mul_f32 v[34:35], v[44:45], v[32:33] op_sel:[0,1]
	v_pk_add_f32 v[30:31], v[30:31], v[46:47]
	v_pk_fma_f32 v[36:37], v[44:45], v[32:33], v[34:35] op_sel:[0,0,1] op_sel_hi:[1,1,0] neg_lo:[0,0,1] neg_hi:[0,0,1]
	v_pk_fma_f32 v[32:33], v[44:45], v[32:33], v[34:35] op_sel:[0,0,1] op_sel_hi:[1,0,0]
	s_barrier
	v_mov_b32_e32 v37, v33
	v_pk_mul_f32 v[32:33], v[40:41], v[42:43] op_sel:[0,1]
	v_pk_add_f32 v[30:31], v[30:31], v[36:37]
	v_pk_fma_f32 v[34:35], v[40:41], v[42:43], v[32:33] op_sel:[0,0,1] op_sel_hi:[1,1,0] neg_lo:[0,0,1] neg_hi:[0,0,1]
	v_pk_fma_f32 v[32:33], v[40:41], v[42:43], v[32:33] op_sel:[0,0,1] op_sel_hi:[1,0,0]
	s_nop 0
	v_mov_b32_e32 v35, v33
	v_pk_add_f32 v[30:31], v[30:31], v[34:35]
	ds_write_b64 v29, v[30:31]
	s_waitcnt lgkmcnt(0)
	s_barrier
	s_and_saveexec_b64 s[10:11], s[8:9]
	s_cbranch_execz .LBB186_92
; %bb.91:
	v_lshlrev_b32_e32 v42, 3, v28
	ds_read2_b64 v[30:33], v42 offset1:1
	ds_read2_b64 v[34:37], v42 offset0:2 offset1:3
	ds_read2_b64 v[38:41], v42 offset0:4 offset1:5
	s_waitcnt lgkmcnt(2)
	v_pk_add_f32 v[18:19], v[18:19], v[30:31]
	s_nop 0
	v_pk_add_f32 v[18:19], v[18:19], v[32:33]
	ds_read2_b64 v[30:33], v42 offset0:6 offset1:7
	s_waitcnt lgkmcnt(2)
	v_pk_add_f32 v[18:19], v[18:19], v[34:35]
	s_nop 0
	v_pk_add_f32 v[18:19], v[18:19], v[36:37]
	s_waitcnt lgkmcnt(1)
	v_pk_add_f32 v[18:19], v[18:19], v[38:39]
	s_nop 0
	v_pk_add_f32 v[18:19], v[18:19], v[40:41]
	;; [unrolled: 4-line block ×3, first 2 shown]
.LBB186_92:
	s_or_b64 exec, exec, s[10:11]
	v_pk_mul_f32 v[30:31], v[12:13], v[8:9] op_sel:[0,1]
	s_nop 0
	v_pk_fma_f32 v[32:33], v[12:13], v[8:9], v[30:31] op_sel:[0,0,1] op_sel_hi:[1,1,0] neg_lo:[0,0,1] neg_hi:[0,0,1]
	v_pk_fma_f32 v[8:9], v[12:13], v[8:9], v[30:31] op_sel:[0,0,1] op_sel_hi:[1,0,0]
	v_mov_b32_e32 v12, v11
	v_pk_mul_f32 v[12:13], v[14:15], v[12:13] op_sel_hi:[1,0]
	v_mov_b32_e32 v33, v9
	v_pk_fma_f32 v[30:31], v[14:15], v[10:11], v[12:13] op_sel:[0,0,1] op_sel_hi:[1,1,0] neg_lo:[0,0,1] neg_hi:[0,0,1]
	v_pk_fma_f32 v[10:11], v[14:15], v[10:11], v[12:13] op_sel:[0,0,1] op_sel_hi:[1,0,0]
	v_pk_add_f32 v[8:9], v[32:33], 0 op_sel_hi:[1,0]
	v_mov_b32_e32 v31, v11
	v_pk_mul_f32 v[10:11], v[4:5], v[0:1] op_sel:[0,1]
	v_pk_add_f32 v[8:9], v[8:9], v[30:31]
	v_pk_fma_f32 v[12:13], v[4:5], v[0:1], v[10:11] op_sel:[0,0,1] op_sel_hi:[1,1,0] neg_lo:[0,0,1] neg_hi:[0,0,1]
	v_pk_fma_f32 v[0:1], v[4:5], v[0:1], v[10:11] op_sel:[0,0,1] op_sel_hi:[1,0,0]
	v_mov_b32_e32 v4, v3
	v_mov_b32_e32 v13, v1
	v_pk_mul_f32 v[4:5], v[6:7], v[4:5] op_sel_hi:[1,0]
	v_pk_add_f32 v[0:1], v[8:9], v[12:13]
	v_pk_fma_f32 v[8:9], v[6:7], v[2:3], v[4:5] op_sel:[0,0,1] op_sel_hi:[1,1,0] neg_lo:[0,0,1] neg_hi:[0,0,1]
	v_pk_fma_f32 v[2:3], v[6:7], v[2:3], v[4:5] op_sel:[0,0,1] op_sel_hi:[1,0,0]
	s_barrier
	v_mov_b32_e32 v9, v3
	v_pk_add_f32 v[0:1], v[0:1], v[8:9]
	ds_write_b64 v29, v[0:1]
	s_waitcnt lgkmcnt(0)
	s_barrier
	s_and_saveexec_b64 s[8:9], s[6:7]
	s_cbranch_execz .LBB186_94
; %bb.93:
	v_lshlrev_b32_e32 v14, 3, v28
	ds_read2_b64 v[0:3], v14 offset1:1
	ds_read2_b64 v[4:7], v14 offset0:2 offset1:3
	ds_read2_b64 v[8:11], v14 offset0:4 offset1:5
	s_waitcnt lgkmcnt(2)
	v_pk_add_f32 v[0:1], v[18:19], v[0:1]
	s_nop 0
	v_pk_add_f32 v[12:13], v[0:1], v[2:3]
	ds_read2_b64 v[0:3], v14 offset0:6 offset1:7
	s_waitcnt lgkmcnt(2)
	v_pk_add_f32 v[4:5], v[12:13], v[4:5]
	s_nop 0
	v_pk_add_f32 v[4:5], v[4:5], v[6:7]
	s_waitcnt lgkmcnt(1)
	v_pk_add_f32 v[4:5], v[4:5], v[8:9]
	s_nop 0
	v_pk_add_f32 v[4:5], v[4:5], v[10:11]
	;; [unrolled: 4-line block ×3, first 2 shown]
.LBB186_94:
	s_or_b64 exec, exec, s[8:9]
	s_load_dwordx2 s[0:1], s[0:1], 0x68
	s_mul_hi_u32 s6, s3, s28
	s_mul_i32 s33, s33, s28
	s_add_i32 s6, s6, s33
	s_mul_i32 s8, s3, s28
	s_mul_i32 s6, s6, s29
	s_mul_hi_u32 s7, s8, s29
	s_add_i32 s7, s7, s6
	s_mul_i32 s6, s8, s29
	s_lshl_b64 s[6:7], s[6:7], 3
	s_waitcnt lgkmcnt(0)
	s_add_u32 s6, s0, s6
	s_mul_i32 s0, s2, s3
	s_addc_u32 s7, s1, s7
	s_ashr_i32 s1, s0, 31
	s_lshl_b64 s[0:1], s[0:1], 3
	s_add_u32 s6, s6, s0
	v_cmp_le_i32_e32 vcc, s30, v26
	s_addc_u32 s7, s7, s1
	s_and_b64 vcc, s[38:39], vcc
	s_cmp_lt_i32 s2, 1
	v_lshlrev_b32_e32 v4, 3, v26
	s_barrier
	s_cbranch_scc1 .LBB186_101
; %bb.95:
	s_mul_i32 s0, s34, s23
	s_mul_hi_u32 s1, s34, s22
	s_add_i32 s0, s1, s0
	s_mul_i32 s1, s35, s22
	s_add_i32 s1, s0, s1
	s_mul_i32 s0, s34, s22
	s_lshl_b64 s[0:1], s[0:1], 3
	v_mov_b32_e32 v0, s1
	v_subrev_co_u32_e64 v6, s[0:1], s0, v20
	v_lshlrev_b32_e32 v5, 2, v76
	s_nop 0
	v_subb_co_u32_e64 v7, s[0:1], v21, v0, s[0:1]
	v_mov_b32_e32 v0, s37
	v_subrev_co_u32_e64 v2, s[0:1], s36, v24
	s_ashr_i32 s31, s30, 31
	s_nop 0
	v_subb_co_u32_e64 v3, s[0:1], v25, v0, s[0:1]
	v_lshlrev_b64 v[0:1], 3, v[22:23]
	v_sub_co_u32_e64 v0, s[0:1], v2, v0
	v_and_b32_e32 v12, 15, v26
	s_nop 0
	v_subb_co_u32_e64 v1, s[0:1], v3, v1, s[0:1]
	v_mad_u64_u32 v[2:3], s[0:1], v5, s26, 0
	v_mov_b32_e32 v8, v3
	v_mad_u64_u32 v[8:9], s[0:1], v5, s27, v[8:9]
	v_mov_b32_e32 v3, v8
	s_movk_i32 s0, 0xff00
	v_lshl_add_u64 v[0:1], v[2:3], 3, v[0:1]
	s_mov_b32 s1, -1
	v_lshl_add_u64 v[0:1], v[0:1], 0, s[0:1]
	v_mov_b32_e32 v9, 0
	v_lshl_add_u64 v[2:3], s[30:31], 3, v[0:1]
	v_mov_b32_e32 v5, v9
	v_lshl_add_u64 v[2:3], v[2:3], 0, -8
	v_lshl_add_u64 v[0:1], v[0:1], 0, v[4:5]
	v_cndmask_b32_e32 v10, v0, v2, vcc
	v_and_b32_e32 v0, 48, v26
	v_cndmask_b32_e32 v11, v1, v3, vcc
	v_lshlrev_b32_e32 v1, 3, v0
	s_movk_i32 s3, 0x218
	v_lshrrev_b32_e32 v13, 4, v27
	v_mad_u32_u24 v78, v12, s3, v1
	v_or_b32_e32 v1, 0x78, v4
	v_mad_u32_u24 v79, v12, s3, v1
	v_lshlrev_b32_e32 v1, 5, v13
	v_mad_u32_u24 v80, v12, s3, v1
	v_mov_b32_e32 v1, 0x2180
	v_lshl_add_u32 v81, v76, 5, v1
	v_lshlrev_b32_e32 v1, 3, v13
	v_mad_u32_u24 v83, v12, s3, v1
	s_mul_i32 s3, s27, 24
	s_mul_hi_u32 s14, s26, 24
	s_add_i32 s15, s14, s3
	s_mul_i32 s3, s27, 0x90
	s_mul_hi_u32 s20, s26, 0x90
	s_add_i32 s21, s20, s3
	;; [unrolled: 3-line block ×8, first 2 shown]
	s_mul_i32 s3, s27, 0x188
	s_mul_hi_u32 s33, s26, 0x188
	s_movk_i32 s8, 0x860
	s_add_i32 s43, s33, s3
	s_mul_i32 s3, s27, 0x108
	s_mul_hi_u32 s33, s26, 0x108
	v_mad_u32_u24 v82, v76, s8, v4
	s_lshl_b64 s[8:9], s[26:27], 3
	s_lshl_b64 s[10:11], s[26:27], 4
	;; [unrolled: 1-line block ×4, first 2 shown]
	s_add_i32 s45, s33, s3
	s_mul_i32 s3, s27, 0x88
	s_mul_hi_u32 s27, s26, 0x88
	v_add_u32_e32 v5, 0x2180, v4
	v_add_u32_e32 v77, 0x2380, v4
	v_cmp_gt_u32_e64 s[0:1], 64, v27
	s_mul_i32 s14, s26, 24
	s_mul_i32 s20, s26, 0x90
	;; [unrolled: 1-line block ×10, first 2 shown]
	s_add_i32 s27, s27, s3
	s_mulk_i32 s26, 0x88
	v_or_b32_e32 v84, v0, v12
	s_mov_b32 s3, 0
	s_branch .LBB186_97
.LBB186_96:                             ;   in Loop: Header=BB186_97 Depth=1
	s_or_b64 exec, exec, s[46:47]
	v_mul_f32_e32 v8, v25, v23
	v_fma_f32 v8, v24, v22, -v8
	v_add_f32_e32 v8, v18, v8
	v_mul_f32_e32 v18, v31, v21
	v_fma_f32 v18, v30, v20, -v18
	v_add_f32_e32 v8, v8, v18
	v_mul_f32_e32 v18, v29, v15
	v_fma_f32 v18, v28, v14, -v18
	v_mul_f32_e32 v22, v25, v22
	v_add_f32_e32 v8, v8, v18
	v_mul_f32_e32 v18, v27, v13
	v_mul_f32_e32 v20, v31, v20
	v_fma_f32 v18, v26, v12, -v18
	v_fmac_f32_e32 v22, v24, v23
	v_mul_f32_e32 v14, v29, v14
	v_add_f32_e32 v8, v8, v18
	v_add_f32_e32 v18, v19, v22
	v_fmac_f32_e32 v20, v30, v21
	v_mul_f32_e32 v12, v27, v12
	v_add_f32_e32 v18, v18, v20
	v_fmac_f32_e32 v14, v28, v15
	v_add_f32_e32 v14, v18, v14
	v_fmac_f32_e32 v12, v26, v13
	v_add_f32_e32 v13, v14, v12
	v_mul_f32_e32 v12, v41, v39
	v_fma_f32 v12, v40, v38, -v12
	v_add_f32_e32 v8, v8, v12
	v_mul_f32_e32 v12, v55, v37
	v_fma_f32 v12, v54, v36, -v12
	v_mul_f32_e32 v20, v41, v38
	v_add_f32_e32 v12, v8, v12
	v_mul_f32_e32 v8, v49, v33
	v_mul_f32_e32 v21, v55, v36
	v_fma_f32 v14, v48, v32, -v8
	v_mul_f32_e32 v8, v51, v35
	v_fmac_f32_e32 v20, v40, v39
	v_mul_f32_e32 v15, v49, v32
	v_fma_f32 v18, v50, v34, -v8
	v_add_f32_e32 v8, v13, v20
	v_fmac_f32_e32 v21, v54, v37
	v_mul_f32_e32 v19, v51, v34
	v_add_f32_e32 v13, v8, v21
	v_fmac_f32_e32 v15, v48, v33
	v_mov_b32_e32 v8, v53
	v_fmac_f32_e32 v19, v50, v35
	v_pk_add_f32 v[12:13], v[12:13], v[14:15]
	v_pk_mul_f32 v[14:15], v[56:57], v[8:9] op_sel_hi:[1,0]
	v_pk_add_f32 v[12:13], v[12:13], v[18:19]
	v_pk_fma_f32 v[18:19], v[56:57], v[52:53], v[14:15] op_sel:[0,0,1] op_sel_hi:[1,1,0] neg_lo:[0,0,1] neg_hi:[0,0,1]
	v_pk_fma_f32 v[14:15], v[56:57], v[52:53], v[14:15] op_sel:[0,0,1] op_sel_hi:[1,0,0]
	v_mov_b32_e32 v8, v47
	v_mov_b32_e32 v19, v15
	v_pk_mul_f32 v[14:15], v[0:1], v[8:9] op_sel_hi:[1,0]
	v_pk_add_f32 v[12:13], v[12:13], v[18:19]
	v_pk_fma_f32 v[18:19], v[0:1], v[46:47], v[14:15] op_sel:[0,0,1] op_sel_hi:[1,1,0] neg_lo:[0,0,1] neg_hi:[0,0,1]
	v_pk_fma_f32 v[0:1], v[0:1], v[46:47], v[14:15] op_sel:[0,0,1] op_sel_hi:[1,0,0]
	v_mov_b32_e32 v8, v45
	v_mov_b32_e32 v19, v1
	v_pk_add_f32 v[0:1], v[12:13], v[18:19]
	v_pk_mul_f32 v[12:13], v[2:3], v[8:9] op_sel_hi:[1,0]
	s_add_i32 s3, s3, 64
	v_pk_fma_f32 v[14:15], v[2:3], v[44:45], v[12:13] op_sel:[0,0,1] op_sel_hi:[1,1,0] neg_lo:[0,0,1] neg_hi:[0,0,1]
	v_pk_fma_f32 v[2:3], v[2:3], v[44:45], v[12:13] op_sel:[0,0,1] op_sel_hi:[1,0,0]
	s_add_i32 s2, s2, -1
	v_mov_b32_e32 v2, v43
	v_mov_b32_e32 v15, v3
	v_pk_mul_f32 v[2:3], v[60:61], v[2:3] op_sel_hi:[1,0]
	v_pk_add_f32 v[0:1], v[0:1], v[14:15]
	v_pk_fma_f32 v[12:13], v[60:61], v[42:43], v[2:3] op_sel:[0,0,1] op_sel_hi:[1,1,0] neg_lo:[0,0,1] neg_hi:[0,0,1]
	v_pk_fma_f32 v[2:3], v[60:61], v[42:43], v[2:3] op_sel:[0,0,1] op_sel_hi:[1,0,0]
	s_cmp_eq_u32 s2, 0
	v_mov_b32_e32 v2, v67
	v_mov_b32_e32 v13, v3
	v_pk_mul_f32 v[2:3], v[68:69], v[2:3] op_sel_hi:[1,0]
	v_pk_add_f32 v[0:1], v[0:1], v[12:13]
	v_pk_fma_f32 v[12:13], v[68:69], v[66:67], v[2:3] op_sel:[0,0,1] op_sel_hi:[1,1,0] neg_lo:[0,0,1] neg_hi:[0,0,1]
	v_pk_fma_f32 v[2:3], v[68:69], v[66:67], v[2:3] op_sel:[0,0,1] op_sel_hi:[1,0,0]
	v_lshl_add_u64 v[10:11], v[10:11], 0, s[12:13]
	v_mov_b32_e32 v2, v65
	v_mov_b32_e32 v13, v3
	v_pk_mul_f32 v[2:3], v[74:75], v[2:3] op_sel_hi:[1,0]
	v_pk_add_f32 v[0:1], v[0:1], v[12:13]
	v_pk_fma_f32 v[14:15], v[74:75], v[64:65], v[2:3] op_sel:[0,0,1] op_sel_hi:[1,1,0] neg_lo:[0,0,1] neg_hi:[0,0,1]
	v_pk_fma_f32 v[2:3], v[74:75], v[64:65], v[2:3] op_sel:[0,0,1] op_sel_hi:[1,0,0]
	s_nop 0
	v_mov_b32_e32 v2, v63
	v_mov_b32_e32 v15, v3
	v_pk_mul_f32 v[2:3], v[72:73], v[2:3] op_sel_hi:[1,0]
	v_pk_add_f32 v[0:1], v[0:1], v[14:15]
	v_pk_fma_f32 v[18:19], v[72:73], v[62:63], v[2:3] op_sel:[0,0,1] op_sel_hi:[1,1,0] neg_lo:[0,0,1] neg_hi:[0,0,1]
	v_pk_fma_f32 v[2:3], v[72:73], v[62:63], v[2:3] op_sel:[0,0,1] op_sel_hi:[1,0,0]
	s_barrier
	v_mov_b32_e32 v2, v59
	v_mov_b32_e32 v19, v3
	v_pk_mul_f32 v[2:3], v[70:71], v[2:3] op_sel_hi:[1,0]
	v_pk_add_f32 v[0:1], v[0:1], v[18:19]
	v_pk_fma_f32 v[20:21], v[70:71], v[58:59], v[2:3] op_sel:[0,0,1] op_sel_hi:[1,1,0] neg_lo:[0,0,1] neg_hi:[0,0,1]
	v_pk_fma_f32 v[2:3], v[70:71], v[58:59], v[2:3] op_sel:[0,0,1] op_sel_hi:[1,0,0]
	s_nop 0
	v_mov_b32_e32 v21, v3
	v_pk_add_f32 v[18:19], v[0:1], v[20:21]
	s_cbranch_scc1 .LBB186_101
.LBB186_97:                             ; =>This Inner Loop Header: Depth=1
	s_and_saveexec_b64 s[46:47], s[18:19]
	s_cbranch_execz .LBB186_99
; %bb.98:                               ;   in Loop: Header=BB186_97 Depth=1
	s_mul_i32 s33, s3, s23
	s_mul_hi_u32 s48, s3, s22
	s_add_i32 s49, s48, s33
	s_mul_i32 s48, s3, s22
	v_lshl_add_u64 v[0:1], s[48:49], 3, v[6:7]
	flat_load_dwordx2 v[0:1], v[0:1]
	s_waitcnt vmcnt(0) lgkmcnt(0)
	ds_write_b64 v5, v[0:1]
.LBB186_99:                             ;   in Loop: Header=BB186_97 Depth=1
	s_or_b64 exec, exec, s[46:47]
	v_lshl_add_u64 v[0:1], v[10:11], 0, s[8:9]
	s_waitcnt lgkmcnt(0)
	s_barrier
	flat_load_dwordx2 v[22:23], v[10:11]
	flat_load_dwordx2 v[20:21], v[0:1]
	v_lshl_add_u64 v[0:1], v[10:11], 0, s[10:11]
	flat_load_dwordx2 v[14:15], v[0:1]
	v_lshl_add_u64 v[0:1], v[10:11], 0, s[14:15]
	flat_load_dwordx2 v[12:13], v[0:1]
	ds_read_b64 v[0:1], v77
	ds_read_b64 v[24:25], v81
	v_lshl_add_u64 v[2:3], v[10:11], 0, s[16:17]
	v_lshl_add_u64 v[58:59], v[10:11], 0, s[36:37]
	s_waitcnt vmcnt(0) lgkmcnt(0)
	v_mul_f32_e32 v8, v1, v23
	v_mul_f32_e32 v27, v1, v22
	v_fma_f32 v26, v0, v22, -v8
	v_fmac_f32_e32 v27, v0, v23
	v_mul_f32_e32 v8, v1, v21
	v_mul_f32_e32 v29, v1, v20
	;; [unrolled: 1-line block ×5, first 2 shown]
	ds_write_b64 v82, v[26:27]
	v_fma_f32 v28, v0, v20, -v8
	v_fmac_f32_e32 v29, v0, v21
	v_mul_f32_e32 v35, v0, v13
	v_fma_f32 v32, v0, v14, -v30
	v_fmac_f32_e32 v33, v0, v15
	v_fma_f32 v34, v0, v12, -v31
	ds_read_b64 v[30:31], v81 offset:8
	ds_write_b64 v82, v[28:29] offset:536
	v_fmac_f32_e32 v35, v1, v12
	ds_read_b64 v[28:29], v81 offset:16
	ds_write_b64 v82, v[32:33] offset:1072
	ds_read_b64 v[26:27], v81 offset:24
	ds_write_b64 v82, v[34:35] offset:1608
	s_waitcnt lgkmcnt(0)
	s_barrier
	ds_read2_b64 v[68:71], v80 offset1:1
	ds_read2_b64 v[72:75], v80 offset0:2 offset1:3
	s_waitcnt lgkmcnt(0)
	s_barrier
	flat_load_dwordx2 v[38:39], v[2:3]
	v_lshl_add_u64 v[0:1], v[10:11], 0, s[26:27]
	flat_load_dwordx2 v[36:37], v[0:1]
	v_lshl_add_u64 v[0:1], v[10:11], 0, s[20:21]
	;; [unrolled: 2-line block ×3, first 2 shown]
	flat_load_dwordx2 v[34:35], v[0:1]
	ds_read_b64 v[0:1], v77
	ds_read_b64 v[40:41], v81 offset:128
	v_lshl_add_u64 v[2:3], v[10:11], 0, s[24:25]
	v_pk_add_f32 v[68:69], v[68:69], 0 op_sel_hi:[1,0]
	s_waitcnt vmcnt(0) lgkmcnt(0)
	v_mul_f32_e32 v8, v1, v39
	v_mul_f32_e32 v43, v1, v38
	v_mul_f32_e32 v44, v1, v37
	v_mul_f32_e32 v45, v1, v36
	v_fma_f32 v42, v0, v38, -v8
	v_fmac_f32_e32 v43, v0, v39
	v_mul_f32_e32 v46, v1, v33
	v_mul_f32_e32 v47, v1, v32
	v_fma_f32 v44, v0, v36, -v44
	v_fmac_f32_e32 v45, v0, v37
	ds_write_b64 v82, v[42:43]
	v_mul_f32_e32 v48, v1, v35
	v_mul_f32_e32 v53, v0, v35
	v_fma_f32 v46, v0, v32, -v46
	v_fmac_f32_e32 v47, v0, v33
	ds_read_b64 v[54:55], v81 offset:136
	ds_write_b64 v82, v[44:45] offset:536
	v_fma_f32 v52, v0, v34, -v48
	v_fmac_f32_e32 v53, v1, v34
	ds_read_b64 v[48:49], v81 offset:144
	ds_write_b64 v82, v[46:47] offset:1072
	v_lshl_add_u64 v[0:1], v[10:11], 0, s[44:45]
	ds_read_b64 v[50:51], v81 offset:152
	ds_write_b64 v82, v[52:53] offset:1608
	s_waitcnt lgkmcnt(0)
	s_barrier
	ds_read2_b64 v[86:89], v80 offset1:1
	ds_read2_b64 v[90:93], v80 offset0:2 offset1:3
	s_waitcnt lgkmcnt(0)
	s_barrier
	flat_load_dwordx2 v[52:53], v[2:3]
	flat_load_dwordx2 v[46:47], v[0:1]
	v_lshl_add_u64 v[0:1], v[10:11], 0, s[30:31]
	flat_load_dwordx2 v[44:45], v[0:1]
	v_lshl_add_u64 v[0:1], v[10:11], 0, s[34:35]
	flat_load_dwordx2 v[42:43], v[0:1]
	ds_read_b64 v[0:1], v77
	ds_read_b64 v[56:57], v81 offset:256
	v_pk_add_f32 v[68:69], v[68:69], v[70:71]
	s_waitcnt vmcnt(0) lgkmcnt(0)
	v_mul_f32_e32 v2, v1, v53
	v_mul_f32_e32 v3, v1, v52
	;; [unrolled: 1-line block ×8, first 2 shown]
	v_fma_f32 v2, v0, v52, -v2
	v_fmac_f32_e32 v3, v0, v53
	v_fma_f32 v60, v0, v46, -v8
	v_fmac_f32_e32 v61, v0, v47
	;; [unrolled: 2-line block ×4, first 2 shown]
	ds_write2_b64 v82, v[2:3], v[60:61] offset1:67
	ds_write2_b64 v82, v[62:63], v[64:65] offset0:134 offset1:201
	ds_read2_b64 v[0:3], v81 offset0:33 offset1:34
	ds_read_b64 v[60:61], v81 offset:280
	s_waitcnt lgkmcnt(0)
	s_barrier
	ds_read2_b64 v[94:97], v80 offset1:1
	ds_read2_b64 v[98:101], v80 offset0:2 offset1:3
	s_waitcnt lgkmcnt(0)
	s_barrier
	flat_load_dwordx2 v[66:67], v[58:59]
	v_lshl_add_u64 v[58:59], v[10:11], 0, s[42:43]
	flat_load_dwordx2 v[64:65], v[58:59]
	v_lshl_add_u64 v[58:59], v[10:11], 0, s[38:39]
	;; [unrolled: 2-line block ×3, first 2 shown]
	flat_load_dwordx2 v[58:59], v[58:59]
	v_pk_add_f32 v[68:69], v[68:69], v[72:73]
	v_pk_add_f32 v[72:73], v[94:95], 0 op_sel_hi:[1,0]
	v_pk_add_f32 v[102:103], v[68:69], v[74:75]
	v_pk_add_f32 v[68:69], v[86:87], 0 op_sel_hi:[1,0]
	v_pk_add_f32 v[72:73], v[72:73], v[96:97]
	v_pk_add_f32 v[68:69], v[68:69], v[88:89]
	;; [unrolled: 1-line block ×6, first 2 shown]
	ds_read_b64 v[70:71], v77
	ds_read_b64 v[68:69], v81 offset:384
	s_waitcnt vmcnt(0) lgkmcnt(0)
	v_mul_f32_e32 v8, v71, v67
	v_mul_f32_e32 v73, v71, v66
	;; [unrolled: 1-line block ×4, first 2 shown]
	v_fma_f32 v72, v70, v66, -v8
	v_fmac_f32_e32 v73, v70, v67
	v_mul_f32_e32 v75, v71, v63
	v_mul_f32_e32 v89, v71, v62
	v_fma_f32 v86, v70, v64, -v74
	v_fmac_f32_e32 v87, v70, v65
	ds_write_b64 v82, v[72:73]
	v_mul_f32_e32 v85, v71, v59
	v_mul_f32_e32 v91, v70, v59
	v_fma_f32 v88, v70, v62, -v75
	v_fmac_f32_e32 v89, v70, v63
	ds_read_b64 v[74:75], v81 offset:392
	ds_write_b64 v82, v[86:87] offset:536
	v_fma_f32 v90, v70, v58, -v85
	v_fmac_f32_e32 v91, v71, v58
	ds_read_b64 v[72:73], v81 offset:400
	ds_write_b64 v82, v[88:89] offset:1072
	ds_read_b64 v[70:71], v81 offset:408
	ds_write_b64 v82, v[90:91] offset:1608
	s_waitcnt lgkmcnt(0)
	s_barrier
	ds_read2_b64 v[86:89], v80 offset1:1
	ds_read2_b64 v[90:93], v80 offset0:2 offset1:3
	s_waitcnt lgkmcnt(0)
	s_barrier
	v_pk_add_f32 v[86:87], v[86:87], 0 op_sel_hi:[1,0]
	ds_write2_b64 v83, v[102:103], v[104:105] offset1:16
	v_pk_add_f32 v[86:87], v[86:87], v[88:89]
	s_nop 0
	v_pk_add_f32 v[86:87], v[86:87], v[90:91]
	s_nop 0
	v_pk_add_f32 v[86:87], v[86:87], v[92:93]
	ds_write2_b64 v83, v[94:95], v[86:87] offset0:32 offset1:48
	s_waitcnt lgkmcnt(0)
	s_barrier
	s_and_saveexec_b64 s[46:47], s[0:1]
	s_cbranch_execz .LBB186_96
; %bb.100:                              ;   in Loop: Header=BB186_97 Depth=1
	ds_read_b64 v[94:95], v78
	ds_read2_b64 v[86:89], v78 offset0:1 offset1:2
	ds_read2_b64 v[90:93], v78 offset0:3 offset1:4
	s_waitcnt lgkmcnt(1)
	v_add_f32_e32 v8, v86, v94
	v_add_f32_e32 v85, v87, v95
	;; [unrolled: 1-line block ×4, first 2 shown]
	ds_read2_b64 v[86:89], v78 offset0:5 offset1:6
	s_waitcnt lgkmcnt(1)
	v_add_f32_e32 v8, v8, v90
	v_add_f32_e32 v85, v85, v91
	;; [unrolled: 1-line block ×4, first 2 shown]
	ds_read2_b64 v[90:93], v78 offset0:7 offset1:8
	s_waitcnt lgkmcnt(1)
	v_pk_add_f32 v[86:87], v[94:95], v[86:87]
	ds_read2_b64 v[94:97], v78 offset0:9 offset1:10
	v_pk_add_f32 v[86:87], v[86:87], v[88:89]
	v_add_u32_e32 v8, s3, v84
	s_waitcnt lgkmcnt(1)
	v_pk_add_f32 v[86:87], v[86:87], v[90:91]
	v_lshl_add_u64 v[98:99], v[8:9], 3, s[6:7]
	v_pk_add_f32 v[90:91], v[86:87], v[92:93]
	ds_read2_b64 v[86:89], v78 offset0:11 offset1:12
	s_waitcnt lgkmcnt(1)
	v_pk_add_f32 v[94:95], v[90:91], v[94:95]
	ds_read2_b64 v[90:93], v78 offset0:13 offset1:14
	v_pk_add_f32 v[94:95], v[94:95], v[96:97]
	ds_read_b64 v[96:97], v79
	s_waitcnt lgkmcnt(2)
	v_pk_add_f32 v[86:87], v[94:95], v[86:87]
	s_nop 0
	v_pk_add_f32 v[86:87], v[86:87], v[88:89]
	s_waitcnt lgkmcnt(1)
	v_pk_add_f32 v[86:87], v[86:87], v[90:91]
	s_nop 0
	v_pk_add_f32 v[86:87], v[86:87], v[92:93]
	s_waitcnt lgkmcnt(0)
	v_pk_add_f32 v[86:87], v[86:87], v[96:97]
	global_store_dwordx2 v[98:99], v[86:87], off
	s_branch .LBB186_96
.LBB186_101:
	s_movk_i32 s0, 0x218
	v_mad_u32_u24 v0, v76, s0, v4
	s_or_b64 s[0:1], s[4:5], vcc
	s_xor_b64 s[0:1], s[0:1], -1
	ds_write_b64 v0, v[18:19]
	s_waitcnt lgkmcnt(0)
	s_barrier
	s_and_saveexec_b64 s[2:3], s[0:1]
	s_cbranch_execz .LBB186_103
; %bb.102:
	ds_read2_b64 v[0:3], v4 offset1:67
	ds_read2_b64 v[4:7], v4 offset0:134 offset1:201
	v_lshl_add_u64 v[8:9], v[16:17], 3, s[6:7]
	s_waitcnt lgkmcnt(1)
	v_pk_add_f32 v[0:1], v[2:3], v[0:1]
	s_waitcnt lgkmcnt(0)
	v_pk_add_f32 v[0:1], v[0:1], v[4:5]
	s_nop 0
	v_pk_add_f32 v[0:1], v[0:1], v[6:7]
	global_store_dwordx2 v[8:9], v[0:1], off
.LBB186_103:
	s_endpgm
	.section	.rodata,"a",@progbits
	.p2align	6, 0x0
	.amdhsa_kernel _ZL26rocblas_hemvn_kernel_lowerILb0ELi64ELi4ELi33ELi32ELi16El19rocblas_complex_numIfEPKPKS1_PS1_EviT6_lT7_lT5_lS8_lS9_lS7_lT8_i
		.amdhsa_group_segment_fixed_size 9600
		.amdhsa_private_segment_fixed_size 0
		.amdhsa_kernarg_size 376
		.amdhsa_user_sgpr_count 2
		.amdhsa_user_sgpr_dispatch_ptr 0
		.amdhsa_user_sgpr_queue_ptr 0
		.amdhsa_user_sgpr_kernarg_segment_ptr 1
		.amdhsa_user_sgpr_dispatch_id 0
		.amdhsa_user_sgpr_kernarg_preload_length 0
		.amdhsa_user_sgpr_kernarg_preload_offset 0
		.amdhsa_user_sgpr_private_segment_size 0
		.amdhsa_uses_dynamic_stack 0
		.amdhsa_enable_private_segment 0
		.amdhsa_system_sgpr_workgroup_id_x 1
		.amdhsa_system_sgpr_workgroup_id_y 0
		.amdhsa_system_sgpr_workgroup_id_z 1
		.amdhsa_system_sgpr_workgroup_info 0
		.amdhsa_system_vgpr_workitem_id 1
		.amdhsa_next_free_vgpr 106
		.amdhsa_next_free_sgpr 50
		.amdhsa_accum_offset 108
		.amdhsa_reserve_vcc 1
		.amdhsa_float_round_mode_32 0
		.amdhsa_float_round_mode_16_64 0
		.amdhsa_float_denorm_mode_32 3
		.amdhsa_float_denorm_mode_16_64 3
		.amdhsa_dx10_clamp 1
		.amdhsa_ieee_mode 1
		.amdhsa_fp16_overflow 0
		.amdhsa_tg_split 0
		.amdhsa_exception_fp_ieee_invalid_op 0
		.amdhsa_exception_fp_denorm_src 0
		.amdhsa_exception_fp_ieee_div_zero 0
		.amdhsa_exception_fp_ieee_overflow 0
		.amdhsa_exception_fp_ieee_underflow 0
		.amdhsa_exception_fp_ieee_inexact 0
		.amdhsa_exception_int_div_zero 0
	.end_amdhsa_kernel
	.section	.text._ZL26rocblas_hemvn_kernel_lowerILb0ELi64ELi4ELi33ELi32ELi16El19rocblas_complex_numIfEPKPKS1_PS1_EviT6_lT7_lT5_lS8_lS9_lS7_lT8_i,"axG",@progbits,_ZL26rocblas_hemvn_kernel_lowerILb0ELi64ELi4ELi33ELi32ELi16El19rocblas_complex_numIfEPKPKS1_PS1_EviT6_lT7_lT5_lS8_lS9_lS7_lT8_i,comdat
.Lfunc_end186:
	.size	_ZL26rocblas_hemvn_kernel_lowerILb0ELi64ELi4ELi33ELi32ELi16El19rocblas_complex_numIfEPKPKS1_PS1_EviT6_lT7_lT5_lS8_lS9_lS7_lT8_i, .Lfunc_end186-_ZL26rocblas_hemvn_kernel_lowerILb0ELi64ELi4ELi33ELi32ELi16El19rocblas_complex_numIfEPKPKS1_PS1_EviT6_lT7_lT5_lS8_lS9_lS7_lT8_i
                                        ; -- End function
	.section	.AMDGPU.csdata,"",@progbits
; Kernel info:
; codeLenInByte = 7576
; NumSgprs: 56
; NumVgprs: 106
; NumAgprs: 0
; TotalNumVgprs: 106
; ScratchSize: 0
; MemoryBound: 1
; FloatMode: 240
; IeeeMode: 1
; LDSByteSize: 9600 bytes/workgroup (compile time only)
; SGPRBlocks: 6
; VGPRBlocks: 13
; NumSGPRsForWavesPerEU: 56
; NumVGPRsForWavesPerEU: 106
; AccumOffset: 108
; Occupancy: 4
; WaveLimiterHint : 0
; COMPUTE_PGM_RSRC2:SCRATCH_EN: 0
; COMPUTE_PGM_RSRC2:USER_SGPR: 2
; COMPUTE_PGM_RSRC2:TRAP_HANDLER: 0
; COMPUTE_PGM_RSRC2:TGID_X_EN: 1
; COMPUTE_PGM_RSRC2:TGID_Y_EN: 0
; COMPUTE_PGM_RSRC2:TGID_Z_EN: 1
; COMPUTE_PGM_RSRC2:TIDIG_COMP_CNT: 1
; COMPUTE_PGM_RSRC3_GFX90A:ACCUM_OFFSET: 26
; COMPUTE_PGM_RSRC3_GFX90A:TG_SPLIT: 0
	.section	.text._ZL26rocblas_hemvn_kernel_lowerILb0ELi64ELi4ELi33ELi32ELi16Ei19rocblas_complex_numIfEPKPKS1_PS1_EviT6_lT7_lT5_lS8_lS9_lS7_lT8_i,"axG",@progbits,_ZL26rocblas_hemvn_kernel_lowerILb0ELi64ELi4ELi33ELi32ELi16Ei19rocblas_complex_numIfEPKPKS1_PS1_EviT6_lT7_lT5_lS8_lS9_lS7_lT8_i,comdat
	.globl	_ZL26rocblas_hemvn_kernel_lowerILb0ELi64ELi4ELi33ELi32ELi16Ei19rocblas_complex_numIfEPKPKS1_PS1_EviT6_lT7_lT5_lS8_lS9_lS7_lT8_i ; -- Begin function _ZL26rocblas_hemvn_kernel_lowerILb0ELi64ELi4ELi33ELi32ELi16Ei19rocblas_complex_numIfEPKPKS1_PS1_EviT6_lT7_lT5_lS8_lS9_lS7_lT8_i
	.p2align	8
	.type	_ZL26rocblas_hemvn_kernel_lowerILb0ELi64ELi4ELi33ELi32ELi16Ei19rocblas_complex_numIfEPKPKS1_PS1_EviT6_lT7_lT5_lS8_lS9_lS7_lT8_i,@function
_ZL26rocblas_hemvn_kernel_lowerILb0ELi64ELi4ELi33ELi32ELi16Ei19rocblas_complex_numIfEPKPKS1_PS1_EviT6_lT7_lT5_lS8_lS9_lS7_lT8_i: ; @_ZL26rocblas_hemvn_kernel_lowerILb0ELi64ELi4ELi33ELi32ELi16Ei19rocblas_complex_numIfEPKPKS1_PS1_EviT6_lT7_lT5_lS8_lS9_lS7_lT8_i
; %bb.0:
	s_load_dwordx2 s[4:5], s[0:1], 0x84
	s_add_u32 s8, s0, 0x78
	s_mov_b32 s22, s3
	s_addc_u32 s9, s1, 0
	s_waitcnt lgkmcnt(0)
	s_and_b32 s3, s5, 0xffff
	s_lshr_b32 s5, s4, 16
	s_and_b32 s4, s4, 0xffff
	s_mul_i32 s4, s5, s4
	s_mul_i32 s4, s4, s3
	s_cmpk_lg_i32 s4, 0x100
	s_cbranch_scc1 .LBB187_103
; %bb.1:
	s_load_dwordx2 s[4:5], s[0:1], 0x4
	s_waitcnt lgkmcnt(0)
	s_or_b32 s3, s4, s5
	s_bitset0_b32 s3, 31
	s_cmp_lg_u32 s3, 0
	s_cselect_b64 s[10:11], -1, 0
	s_and_b64 vcc, exec, s[10:11]
	s_cbranch_vccnz .LBB187_4
; %bb.2:
	s_load_dwordx2 s[4:5], s[0:1], 0x58
	s_mov_b64 s[12:13], 0
	s_waitcnt lgkmcnt(0)
	v_cmp_eq_f32_e64 s[6:7], s4, 1.0
	v_cmp_eq_f32_e64 s[4:5], s5, 0
	s_and_b64 s[4:5], s[6:7], s[4:5]
	s_andn2_b64 vcc, exec, s[4:5]
	s_mov_b64 s[4:5], 0
                                        ; implicit-def: $sgpr6_sgpr7
	s_cbranch_vccz .LBB187_5
; %bb.3:
	s_mov_b64 s[4:5], -1
	s_mov_b64 s[6:7], 0
	s_branch .LBB187_5
.LBB187_4:
	s_mov_b64 s[12:13], -1
	s_mov_b64 s[4:5], 0
                                        ; implicit-def: $sgpr6_sgpr7
.LBB187_5:
	s_and_b64 vcc, exec, s[12:13]
	s_cbranch_vccz .LBB187_7
; %bb.6:
	s_load_dwordx4 s[4:7], s[0:1], 0x18
	s_mov_b32 s23, 0
	s_lshl_b64 s[12:13], s[22:23], 3
	s_waitcnt lgkmcnt(0)
	s_add_u32 s4, s4, s12
	s_addc_u32 s5, s5, s13
	s_load_dwordx2 s[4:5], s[4:5], 0x0
	s_lshl_b64 s[6:7], s[6:7], 3
	s_waitcnt lgkmcnt(0)
	s_add_u32 s6, s4, s6
	s_addc_u32 s7, s5, s7
	s_mov_b64 s[4:5], -1
.LBB187_7:
	s_andn2_b64 vcc, exec, s[4:5]
	s_cbranch_vccnz .LBB187_103
; %bb.8:
	v_cndmask_b32_e64 v1, 0, 1, s[10:11]
	v_cmp_ne_u32_e64 s[4:5], 1, v1
	s_andn2_b64 vcc, exec, s[10:11]
	s_mov_b64 s[10:11], 0
	s_cbranch_vccnz .LBB187_10
; %bb.9:
	s_load_dwordx4 s[12:15], s[0:1], 0x38
	s_mov_b32 s23, 0
	s_lshl_b64 s[10:11], s[22:23], 3
	s_waitcnt lgkmcnt(0)
	s_add_u32 s10, s12, s10
	s_addc_u32 s11, s13, s11
	s_load_dwordx2 s[10:11], s[10:11], 0x0
	s_lshl_b64 s[12:13], s[14:15], 3
	s_waitcnt lgkmcnt(0)
	s_add_u32 s10, s10, s12
	s_addc_u32 s11, s11, s13
.LBB187_10:
	s_and_b64 vcc, exec, s[4:5]
	s_cbranch_vccnz .LBB187_103
; %bb.11:
	s_load_dword s33, s[8:9], 0x0
	s_load_dword s23, s[0:1], 0x0
	;; [unrolled: 1-line block ×3, first 2 shown]
	v_and_b32_e32 v26, 0x3ff, v0
	s_lshl_b32 s28, s2, 6
	v_add_u32_e32 v16, s28, v26
	s_waitcnt lgkmcnt(0)
	s_ashr_i32 s40, s23, 31
	s_lshr_b32 s5, s40, 26
	s_add_i32 s5, s23, s5
	s_andn2_b32 s5, s5, 63
	v_bfe_u32 v17, v0, 10, 10
	s_add_i32 s4, s33, -1
	s_sub_i32 s5, s23, s5
	v_mul_lo_u32 v0, v16, s3
	s_cmp_eq_u32 s2, s4
	v_ashrrev_i32_e32 v1, 31, v0
	s_cselect_b32 s26, s5, 0
	v_lshl_add_u64 v[20:21], v[0:1], 3, s[10:11]
	v_cmp_ne_u32_e64 s[4:5], 0, v17
	v_cmp_eq_u32_e64 s[18:19], 0, v17
	s_and_saveexec_b64 s[8:9], s[18:19]
	s_cbranch_execz .LBB187_16
; %bb.12:
	s_cmp_lg_u32 s26, 0
	s_cselect_b64 s[10:11], -1, 0
	v_cmp_le_i32_e32 vcc, s26, v26
	v_mov_b32_e32 v0, 0x2380
	s_and_b64 s[10:11], s[10:11], vcc
	v_lshl_add_u32 v0, v26, 3, v0
	s_and_saveexec_b64 s[12:13], s[10:11]
	s_xor_b64 s[10:11], exec, s[12:13]
	s_cbranch_execz .LBB187_14
; %bb.13:
	v_mov_b32_e32 v2, 0
	v_mov_b32_e32 v3, v2
	ds_write_b64 v0, v[2:3]
                                        ; implicit-def: $vgpr0
.LBB187_14:
	s_andn2_saveexec_b64 s[10:11], s[10:11]
	s_cbranch_execz .LBB187_16
; %bb.15:
	flat_load_dwordx2 v[2:3], v[20:21]
	s_waitcnt vmcnt(0) lgkmcnt(0)
	ds_write_b64 v0, v[2:3]
.LBB187_16:
	s_or_b64 exec, exec, s[8:9]
	s_load_dword s24, s[0:1], 0x28
	s_ashr_i32 s29, s28, 31
	v_lshl_add_u32 v27, v17, 6, v26
	s_lshl_b64 s[8:9], s[28:29], 3
	v_and_b32_e32 v0, 31, v26
	v_lshrrev_b32_e32 v1, 5, v27
	s_add_u32 s8, s6, s8
	s_addc_u32 s9, s7, s9
	s_waitcnt lgkmcnt(0)
	v_mad_u64_u32 v[22:23], s[6:7], v1, s24, v[0:1]
	s_mul_i32 s6, s28, s24
	s_ashr_i32 s7, s6, 31
	s_lshl_b64 s[30:31], s[6:7], 3
	s_add_u32 s6, s30, s8
	s_addc_u32 s7, s31, s9
	s_cmp_lg_u32 s26, 0
	v_ashrrev_i32_e32 v23, 31, v22
	s_cselect_b64 s[34:35], -1, 0
	s_cmp_eq_u32 s26, 0
	v_lshl_add_u64 v[2:3], v[22:23], 3, s[6:7]
	s_cselect_b64 s[20:21], -1, 0
	s_and_b64 vcc, exec, s[34:35]
	s_cbranch_vccnz .LBB187_18
; %bb.17:
	flat_load_dwordx2 v[4:5], v[2:3]
	v_mul_u32_u24_e32 v6, 33, v1
	s_lshl_b32 s6, s24, 3
	v_add_lshl_u32 v8, v6, v0, 3
	s_ashr_i32 s7, s6, 31
	v_lshl_add_u64 v[6:7], s[6:7], 3, v[2:3]
	s_ashr_i32 s25, s24, 31
	s_lshl_b64 s[6:7], s[24:25], 6
	s_waitcnt vmcnt(0) lgkmcnt(0)
	ds_write_b64 v8, v[4:5]
	flat_load_dwordx2 v[4:5], v[6:7]
	v_lshl_add_u64 v[6:7], v[6:7], 0, s[6:7]
	s_waitcnt vmcnt(0) lgkmcnt(0)
	ds_write_b64 v8, v[4:5] offset:2112
	flat_load_dwordx2 v[4:5], v[6:7]
	v_lshl_add_u64 v[6:7], v[6:7], 0, s[6:7]
	s_waitcnt vmcnt(0) lgkmcnt(0)
	ds_write_b64 v8, v[4:5] offset:4224
	flat_load_dwordx2 v[4:5], v[6:7]
	s_waitcnt vmcnt(0) lgkmcnt(0)
	ds_write_b64 v8, v[4:5] offset:6336
	s_cbranch_execz .LBB187_19
	s_branch .LBB187_34
.LBB187_18:
.LBB187_19:
	v_lshlrev_b32_e32 v4, 3, v0
	v_sub_co_u32_e32 v6, vcc, v2, v4
	s_ashr_i32 s27, s26, 31
	s_nop 0
	v_subbrev_co_u32_e32 v7, vcc, 0, v3, vcc
	v_lshl_add_u64 v[6:7], s[26:27], 3, v[6:7]
	v_lshl_add_u64 v[6:7], v[6:7], 0, -8
	v_cmp_gt_i32_e32 vcc, s26, v0
	v_mov_b32_e32 v8, 0
	v_cmp_gt_i32_e64 s[6:7], s26, v1
	v_cndmask_b32_e32 v7, v7, v3, vcc
	v_cndmask_b32_e32 v6, v6, v2, vcc
	v_mov_b32_e32 v9, v8
	s_and_saveexec_b64 s[8:9], s[6:7]
	s_cbranch_execz .LBB187_21
; %bb.20:
	flat_load_dwordx2 v[8:9], v[6:7]
.LBB187_21:
	s_or_b64 exec, exec, s[8:9]
	v_mul_u32_u24_e32 v5, 33, v1
	v_add_lshl_u32 v5, v5, v0, 3
	s_waitcnt vmcnt(0) lgkmcnt(0)
	ds_write_b64 v5, v[8:9]
	v_add_u32_e32 v8, 8, v1
	v_cmp_le_i32_e64 s[6:7], s26, v8
	s_and_saveexec_b64 s[8:9], s[6:7]
	s_xor_b64 s[6:7], exec, s[8:9]
	s_cbranch_execz .LBB187_23
; %bb.22:
	v_mul_u32_u24_e32 v8, 33, v8
	v_add_lshl_u32 v10, v8, v0, 3
	v_mov_b32_e32 v8, 0
	v_mov_b32_e32 v9, v8
	ds_write_b64 v10, v[8:9]
.LBB187_23:
	s_andn2_saveexec_b64 s[6:7], s[6:7]
	s_cbranch_execz .LBB187_25
; %bb.24:
	s_lshl_b32 s8, s24, 3
	s_ashr_i32 s9, s8, 31
	v_lshl_add_u64 v[8:9], s[8:9], 3, v[6:7]
	flat_load_dwordx2 v[8:9], v[8:9]
	s_waitcnt vmcnt(0) lgkmcnt(0)
	ds_write_b64 v5, v[8:9] offset:2112
.LBB187_25:
	s_or_b64 exec, exec, s[6:7]
	v_add_u32_e32 v8, 16, v1
	v_cmp_le_i32_e64 s[6:7], s26, v8
	s_and_saveexec_b64 s[8:9], s[6:7]
	s_xor_b64 s[6:7], exec, s[8:9]
	s_cbranch_execz .LBB187_27
; %bb.26:
	v_mov_b32_e32 v8, 0
	v_mov_b32_e32 v9, v8
	ds_write_b64 v5, v[8:9] offset:4224
.LBB187_27:
	s_andn2_saveexec_b64 s[6:7], s[6:7]
	s_cbranch_execz .LBB187_29
; %bb.28:
	s_lshl_b32 s8, s24, 4
	s_ashr_i32 s9, s8, 31
	v_lshl_add_u64 v[8:9], s[8:9], 3, v[6:7]
	flat_load_dwordx2 v[8:9], v[8:9]
	s_waitcnt vmcnt(0) lgkmcnt(0)
	ds_write_b64 v5, v[8:9] offset:4224
.LBB187_29:
	s_or_b64 exec, exec, s[6:7]
	v_add_u32_e32 v8, 24, v1
	v_cmp_le_i32_e64 s[6:7], s26, v8
	s_and_saveexec_b64 s[8:9], s[6:7]
	s_xor_b64 s[6:7], exec, s[8:9]
	s_cbranch_execz .LBB187_31
; %bb.30:
	v_mov_b32_e32 v8, 0
	v_mov_b32_e32 v9, v8
	ds_write_b64 v5, v[8:9] offset:6336
                                        ; implicit-def: $vgpr5
.LBB187_31:
	s_andn2_saveexec_b64 s[6:7], s[6:7]
	s_cbranch_execz .LBB187_33
; %bb.32:
	s_mul_i32 s8, s24, 24
	s_ashr_i32 s9, s8, 31
	v_lshl_add_u64 v[8:9], s[8:9], 3, v[6:7]
	flat_load_dwordx2 v[8:9], v[8:9]
	s_waitcnt vmcnt(0) lgkmcnt(0)
	ds_write_b64 v5, v[8:9] offset:6336
.LBB187_33:
	s_or_b64 exec, exec, s[6:7]
	v_mov_b32_e32 v5, 0
	v_lshl_add_u64 v[4:5], v[6:7], 0, v[4:5]
	s_lshl_b64 s[6:7], s[26:27], 3
	v_mov_b32_e32 v6, s7
	v_subrev_co_u32_e64 v4, s[6:7], s6, v4
	s_nop 1
	v_subb_co_u32_e64 v5, s[6:7], v5, v6, s[6:7]
	v_lshl_add_u64 v[4:5], v[4:5], 0, 8
	v_cndmask_b32_e32 v3, v5, v3, vcc
	v_cndmask_b32_e32 v2, v4, v2, vcc
.LBB187_34:
	v_lshlrev_b32_e32 v4, 2, v1
	v_mul_u32_u24_e32 v28, 33, v0
	v_cmp_lt_u32_e64 s[8:9], v4, v0
	v_add_lshl_u32 v12, v4, v28, 3
	s_waitcnt lgkmcnt(0)
	s_barrier
	s_and_saveexec_b64 s[6:7], s[8:9]
	s_cbranch_execz .LBB187_36
; %bb.35:
	v_mul_u32_u24_e32 v5, 0x84, v1
	v_add_lshl_u32 v5, v5, v0, 3
	ds_read_b64 v[6:7], v5
	s_waitcnt lgkmcnt(0)
	ds_write_b64 v12, v[6:7]
.LBB187_36:
	s_or_b64 exec, exec, s[6:7]
	v_or_b32_e32 v5, 1, v4
	v_cmp_lt_u32_e64 s[10:11], v5, v0
	s_and_saveexec_b64 s[6:7], s[10:11]
	s_cbranch_execz .LBB187_38
; %bb.37:
	v_mul_u32_u24_e32 v5, 33, v5
	v_add_lshl_u32 v5, v5, v0, 3
	ds_read_b64 v[6:7], v5
	s_waitcnt lgkmcnt(0)
	ds_write_b64 v12, v[6:7] offset:8
.LBB187_38:
	s_or_b64 exec, exec, s[6:7]
	v_or_b32_e32 v5, 2, v4
	v_cmp_lt_u32_e64 s[12:13], v5, v0
	s_and_saveexec_b64 s[6:7], s[12:13]
	s_cbranch_execz .LBB187_40
; %bb.39:
	v_mul_u32_u24_e32 v5, 33, v5
	v_add_lshl_u32 v5, v5, v0, 3
	ds_read_b64 v[6:7], v5
	s_waitcnt lgkmcnt(0)
	ds_write_b64 v12, v[6:7] offset:16
.LBB187_40:
	s_or_b64 exec, exec, s[6:7]
	v_or_b32_e32 v5, 3, v4
	v_cmp_lt_u32_e64 s[14:15], v5, v0
	v_mad_u32_u24 v5, v5, 33, v0
	v_lshlrev_b32_e32 v8, 3, v5
	s_and_saveexec_b64 s[6:7], s[14:15]
	s_cbranch_execz .LBB187_42
; %bb.41:
	ds_read_b64 v[6:7], v8
	s_waitcnt lgkmcnt(0)
	ds_write_b64 v12, v[6:7] offset:24
.LBB187_42:
	s_or_b64 exec, exec, s[6:7]
	v_mul_u32_u24_e32 v5, 0x84, v1
	v_add_lshl_u32 v10, v5, v0, 3
	s_waitcnt lgkmcnt(0)
	s_barrier
	v_lshlrev_b32_e32 v11, 3, v4
	v_add_u32_e32 v9, 0xfffffdf0, v8
	ds_read_b64 v[14:15], v10
	ds_read_b128 v[4:7], v11 offset:9088
	ds_read2_b64 v[30:33], v9 offset1:33
	ds_read_b64 v[18:19], v8
	ds_read_b128 v[34:37], v11 offset:9104
	s_mov_b32 s16, 0
	s_mov_b32 s17, s16
	s_waitcnt lgkmcnt(3)
	v_pk_mul_f32 v[24:25], v[4:5], v[14:15] op_sel:[0,1]
	v_add_lshl_u32 v29, v1, v28, 3
	v_pk_fma_f32 v[38:39], v[4:5], v[14:15], v[24:25] op_sel:[0,0,1] op_sel_hi:[1,1,0] neg_lo:[0,0,1] neg_hi:[0,0,1]
	v_pk_fma_f32 v[4:5], v[4:5], v[14:15], v[24:25] op_sel:[0,0,1] op_sel_hi:[1,0,0]
	s_waitcnt lgkmcnt(2)
	v_pk_mul_f32 v[14:15], v[6:7], v[30:31] op_sel:[0,1]
	v_mov_b32_e32 v39, v5
	v_pk_fma_f32 v[24:25], v[6:7], v[30:31], v[14:15] op_sel:[0,0,1] op_sel_hi:[1,1,0] neg_lo:[0,0,1] neg_hi:[0,0,1]
	v_pk_fma_f32 v[6:7], v[6:7], v[30:31], v[14:15] op_sel:[0,0,1] op_sel_hi:[1,0,0]
	v_pk_add_f32 v[4:5], v[38:39], 0 op_sel_hi:[1,0]
	v_mov_b32_e32 v25, v7
	s_waitcnt lgkmcnt(0)
	v_pk_mul_f32 v[6:7], v[34:35], v[32:33] op_sel:[0,1]
	v_pk_add_f32 v[4:5], v[4:5], v[24:25]
	v_pk_fma_f32 v[14:15], v[34:35], v[32:33], v[6:7] op_sel:[0,0,1] op_sel_hi:[1,1,0] neg_lo:[0,0,1] neg_hi:[0,0,1]
	v_pk_fma_f32 v[6:7], v[34:35], v[32:33], v[6:7] op_sel:[0,0,1] op_sel_hi:[1,0,0]
	v_cmp_gt_u32_e64 s[6:7], 32, v27
	v_mov_b32_e32 v15, v7
	v_pk_mul_f32 v[6:7], v[36:37], v[18:19] op_sel:[0,1]
	v_pk_add_f32 v[4:5], v[4:5], v[14:15]
	v_pk_fma_f32 v[14:15], v[36:37], v[18:19], v[6:7] op_sel:[0,0,1] op_sel_hi:[1,1,0] neg_lo:[0,0,1] neg_hi:[0,0,1]
	v_pk_fma_f32 v[6:7], v[36:37], v[18:19], v[6:7] op_sel:[0,0,1] op_sel_hi:[1,0,0]
	v_mov_b64_e32 v[18:19], s[16:17]
	v_mov_b32_e32 v15, v7
	v_pk_add_f32 v[4:5], v[4:5], v[14:15]
	s_barrier
	ds_write_b64 v29, v[4:5]
	s_waitcnt lgkmcnt(0)
	s_barrier
	s_and_saveexec_b64 s[16:17], s[6:7]
	s_cbranch_execz .LBB187_44
; %bb.43:
	v_lshlrev_b32_e32 v13, 3, v28
	ds_read2_b64 v[4:7], v13 offset1:7
	ds_read2_b64 v[30:33], v13 offset0:1 offset1:2
	ds_read2_b64 v[34:37], v13 offset0:3 offset1:4
	s_waitcnt lgkmcnt(1)
	v_add_f32_e32 v4, v30, v4
	v_add_f32_e32 v5, v31, v5
	;; [unrolled: 1-line block ×4, first 2 shown]
	ds_read2_b64 v[30:33], v13 offset0:5 offset1:6
	s_waitcnt lgkmcnt(1)
	v_add_f32_e32 v4, v4, v34
	v_add_f32_e32 v5, v5, v35
	;; [unrolled: 1-line block ×4, first 2 shown]
	s_waitcnt lgkmcnt(0)
	v_add_f32_e32 v4, v4, v30
	v_add_f32_e32 v5, v5, v31
	;; [unrolled: 1-line block ×4, first 2 shown]
	v_pk_add_f32 v[18:19], v[4:5], v[6:7]
.LBB187_44:
	s_or_b64 exec, exec, s[16:17]
	s_lshl_b32 s36, s24, 5
	s_ashr_i32 s37, s36, 31
	v_lshl_add_u64 v[4:5], s[36:37], 3, v[2:3]
	s_mov_b64 s[38:39], 0x100
	v_cndmask_b32_e64 v2, 0, 1, s[20:21]
	v_cmp_ne_u32_e64 s[16:17], 1, v2
	s_andn2_b64 vcc, exec, s[20:21]
	v_lshl_add_u64 v[2:3], v[4:5], 0, s[38:39]
	s_barrier
	s_cbranch_vccnz .LBB187_46
; %bb.45:
	flat_load_dwordx2 v[6:7], v[4:5] offset:256
	v_mul_u32_u24_e32 v13, 33, v1
	s_lshl_b32 s20, s24, 3
	v_add_lshl_u32 v13, v13, v0, 3
	s_ashr_i32 s21, s20, 31
	v_lshl_add_u64 v[4:5], s[20:21], 3, v[4:5]
	s_ashr_i32 s25, s24, 31
	s_lshl_b64 s[20:21], s[24:25], 6
	s_waitcnt vmcnt(0) lgkmcnt(0)
	ds_write_b64 v13, v[6:7]
	flat_load_dwordx2 v[6:7], v[4:5] offset:256
	v_lshl_add_u64 v[4:5], v[4:5], 0, s[20:21]
	s_waitcnt vmcnt(0) lgkmcnt(0)
	ds_write_b64 v13, v[6:7] offset:2112
	flat_load_dwordx2 v[6:7], v[4:5] offset:256
	v_lshl_add_u64 v[4:5], v[4:5], 0, s[20:21]
	s_waitcnt vmcnt(0) lgkmcnt(0)
	ds_write_b64 v13, v[6:7] offset:4224
	flat_load_dwordx2 v[4:5], v[4:5] offset:256
	s_waitcnt vmcnt(0) lgkmcnt(0)
	ds_write_b64 v13, v[4:5] offset:6336
	s_cbranch_execz .LBB187_47
	s_branch .LBB187_62
.LBB187_46:
.LBB187_47:
	v_or_b32_e32 v6, 32, v0
	v_lshlrev_b32_e32 v4, 3, v6
	v_sub_co_u32_e32 v4, vcc, v2, v4
	s_ashr_i32 s27, s26, 31
	s_nop 0
	v_subbrev_co_u32_e32 v5, vcc, 0, v3, vcc
	v_lshl_add_u64 v[4:5], s[26:27], 3, v[4:5]
	v_lshl_add_u64 v[4:5], v[4:5], 0, -8
	v_cmp_gt_i32_e32 vcc, s26, v6
	s_sub_i32 s25, s26, 32
	v_mov_b32_e32 v6, 0
	v_cndmask_b32_e32 v5, v5, v3, vcc
	v_cndmask_b32_e32 v4, v4, v2, vcc
	v_cmp_gt_i32_e64 s[20:21], s25, v1
	v_mov_b32_e32 v7, v6
	s_and_saveexec_b64 s[38:39], s[20:21]
	s_cbranch_execz .LBB187_49
; %bb.48:
	flat_load_dwordx2 v[6:7], v[4:5]
.LBB187_49:
	s_or_b64 exec, exec, s[38:39]
	v_mul_u32_u24_e32 v13, 33, v1
	v_add_lshl_u32 v13, v13, v0, 3
	s_waitcnt vmcnt(0) lgkmcnt(0)
	ds_write_b64 v13, v[6:7]
	v_add_u32_e32 v6, 8, v1
	v_cmp_le_i32_e64 s[20:21], s25, v6
	s_and_saveexec_b64 s[38:39], s[20:21]
	s_xor_b64 s[20:21], exec, s[38:39]
	s_cbranch_execz .LBB187_51
; %bb.50:
	v_mul_u32_u24_e32 v6, 33, v6
	v_add_lshl_u32 v14, v6, v0, 3
	v_mov_b32_e32 v6, 0
	v_mov_b32_e32 v7, v6
	ds_write_b64 v14, v[6:7]
.LBB187_51:
	s_andn2_saveexec_b64 s[20:21], s[20:21]
	s_cbranch_execz .LBB187_53
; %bb.52:
	s_lshl_b32 s38, s24, 3
	s_ashr_i32 s39, s38, 31
	v_lshl_add_u64 v[6:7], s[38:39], 3, v[4:5]
	flat_load_dwordx2 v[6:7], v[6:7]
	s_waitcnt vmcnt(0) lgkmcnt(0)
	ds_write_b64 v13, v[6:7] offset:2112
.LBB187_53:
	s_or_b64 exec, exec, s[20:21]
	v_add_u32_e32 v6, 16, v1
	v_cmp_le_i32_e64 s[20:21], s25, v6
	s_and_saveexec_b64 s[38:39], s[20:21]
	s_xor_b64 s[20:21], exec, s[38:39]
	s_cbranch_execz .LBB187_55
; %bb.54:
	v_mul_u32_u24_e32 v6, 33, v6
	v_add_lshl_u32 v14, v6, v0, 3
	v_mov_b32_e32 v6, 0
	v_mov_b32_e32 v7, v6
	ds_write_b64 v14, v[6:7]
.LBB187_55:
	s_andn2_saveexec_b64 s[20:21], s[20:21]
	s_cbranch_execz .LBB187_57
; %bb.56:
	s_lshl_b32 s38, s24, 4
	s_ashr_i32 s39, s38, 31
	v_lshl_add_u64 v[6:7], s[38:39], 3, v[4:5]
	flat_load_dwordx2 v[6:7], v[6:7]
	s_waitcnt vmcnt(0) lgkmcnt(0)
	ds_write_b64 v13, v[6:7] offset:4224
.LBB187_57:
	s_or_b64 exec, exec, s[20:21]
	v_add_u32_e32 v6, 24, v1
	v_cmp_le_i32_e64 s[20:21], s25, v6
	s_and_saveexec_b64 s[38:39], s[20:21]
	s_xor_b64 s[20:21], exec, s[38:39]
	s_cbranch_execz .LBB187_59
; %bb.58:
	v_mov_b32_e32 v6, 0
	v_mov_b32_e32 v7, v6
	ds_write_b64 v13, v[6:7] offset:6336
                                        ; implicit-def: $vgpr13
.LBB187_59:
	s_andn2_saveexec_b64 s[20:21], s[20:21]
	s_cbranch_execz .LBB187_61
; %bb.60:
	s_mul_i32 s38, s24, 24
	s_ashr_i32 s39, s38, 31
	v_lshl_add_u64 v[6:7], s[38:39], 3, v[4:5]
	flat_load_dwordx2 v[6:7], v[6:7]
	s_waitcnt vmcnt(0) lgkmcnt(0)
	ds_write_b64 v13, v[6:7] offset:6336
.LBB187_61:
	s_or_b64 exec, exec, s[20:21]
	v_lshlrev_b32_e32 v6, 3, v0
	v_mov_b32_e32 v7, 0
	v_lshl_add_u64 v[4:5], v[4:5], 0, v[6:7]
	s_lshl_b64 s[20:21], s[26:27], 3
	v_mov_b32_e32 v6, s21
	v_subrev_co_u32_e64 v4, s[20:21], s20, v4
	s_nop 1
	v_subb_co_u32_e64 v5, s[20:21], v5, v6, s[20:21]
	s_mov_b64 s[20:21], 0x108
	s_nop 0
	v_lshl_add_u64 v[4:5], v[4:5], 0, s[20:21]
	v_cndmask_b32_e32 v3, v5, v3, vcc
	v_cndmask_b32_e32 v2, v4, v2, vcc
.LBB187_62:
	v_add_u32_e32 v6, 0x2380, v11
	s_waitcnt lgkmcnt(0)
	s_barrier
	s_and_saveexec_b64 s[20:21], s[8:9]
	s_cbranch_execnz .LBB187_71
; %bb.63:
	s_or_b64 exec, exec, s[20:21]
	s_and_saveexec_b64 s[8:9], s[10:11]
	s_cbranch_execnz .LBB187_72
.LBB187_64:
	s_or_b64 exec, exec, s[8:9]
	s_and_saveexec_b64 s[8:9], s[12:13]
	s_cbranch_execnz .LBB187_73
.LBB187_65:
	s_or_b64 exec, exec, s[8:9]
	s_and_saveexec_b64 s[8:9], s[14:15]
	s_cbranch_execz .LBB187_67
.LBB187_66:
	ds_read_b64 v[4:5], v8
	s_waitcnt lgkmcnt(0)
	ds_write_b64 v12, v[4:5] offset:24
.LBB187_67:
	s_or_b64 exec, exec, s[8:9]
	s_waitcnt lgkmcnt(0)
	s_barrier
	ds_read_b64 v[4:5], v10
	ds_read_b128 v[30:33], v6 offset:256
	ds_read2_b64 v[34:37], v9 offset1:33
	ds_read_b64 v[14:15], v8
	ds_read_b128 v[8:11], v6 offset:272
	v_cmp_eq_u32_e64 s[8:9], 1, v1
	s_waitcnt lgkmcnt(3)
	v_pk_mul_f32 v[24:25], v[30:31], v[4:5] op_sel:[0,1]
	s_waitcnt lgkmcnt(0)
	v_pk_fma_f32 v[38:39], v[30:31], v[4:5], v[24:25] op_sel:[0,0,1] op_sel_hi:[1,1,0] neg_lo:[0,0,1] neg_hi:[0,0,1]
	v_pk_fma_f32 v[4:5], v[30:31], v[4:5], v[24:25] op_sel:[0,0,1] op_sel_hi:[1,0,0]
	v_pk_mul_f32 v[24:25], v[32:33], v[34:35] op_sel:[0,1]
	v_mov_b32_e32 v39, v5
	v_pk_fma_f32 v[30:31], v[32:33], v[34:35], v[24:25] op_sel:[0,0,1] op_sel_hi:[1,1,0] neg_lo:[0,0,1] neg_hi:[0,0,1]
	v_pk_fma_f32 v[24:25], v[32:33], v[34:35], v[24:25] op_sel:[0,0,1] op_sel_hi:[1,0,0]
	v_pk_add_f32 v[4:5], v[38:39], 0 op_sel_hi:[1,0]
	v_mov_b32_e32 v31, v25
	v_pk_mul_f32 v[24:25], v[8:9], v[36:37] op_sel:[0,1]
	v_pk_add_f32 v[4:5], v[4:5], v[30:31]
	v_pk_fma_f32 v[30:31], v[8:9], v[36:37], v[24:25] op_sel:[0,0,1] op_sel_hi:[1,1,0] neg_lo:[0,0,1] neg_hi:[0,0,1]
	v_pk_fma_f32 v[8:9], v[8:9], v[36:37], v[24:25] op_sel:[0,0,1] op_sel_hi:[1,0,0]
	s_barrier
	v_mov_b32_e32 v31, v9
	v_pk_mul_f32 v[8:9], v[10:11], v[14:15] op_sel:[0,1]
	v_pk_add_f32 v[4:5], v[4:5], v[30:31]
	v_pk_fma_f32 v[24:25], v[10:11], v[14:15], v[8:9] op_sel:[0,0,1] op_sel_hi:[1,1,0] neg_lo:[0,0,1] neg_hi:[0,0,1]
	v_pk_fma_f32 v[8:9], v[10:11], v[14:15], v[8:9] op_sel:[0,0,1] op_sel_hi:[1,0,0]
	s_nop 0
	v_mov_b32_e32 v25, v9
	v_pk_add_f32 v[4:5], v[4:5], v[24:25]
	ds_write_b64 v29, v[4:5]
	s_waitcnt lgkmcnt(0)
	s_barrier
	s_and_saveexec_b64 s[10:11], s[8:9]
	s_cbranch_execz .LBB187_69
; %bb.68:
	v_lshlrev_b32_e32 v4, 3, v28
	ds_read2_b64 v[8:11], v4 offset1:7
	ds_read2_b64 v[30:33], v4 offset0:1 offset1:2
	ds_read2_b64 v[34:37], v4 offset0:3 offset1:4
	s_waitcnt lgkmcnt(1)
	v_add_f32_e32 v5, v30, v8
	v_add_f32_e32 v7, v31, v9
	;; [unrolled: 1-line block ×4, first 2 shown]
	ds_read2_b64 v[30:33], v4 offset0:5 offset1:6
	s_waitcnt lgkmcnt(1)
	v_add_f32_e32 v4, v5, v34
	v_add_f32_e32 v5, v7, v35
	;; [unrolled: 1-line block ×4, first 2 shown]
	s_waitcnt lgkmcnt(0)
	v_add_f32_e32 v4, v4, v30
	v_add_f32_e32 v5, v5, v31
	v_pk_add_f32 v[4:5], v[4:5], v[32:33]
	s_nop 0
	v_pk_add_f32 v[18:19], v[4:5], v[10:11]
.LBB187_69:
	s_or_b64 exec, exec, s[10:11]
	s_lshl_b64 s[10:11], s[36:37], 3
	v_mov_b32_e32 v4, s11
	v_subrev_co_u32_e64 v24, s[10:11], s10, v2
	s_and_b64 vcc, exec, s[16:17]
	s_nop 0
	v_subb_co_u32_e64 v25, s[10:11], v3, v4, s[10:11]
	s_barrier
	s_cbranch_vccnz .LBB187_74
; %bb.70:
	flat_load_dwordx2 v[2:3], v[24:25]
	v_mad_u32_u24 v7, v1, 33, v0
	s_lshl_b32 s10, s24, 3
	v_lshlrev_b32_e32 v13, 3, v7
	s_ashr_i32 s11, s10, 31
	v_lshl_add_u64 v[4:5], s[10:11], 3, v[24:25]
	s_ashr_i32 s25, s24, 31
	s_lshl_b64 s[10:11], s[24:25], 6
	v_add_u32_e32 v8, 24, v1
	v_add_u32_e32 v9, 0x318, v7
	s_waitcnt vmcnt(0) lgkmcnt(0)
	ds_write_b64 v13, v[2:3]
	flat_load_dwordx2 v[2:3], v[4:5]
	v_lshl_add_u64 v[4:5], v[4:5], 0, s[10:11]
	s_waitcnt vmcnt(0) lgkmcnt(0)
	ds_write_b64 v13, v[2:3] offset:2112
	flat_load_dwordx2 v[2:3], v[4:5]
	v_lshl_add_u64 v[4:5], v[4:5], 0, s[10:11]
	s_waitcnt vmcnt(0) lgkmcnt(0)
	ds_write_b64 v13, v[2:3] offset:4224
	flat_load_dwordx2 v[10:11], v[4:5]
	v_add_u32_e32 v4, 8, v1
	v_add_u32_e32 v5, 16, v1
	;; [unrolled: 1-line block ×4, first 2 shown]
	s_waitcnt vmcnt(0) lgkmcnt(0)
	ds_write_b64 v13, v[10:11] offset:6336
	s_cbranch_execz .LBB187_75
	s_branch .LBB187_90
.LBB187_71:
	ds_read_b64 v[4:5], v10
	s_waitcnt lgkmcnt(0)
	ds_write_b64 v12, v[4:5]
	s_or_b64 exec, exec, s[20:21]
	s_and_saveexec_b64 s[8:9], s[10:11]
	s_cbranch_execz .LBB187_64
.LBB187_72:
	ds_read_b64 v[4:5], v9
	s_waitcnt lgkmcnt(0)
	ds_write_b64 v12, v[4:5] offset:8
	s_or_b64 exec, exec, s[8:9]
	s_and_saveexec_b64 s[8:9], s[12:13]
	s_cbranch_execz .LBB187_65
.LBB187_73:
	ds_read_b64 v[4:5], v9 offset:264
	s_waitcnt lgkmcnt(0)
	ds_write_b64 v12, v[4:5] offset:16
	s_or_b64 exec, exec, s[8:9]
	s_and_saveexec_b64 s[8:9], s[14:15]
	s_cbranch_execnz .LBB187_66
	s_branch .LBB187_67
.LBB187_74:
                                        ; implicit-def: $vgpr7
                                        ; implicit-def: $vgpr4
                                        ; implicit-def: $vgpr2
                                        ; implicit-def: $vgpr5
                                        ; implicit-def: $vgpr3
                                        ; implicit-def: $vgpr8
                                        ; implicit-def: $vgpr9
.LBB187_75:
	v_or_b32_e32 v4, 32, v0
	v_lshlrev_b32_e32 v2, 3, v4
	v_sub_co_u32_e32 v2, vcc, v24, v2
	s_ashr_i32 s27, s26, 31
	s_nop 0
	v_subbrev_co_u32_e32 v3, vcc, 0, v25, vcc
	v_lshl_add_u64 v[2:3], s[26:27], 3, v[2:3]
	v_lshl_add_u64 v[2:3], v[2:3], 0, -8
	v_cmp_gt_i32_e32 vcc, s26, v4
	v_mov_b32_e32 v4, 0
	v_cmp_gt_i32_e64 s[10:11], s26, v1
	v_cndmask_b32_e32 v3, v3, v25, vcc
	v_cndmask_b32_e32 v2, v2, v24, vcc
	v_mov_b32_e32 v5, v4
	s_and_saveexec_b64 s[12:13], s[10:11]
	s_cbranch_execz .LBB187_77
; %bb.76:
	flat_load_dwordx2 v[4:5], v[2:3]
.LBB187_77:
	s_or_b64 exec, exec, s[12:13]
	v_mad_u32_u24 v7, v1, 33, v0
	v_lshlrev_b32_e32 v10, 3, v7
	s_waitcnt vmcnt(0) lgkmcnt(0)
	ds_write_b64 v10, v[4:5]
	v_add_u32_e32 v4, 8, v1
	v_cmp_le_i32_e64 s[10:11], s26, v4
	s_and_saveexec_b64 s[12:13], s[10:11]
	s_xor_b64 s[10:11], exec, s[12:13]
	s_cbranch_execz .LBB187_79
; %bb.78:
	v_mul_u32_u24_e32 v5, 33, v4
	v_mov_b32_e32 v8, 0
	v_add_lshl_u32 v5, v5, v0, 3
	v_mov_b32_e32 v9, v8
	ds_write_b64 v5, v[8:9]
.LBB187_79:
	s_andn2_saveexec_b64 s[10:11], s[10:11]
	s_cbranch_execz .LBB187_81
; %bb.80:
	s_lshl_b32 s12, s24, 3
	s_ashr_i32 s13, s12, 31
	v_lshl_add_u64 v[8:9], s[12:13], 3, v[2:3]
	flat_load_dwordx2 v[8:9], v[8:9]
	s_waitcnt vmcnt(0) lgkmcnt(0)
	ds_write_b64 v10, v[8:9] offset:2112
.LBB187_81:
	s_or_b64 exec, exec, s[10:11]
	v_add_u32_e32 v5, 16, v1
	v_cmp_le_i32_e64 s[10:11], s26, v5
	s_and_saveexec_b64 s[12:13], s[10:11]
	s_xor_b64 s[10:11], exec, s[12:13]
	s_cbranch_execz .LBB187_83
; %bb.82:
	v_mul_u32_u24_e32 v8, 33, v5
	v_add_lshl_u32 v11, v8, v0, 3
	v_mov_b32_e32 v8, 0
	v_mov_b32_e32 v9, v8
	ds_write_b64 v11, v[8:9]
.LBB187_83:
	s_andn2_saveexec_b64 s[10:11], s[10:11]
	s_cbranch_execz .LBB187_85
; %bb.84:
	s_lshl_b32 s12, s24, 4
	s_ashr_i32 s13, s12, 31
	v_lshl_add_u64 v[8:9], s[12:13], 3, v[2:3]
	flat_load_dwordx2 v[8:9], v[8:9]
	s_waitcnt vmcnt(0) lgkmcnt(0)
	ds_write_b64 v10, v[8:9] offset:4224
.LBB187_85:
	s_or_b64 exec, exec, s[10:11]
	v_add_u32_e32 v8, 24, v1
	v_cmp_le_i32_e64 s[10:11], s26, v8
                                        ; implicit-def: $vgpr9
	s_and_saveexec_b64 s[12:13], s[10:11]
	s_xor_b64 s[10:11], exec, s[12:13]
	s_cbranch_execz .LBB187_87
; %bb.86:
	v_mad_u32_u24 v9, v8, 33, v0
	v_mov_b32_e32 v10, 0
	v_lshlrev_b32_e32 v13, 3, v9
	v_mov_b32_e32 v11, v10
	ds_write_b64 v13, v[10:11]
                                        ; implicit-def: $vgpr10
.LBB187_87:
	s_andn2_saveexec_b64 s[10:11], s[10:11]
	s_cbranch_execz .LBB187_89
; %bb.88:
	s_mul_i32 s12, s24, 24
	s_ashr_i32 s13, s12, 31
	v_lshl_add_u64 v[14:15], s[12:13], 3, v[2:3]
	flat_load_dwordx2 v[14:15], v[14:15]
	v_add_u32_e32 v9, 0x318, v7
	s_waitcnt vmcnt(0) lgkmcnt(0)
	ds_write_b64 v10, v[14:15] offset:6336
.LBB187_89:
	s_or_b64 exec, exec, s[10:11]
	v_lshlrev_b32_e32 v10, 3, v0
	v_mov_b32_e32 v11, 0
	v_lshl_add_u64 v[2:3], v[2:3], 0, v[10:11]
	s_lshl_b64 s[10:11], s[26:27], 3
	v_mov_b32_e32 v0, s11
	v_subrev_co_u32_e64 v2, s[10:11], s10, v2
	s_nop 1
	v_subb_co_u32_e64 v3, s[10:11], v3, v0, s[10:11]
	s_mov_b64 s[10:11], 0x108
	s_nop 0
	v_lshl_add_u64 v[2:3], v[2:3], 0, s[10:11]
	v_cndmask_b32_e32 v25, v3, v25, vcc
	v_cndmask_b32_e32 v24, v2, v24, vcc
	v_add_u32_e32 v2, 0x108, v7
	v_add_u32_e32 v3, 0x210, v7
.LBB187_90:
	v_lshlrev_b32_e32 v0, 3, v7
	s_waitcnt lgkmcnt(0)
	s_barrier
	ds_read_b64 v[30:31], v0
	v_lshlrev_b32_e32 v7, 3, v1
	v_lshlrev_b32_e32 v13, 3, v2
	v_lshlrev_b32_e32 v4, 3, v4
	v_lshlrev_b32_e32 v0, 3, v3
	v_lshlrev_b32_e32 v44, 3, v5
	v_lshlrev_b32_e32 v42, 3, v9
	v_lshlrev_b32_e32 v40, 3, v8
	ds_read_b64 v[32:33], v0
	ds_read2_b64 v[8:11], v12 offset1:1
	ds_read2_b64 v[0:3], v12 offset0:2 offset1:3
	ds_read_b64 v[34:35], v4 offset:9088
	ds_read_b64 v[36:37], v13
	ds_read_b64 v[38:39], v7 offset:9088
	ds_read_b128 v[12:15], v6 offset:256
	ds_read_b128 v[4:7], v6 offset:272
	ds_read_b64 v[40:41], v40 offset:9088
	ds_read_b64 v[42:43], v42
	ds_read_b64 v[44:45], v44 offset:9088
	s_waitcnt lgkmcnt(5)
	v_pk_mul_f32 v[46:47], v[38:39], v[30:31] op_sel:[0,1]
	s_waitcnt lgkmcnt(0)
	v_pk_fma_f32 v[48:49], v[38:39], v[30:31], v[46:47] op_sel:[0,0,1] op_sel_hi:[1,1,0] neg_lo:[0,0,1] neg_hi:[0,0,1]
	v_pk_fma_f32 v[30:31], v[38:39], v[30:31], v[46:47] op_sel:[0,0,1] op_sel_hi:[1,0,0]
	v_pk_mul_f32 v[38:39], v[34:35], v[36:37] op_sel:[0,1]
	v_mov_b32_e32 v49, v31
	v_pk_fma_f32 v[46:47], v[34:35], v[36:37], v[38:39] op_sel:[0,0,1] op_sel_hi:[1,1,0] neg_lo:[0,0,1] neg_hi:[0,0,1]
	v_pk_fma_f32 v[34:35], v[34:35], v[36:37], v[38:39] op_sel:[0,0,1] op_sel_hi:[1,0,0]
	v_pk_add_f32 v[30:31], v[48:49], 0 op_sel_hi:[1,0]
	v_mov_b32_e32 v47, v35
	v_pk_mul_f32 v[34:35], v[44:45], v[32:33] op_sel:[0,1]
	v_pk_add_f32 v[30:31], v[30:31], v[46:47]
	v_pk_fma_f32 v[36:37], v[44:45], v[32:33], v[34:35] op_sel:[0,0,1] op_sel_hi:[1,1,0] neg_lo:[0,0,1] neg_hi:[0,0,1]
	v_pk_fma_f32 v[32:33], v[44:45], v[32:33], v[34:35] op_sel:[0,0,1] op_sel_hi:[1,0,0]
	s_barrier
	v_mov_b32_e32 v37, v33
	v_pk_mul_f32 v[32:33], v[40:41], v[42:43] op_sel:[0,1]
	v_pk_add_f32 v[30:31], v[30:31], v[36:37]
	v_pk_fma_f32 v[34:35], v[40:41], v[42:43], v[32:33] op_sel:[0,0,1] op_sel_hi:[1,1,0] neg_lo:[0,0,1] neg_hi:[0,0,1]
	v_pk_fma_f32 v[32:33], v[40:41], v[42:43], v[32:33] op_sel:[0,0,1] op_sel_hi:[1,0,0]
	s_nop 0
	v_mov_b32_e32 v35, v33
	v_pk_add_f32 v[30:31], v[30:31], v[34:35]
	ds_write_b64 v29, v[30:31]
	s_waitcnt lgkmcnt(0)
	s_barrier
	s_and_saveexec_b64 s[10:11], s[8:9]
	s_cbranch_execz .LBB187_92
; %bb.91:
	v_lshlrev_b32_e32 v42, 3, v28
	ds_read2_b64 v[30:33], v42 offset1:1
	ds_read2_b64 v[34:37], v42 offset0:2 offset1:3
	ds_read2_b64 v[38:41], v42 offset0:4 offset1:5
	s_waitcnt lgkmcnt(2)
	v_pk_add_f32 v[18:19], v[18:19], v[30:31]
	s_nop 0
	v_pk_add_f32 v[18:19], v[18:19], v[32:33]
	ds_read2_b64 v[30:33], v42 offset0:6 offset1:7
	s_waitcnt lgkmcnt(2)
	v_pk_add_f32 v[18:19], v[18:19], v[34:35]
	s_nop 0
	v_pk_add_f32 v[18:19], v[18:19], v[36:37]
	s_waitcnt lgkmcnt(1)
	v_pk_add_f32 v[18:19], v[18:19], v[38:39]
	s_nop 0
	v_pk_add_f32 v[18:19], v[18:19], v[40:41]
	;; [unrolled: 4-line block ×3, first 2 shown]
.LBB187_92:
	s_or_b64 exec, exec, s[10:11]
	v_pk_mul_f32 v[30:31], v[12:13], v[8:9] op_sel:[0,1]
	s_nop 0
	v_pk_fma_f32 v[32:33], v[12:13], v[8:9], v[30:31] op_sel:[0,0,1] op_sel_hi:[1,1,0] neg_lo:[0,0,1] neg_hi:[0,0,1]
	v_pk_fma_f32 v[8:9], v[12:13], v[8:9], v[30:31] op_sel:[0,0,1] op_sel_hi:[1,0,0]
	v_mov_b32_e32 v12, v11
	v_pk_mul_f32 v[12:13], v[14:15], v[12:13] op_sel_hi:[1,0]
	v_mov_b32_e32 v33, v9
	v_pk_fma_f32 v[30:31], v[14:15], v[10:11], v[12:13] op_sel:[0,0,1] op_sel_hi:[1,1,0] neg_lo:[0,0,1] neg_hi:[0,0,1]
	v_pk_fma_f32 v[10:11], v[14:15], v[10:11], v[12:13] op_sel:[0,0,1] op_sel_hi:[1,0,0]
	v_pk_add_f32 v[8:9], v[32:33], 0 op_sel_hi:[1,0]
	v_mov_b32_e32 v31, v11
	v_pk_mul_f32 v[10:11], v[4:5], v[0:1] op_sel:[0,1]
	v_pk_add_f32 v[8:9], v[8:9], v[30:31]
	v_pk_fma_f32 v[12:13], v[4:5], v[0:1], v[10:11] op_sel:[0,0,1] op_sel_hi:[1,1,0] neg_lo:[0,0,1] neg_hi:[0,0,1]
	v_pk_fma_f32 v[0:1], v[4:5], v[0:1], v[10:11] op_sel:[0,0,1] op_sel_hi:[1,0,0]
	v_mov_b32_e32 v4, v3
	v_mov_b32_e32 v13, v1
	v_pk_mul_f32 v[4:5], v[6:7], v[4:5] op_sel_hi:[1,0]
	v_pk_add_f32 v[0:1], v[8:9], v[12:13]
	v_pk_fma_f32 v[8:9], v[6:7], v[2:3], v[4:5] op_sel:[0,0,1] op_sel_hi:[1,1,0] neg_lo:[0,0,1] neg_hi:[0,0,1]
	v_pk_fma_f32 v[2:3], v[6:7], v[2:3], v[4:5] op_sel:[0,0,1] op_sel_hi:[1,0,0]
	s_barrier
	v_mov_b32_e32 v9, v3
	v_pk_add_f32 v[0:1], v[0:1], v[8:9]
	ds_write_b64 v29, v[0:1]
	s_waitcnt lgkmcnt(0)
	s_barrier
	s_and_saveexec_b64 s[8:9], s[6:7]
	s_cbranch_execz .LBB187_94
; %bb.93:
	v_lshlrev_b32_e32 v14, 3, v28
	ds_read2_b64 v[0:3], v14 offset1:1
	ds_read2_b64 v[4:7], v14 offset0:2 offset1:3
	ds_read2_b64 v[8:11], v14 offset0:4 offset1:5
	s_waitcnt lgkmcnt(2)
	v_pk_add_f32 v[0:1], v[18:19], v[0:1]
	s_nop 0
	v_pk_add_f32 v[12:13], v[0:1], v[2:3]
	ds_read2_b64 v[0:3], v14 offset0:6 offset1:7
	s_waitcnt lgkmcnt(2)
	v_pk_add_f32 v[4:5], v[12:13], v[4:5]
	s_nop 0
	v_pk_add_f32 v[4:5], v[4:5], v[6:7]
	s_waitcnt lgkmcnt(1)
	v_pk_add_f32 v[4:5], v[4:5], v[8:9]
	s_nop 0
	v_pk_add_f32 v[4:5], v[4:5], v[10:11]
	;; [unrolled: 4-line block ×3, first 2 shown]
.LBB187_94:
	s_or_b64 exec, exec, s[8:9]
	s_load_dwordx2 s[0:1], s[0:1], 0x68
	s_mul_hi_u32 s6, s23, s22
	s_mul_i32 s40, s40, s22
	s_add_i32 s6, s6, s40
	s_mul_i32 s8, s23, s22
	s_mul_i32 s6, s6, s33
	s_mul_hi_u32 s7, s8, s33
	s_add_i32 s7, s7, s6
	s_mul_i32 s6, s8, s33
	s_lshl_b64 s[6:7], s[6:7], 3
	s_waitcnt lgkmcnt(0)
	s_add_u32 s6, s0, s6
	s_mul_i32 s0, s2, s23
	s_addc_u32 s7, s1, s7
	s_ashr_i32 s1, s0, 31
	s_lshl_b64 s[0:1], s[0:1], 3
	s_add_u32 s6, s6, s0
	v_cmp_le_i32_e32 vcc, s26, v26
	s_addc_u32 s7, s7, s1
	s_and_b64 vcc, s[34:35], vcc
	s_cmp_lt_i32 s2, 1
	v_lshlrev_b32_e32 v74, 3, v26
	s_barrier
	s_cbranch_scc1 .LBB187_101
; %bb.95:
	s_mul_i32 s0, s28, s3
	s_ashr_i32 s1, s0, 31
	s_lshl_b64 s[0:1], s[0:1], 3
	v_mov_b32_e32 v0, s1
	v_subrev_co_u32_e64 v4, s[0:1], s0, v20
	s_ashr_i32 s27, s26, 31
	s_nop 0
	v_subb_co_u32_e64 v5, s[0:1], v21, v0, s[0:1]
	v_mov_b32_e32 v0, s31
	v_subrev_co_u32_e64 v2, s[0:1], s30, v24
	v_and_b32_e32 v6, 15, v26
	s_nop 0
	v_subb_co_u32_e64 v3, s[0:1], v25, v0, s[0:1]
	v_lshlrev_b64 v[0:1], 3, v[22:23]
	v_sub_co_u32_e64 v0, s[0:1], v2, v0
	v_mul_lo_u32 v2, v17, s24
	s_nop 0
	v_subb_co_u32_e64 v1, s[0:1], v3, v1, s[0:1]
	v_lshl_add_u32 v2, v2, 2, v26
	v_ashrrev_i32_e32 v3, 31, v2
	s_movk_i32 s0, 0xff00
	v_lshl_add_u64 v[0:1], v[2:3], 3, v[0:1]
	s_mov_b32 s1, -1
	v_lshl_add_u64 v[0:1], v[0:1], 0, s[0:1]
	v_sub_co_u32_e64 v2, s[0:1], v0, v74
	s_movk_i32 s8, 0x218
	s_nop 0
	v_subbrev_co_u32_e64 v3, s[0:1], 0, v1, s[0:1]
	v_lshl_add_u64 v[2:3], s[26:27], 3, v[2:3]
	v_lshl_add_u64 v[2:3], v[2:3], 0, -8
	v_cndmask_b32_e32 v8, v0, v2, vcc
	v_and_b32_e32 v0, 48, v26
	v_cndmask_b32_e32 v9, v1, v3, vcc
	v_lshlrev_b32_e32 v1, 3, v0
	v_lshrrev_b32_e32 v10, 4, v27
	v_mad_u32_u24 v77, v6, s8, v1
	v_or_b32_e32 v1, 0x78, v74
	v_mad_u32_u24 v78, v6, s8, v1
	v_lshlrev_b32_e32 v1, 5, v10
	v_mad_u32_u24 v79, v6, s8, v1
	v_mov_b32_e32 v1, 0x2180
	s_ashr_i32 s25, s24, 31
	v_lshl_add_u32 v80, v17, 5, v1
	s_movk_i32 s9, 0x860
	v_lshlrev_b32_e32 v1, 3, v10
	v_mov_b32_e32 v7, 0
	s_lshl_b32 s3, s3, 6
	v_add_u32_e32 v75, 0x2180, v74
	v_add_u32_e32 v76, 0x2380, v74
	v_cmp_gt_u32_e64 s[0:1], 64, v27
	v_mad_u32_u24 v81, v17, s9, v74
	v_mad_u32_u24 v82, v6, s8, v1
	s_lshl_b64 s[8:9], s[24:25], 3
	s_lshl_b64 s[10:11], s[24:25], 4
	;; [unrolled: 1-line block ×3, first 2 shown]
	s_mul_hi_i32 s15, s24, 24
	s_mul_i32 s14, s24, 24
	s_lshl_b64 s[16:17], s[24:25], 7
	s_mul_hi_i32 s21, s24, 0x90
	s_mul_i32 s20, s24, 0x90
	s_mul_hi_i32 s23, s24, 0x98
	s_mul_i32 s22, s24, 0x98
	s_lshl_b64 s[26:27], s[24:25], 8
	s_mul_hi_i32 s29, s24, 0x110
	s_mul_i32 s28, s24, 0x110
	s_mul_hi_i32 s31, s24, 0x118
	s_mul_i32 s30, s24, 0x118
	;; [unrolled: 2-line block ×7, first 2 shown]
	s_mul_hi_i32 s25, s24, 0x88
	s_mulk_i32 s24, 0x88
	v_or_b32_e32 v6, v0, v6
	s_mov_b32 s44, 0
	s_branch .LBB187_97
.LBB187_96:                             ;   in Loop: Header=BB187_97 Depth=1
	s_or_b64 exec, exec, s[46:47]
	v_mul_f32_e32 v83, v23, v21
	v_fma_f32 v83, v22, v20, -v83
	v_mul_f32_e32 v20, v23, v20
	v_mul_f32_e32 v23, v29, v15
	v_add_f32_e32 v18, v18, v83
	v_fma_f32 v23, v28, v14, -v23
	v_add_f32_e32 v18, v18, v23
	v_mul_f32_e32 v23, v27, v13
	v_mul_f32_e32 v14, v29, v14
	v_fma_f32 v23, v26, v12, -v23
	v_fmac_f32_e32 v20, v22, v21
	v_mul_f32_e32 v12, v27, v12
	v_add_f32_e32 v18, v18, v23
	v_mul_f32_e32 v23, v25, v11
	v_add_f32_e32 v19, v19, v20
	v_fmac_f32_e32 v14, v28, v15
	v_fma_f32 v23, v24, v10, -v23
	v_mul_f32_e32 v10, v25, v10
	v_add_f32_e32 v14, v19, v14
	v_fmac_f32_e32 v12, v26, v13
	v_add_f32_e32 v12, v14, v12
	v_fmac_f32_e32 v10, v24, v11
	v_add_f32_e32 v11, v12, v10
	v_mul_f32_e32 v10, v39, v37
	v_add_f32_e32 v18, v18, v23
	v_fma_f32 v10, v38, v36, -v10
	v_mul_f32_e32 v19, v39, v36
	v_mul_f32_e32 v12, v53, v35
	v_add_f32_e32 v10, v18, v10
	v_fma_f32 v12, v52, v34, -v12
	v_mul_f32_e32 v18, v53, v34
	v_fmac_f32_e32 v19, v38, v37
	v_add_f32_e32 v10, v10, v12
	v_mul_f32_e32 v12, v47, v31
	v_mul_f32_e32 v13, v47, v30
	v_add_f32_e32 v11, v11, v19
	v_fmac_f32_e32 v18, v52, v35
	v_fma_f32 v12, v46, v30, -v12
	v_add_f32_e32 v11, v11, v18
	v_fmac_f32_e32 v13, v46, v31
	v_mul_f32_e32 v14, v49, v33
	v_mul_f32_e32 v15, v49, v32
	v_pk_add_f32 v[10:11], v[10:11], v[12:13]
	v_mov_b32_e32 v12, v51
	v_fma_f32 v14, v48, v32, -v14
	v_fmac_f32_e32 v15, v48, v33
	v_pk_mul_f32 v[12:13], v[54:55], v[12:13] op_sel_hi:[1,0]
	v_pk_add_f32 v[10:11], v[10:11], v[14:15]
	v_pk_fma_f32 v[14:15], v[54:55], v[50:51], v[12:13] op_sel:[0,0,1] op_sel_hi:[1,1,0] neg_lo:[0,0,1] neg_hi:[0,0,1]
	v_pk_fma_f32 v[12:13], v[54:55], v[50:51], v[12:13] op_sel:[0,0,1] op_sel_hi:[1,0,0]
	s_add_i32 s2, s2, -1
	v_mov_b32_e32 v12, v45
	v_mov_b32_e32 v15, v13
	v_pk_mul_f32 v[12:13], v[0:1], v[12:13] op_sel_hi:[1,0]
	v_pk_add_f32 v[10:11], v[10:11], v[14:15]
	v_pk_fma_f32 v[14:15], v[0:1], v[44:45], v[12:13] op_sel:[0,0,1] op_sel_hi:[1,1,0] neg_lo:[0,0,1] neg_hi:[0,0,1]
	v_pk_fma_f32 v[0:1], v[0:1], v[44:45], v[12:13] op_sel:[0,0,1] op_sel_hi:[1,0,0]
	s_add_i32 s44, s44, s3
	v_mov_b32_e32 v15, v1
	v_pk_add_f32 v[0:1], v[10:11], v[14:15]
	v_mov_b32_e32 v10, v43
	v_pk_mul_f32 v[10:11], v[2:3], v[10:11] op_sel_hi:[1,0]
	v_lshl_add_u64 v[8:9], v[8:9], 0, s[12:13]
	v_pk_fma_f32 v[12:13], v[2:3], v[42:43], v[10:11] op_sel:[0,0,1] op_sel_hi:[1,1,0] neg_lo:[0,0,1] neg_hi:[0,0,1]
	v_pk_fma_f32 v[2:3], v[2:3], v[42:43], v[10:11] op_sel:[0,0,1] op_sel_hi:[1,0,0]
	s_cmp_eq_u32 s2, 0
	v_mov_b32_e32 v2, v41
	v_mov_b32_e32 v13, v3
	v_pk_mul_f32 v[2:3], v[58:59], v[2:3] op_sel_hi:[1,0]
	v_pk_add_f32 v[0:1], v[0:1], v[12:13]
	v_pk_fma_f32 v[10:11], v[58:59], v[40:41], v[2:3] op_sel:[0,0,1] op_sel_hi:[1,1,0] neg_lo:[0,0,1] neg_hi:[0,0,1]
	v_pk_fma_f32 v[2:3], v[58:59], v[40:41], v[2:3] op_sel:[0,0,1] op_sel_hi:[1,0,0]
	v_add_u32_e32 v6, 64, v6
	v_mov_b32_e32 v2, v65
	v_mov_b32_e32 v11, v3
	v_pk_mul_f32 v[2:3], v[66:67], v[2:3] op_sel_hi:[1,0]
	v_pk_add_f32 v[0:1], v[0:1], v[10:11]
	v_pk_fma_f32 v[10:11], v[66:67], v[64:65], v[2:3] op_sel:[0,0,1] op_sel_hi:[1,1,0] neg_lo:[0,0,1] neg_hi:[0,0,1]
	v_pk_fma_f32 v[2:3], v[66:67], v[64:65], v[2:3] op_sel:[0,0,1] op_sel_hi:[1,0,0]
	s_nop 0
	v_mov_b32_e32 v2, v63
	v_mov_b32_e32 v11, v3
	v_pk_mul_f32 v[2:3], v[72:73], v[2:3] op_sel_hi:[1,0]
	v_pk_add_f32 v[0:1], v[0:1], v[10:11]
	v_pk_fma_f32 v[12:13], v[72:73], v[62:63], v[2:3] op_sel:[0,0,1] op_sel_hi:[1,1,0] neg_lo:[0,0,1] neg_hi:[0,0,1]
	v_pk_fma_f32 v[2:3], v[72:73], v[62:63], v[2:3] op_sel:[0,0,1] op_sel_hi:[1,0,0]
	s_barrier
	v_mov_b32_e32 v2, v61
	v_mov_b32_e32 v13, v3
	v_pk_mul_f32 v[2:3], v[70:71], v[2:3] op_sel_hi:[1,0]
	v_pk_add_f32 v[0:1], v[0:1], v[12:13]
	v_pk_fma_f32 v[14:15], v[70:71], v[60:61], v[2:3] op_sel:[0,0,1] op_sel_hi:[1,1,0] neg_lo:[0,0,1] neg_hi:[0,0,1]
	v_pk_fma_f32 v[2:3], v[70:71], v[60:61], v[2:3] op_sel:[0,0,1] op_sel_hi:[1,0,0]
	s_nop 0
	v_mov_b32_e32 v2, v57
	v_mov_b32_e32 v15, v3
	v_pk_mul_f32 v[2:3], v[68:69], v[2:3] op_sel_hi:[1,0]
	v_pk_add_f32 v[0:1], v[0:1], v[14:15]
	v_pk_fma_f32 v[18:19], v[68:69], v[56:57], v[2:3] op_sel:[0,0,1] op_sel_hi:[1,1,0] neg_lo:[0,0,1] neg_hi:[0,0,1]
	v_pk_fma_f32 v[2:3], v[68:69], v[56:57], v[2:3] op_sel:[0,0,1] op_sel_hi:[1,0,0]
	s_nop 0
	v_mov_b32_e32 v19, v3
	v_pk_add_f32 v[18:19], v[0:1], v[18:19]
	s_cbranch_scc1 .LBB187_101
.LBB187_97:                             ; =>This Inner Loop Header: Depth=1
	s_and_saveexec_b64 s[46:47], s[18:19]
	s_cbranch_execz .LBB187_99
; %bb.98:                               ;   in Loop: Header=BB187_97 Depth=1
	s_ashr_i32 s45, s44, 31
	v_lshl_add_u64 v[0:1], s[44:45], 3, v[4:5]
	flat_load_dwordx2 v[0:1], v[0:1]
	s_waitcnt vmcnt(0) lgkmcnt(0)
	ds_write_b64 v75, v[0:1]
.LBB187_99:                             ;   in Loop: Header=BB187_97 Depth=1
	s_or_b64 exec, exec, s[46:47]
	v_lshl_add_u64 v[0:1], v[8:9], 0, s[8:9]
	s_waitcnt lgkmcnt(0)
	s_barrier
	flat_load_dwordx2 v[20:21], v[8:9]
	flat_load_dwordx2 v[14:15], v[0:1]
	v_lshl_add_u64 v[0:1], v[8:9], 0, s[10:11]
	flat_load_dwordx2 v[12:13], v[0:1]
	v_lshl_add_u64 v[0:1], v[8:9], 0, s[14:15]
	flat_load_dwordx2 v[10:11], v[0:1]
	ds_read_b64 v[0:1], v76
	ds_read_b64 v[22:23], v80
	v_lshl_add_u64 v[2:3], v[8:9], 0, s[16:17]
	v_lshl_add_u64 v[56:57], v[8:9], 0, s[34:35]
	s_waitcnt vmcnt(0) lgkmcnt(0)
	v_mul_f32_e32 v24, v1, v21
	v_mul_f32_e32 v25, v1, v20
	v_fma_f32 v24, v0, v20, -v24
	v_fmac_f32_e32 v25, v0, v21
	v_mul_f32_e32 v26, v1, v15
	v_mul_f32_e32 v27, v1, v14
	;; [unrolled: 1-line block ×5, first 2 shown]
	ds_write_b64 v81, v[24:25]
	v_fma_f32 v26, v0, v14, -v26
	v_fmac_f32_e32 v27, v0, v15
	v_mul_f32_e32 v33, v0, v11
	v_fma_f32 v30, v0, v12, -v28
	v_fmac_f32_e32 v31, v0, v13
	v_fma_f32 v32, v0, v10, -v29
	ds_read_b64 v[28:29], v80 offset:8
	ds_write_b64 v81, v[26:27] offset:536
	v_fmac_f32_e32 v33, v1, v10
	ds_read_b64 v[26:27], v80 offset:16
	ds_write_b64 v81, v[30:31] offset:1072
	ds_read_b64 v[24:25], v80 offset:24
	ds_write_b64 v81, v[32:33] offset:1608
	s_waitcnt lgkmcnt(0)
	s_barrier
	ds_read2_b64 v[66:69], v79 offset1:1
	ds_read2_b64 v[70:73], v79 offset0:2 offset1:3
	s_waitcnt lgkmcnt(0)
	s_barrier
	flat_load_dwordx2 v[36:37], v[2:3]
	v_lshl_add_u64 v[0:1], v[8:9], 0, s[24:25]
	flat_load_dwordx2 v[34:35], v[0:1]
	v_lshl_add_u64 v[0:1], v[8:9], 0, s[20:21]
	;; [unrolled: 2-line block ×3, first 2 shown]
	flat_load_dwordx2 v[32:33], v[0:1]
	ds_read_b64 v[0:1], v76
	ds_read_b64 v[38:39], v80 offset:128
	v_lshl_add_u64 v[2:3], v[8:9], 0, s[26:27]
	v_pk_add_f32 v[66:67], v[66:67], 0 op_sel_hi:[1,0]
	s_waitcnt vmcnt(0) lgkmcnt(0)
	v_mul_f32_e32 v40, v1, v37
	v_mul_f32_e32 v41, v1, v36
	;; [unrolled: 1-line block ×4, first 2 shown]
	v_fma_f32 v40, v0, v36, -v40
	v_fmac_f32_e32 v41, v0, v37
	v_mul_f32_e32 v44, v1, v31
	v_mul_f32_e32 v45, v1, v30
	v_fma_f32 v42, v0, v34, -v42
	v_fmac_f32_e32 v43, v0, v35
	ds_write_b64 v81, v[40:41]
	v_mul_f32_e32 v46, v1, v33
	v_mul_f32_e32 v51, v0, v33
	v_fma_f32 v44, v0, v30, -v44
	v_fmac_f32_e32 v45, v0, v31
	ds_read_b64 v[52:53], v80 offset:136
	ds_write_b64 v81, v[42:43] offset:536
	v_fma_f32 v50, v0, v32, -v46
	v_fmac_f32_e32 v51, v1, v32
	ds_read_b64 v[46:47], v80 offset:144
	ds_write_b64 v81, v[44:45] offset:1072
	v_lshl_add_u64 v[0:1], v[8:9], 0, s[42:43]
	ds_read_b64 v[48:49], v80 offset:152
	ds_write_b64 v81, v[50:51] offset:1608
	s_waitcnt lgkmcnt(0)
	s_barrier
	ds_read2_b64 v[84:87], v79 offset1:1
	ds_read2_b64 v[88:91], v79 offset0:2 offset1:3
	s_waitcnt lgkmcnt(0)
	s_barrier
	flat_load_dwordx2 v[50:51], v[2:3]
	flat_load_dwordx2 v[44:45], v[0:1]
	v_lshl_add_u64 v[0:1], v[8:9], 0, s[28:29]
	flat_load_dwordx2 v[42:43], v[0:1]
	v_lshl_add_u64 v[0:1], v[8:9], 0, s[30:31]
	flat_load_dwordx2 v[40:41], v[0:1]
	ds_read_b64 v[0:1], v76
	ds_read_b64 v[54:55], v80 offset:256
	v_pk_add_f32 v[66:67], v[66:67], v[68:69]
	s_waitcnt vmcnt(0) lgkmcnt(0)
	v_mul_f32_e32 v2, v1, v51
	v_mul_f32_e32 v3, v1, v50
	v_mul_f32_e32 v58, v1, v45
	v_mul_f32_e32 v59, v1, v44
	v_mul_f32_e32 v60, v1, v43
	v_mul_f32_e32 v61, v1, v42
	v_mul_f32_e32 v62, v1, v41
	v_mul_f32_e32 v63, v0, v41
	v_fma_f32 v2, v0, v50, -v2
	v_fmac_f32_e32 v3, v0, v51
	v_fma_f32 v58, v0, v44, -v58
	v_fmac_f32_e32 v59, v0, v45
	;; [unrolled: 2-line block ×4, first 2 shown]
	ds_write2_b64 v81, v[2:3], v[58:59] offset1:67
	ds_write2_b64 v81, v[60:61], v[62:63] offset0:134 offset1:201
	ds_read2_b64 v[0:3], v80 offset0:33 offset1:34
	ds_read_b64 v[58:59], v80 offset:280
	s_waitcnt lgkmcnt(0)
	s_barrier
	ds_read2_b64 v[92:95], v79 offset1:1
	ds_read2_b64 v[96:99], v79 offset0:2 offset1:3
	s_waitcnt lgkmcnt(0)
	s_barrier
	flat_load_dwordx2 v[64:65], v[56:57]
	v_lshl_add_u64 v[56:57], v[8:9], 0, s[40:41]
	flat_load_dwordx2 v[62:63], v[56:57]
	v_lshl_add_u64 v[56:57], v[8:9], 0, s[36:37]
	;; [unrolled: 2-line block ×3, first 2 shown]
	flat_load_dwordx2 v[56:57], v[56:57]
	v_pk_add_f32 v[66:67], v[66:67], v[70:71]
	v_pk_add_f32 v[70:71], v[92:93], 0 op_sel_hi:[1,0]
	v_pk_add_f32 v[100:101], v[66:67], v[72:73]
	v_pk_add_f32 v[66:67], v[84:85], 0 op_sel_hi:[1,0]
	v_pk_add_f32 v[70:71], v[70:71], v[94:95]
	v_pk_add_f32 v[66:67], v[66:67], v[86:87]
	;; [unrolled: 1-line block ×6, first 2 shown]
	ds_read_b64 v[68:69], v76
	ds_read_b64 v[66:67], v80 offset:384
	s_waitcnt vmcnt(0) lgkmcnt(0)
	v_mul_f32_e32 v70, v69, v65
	v_mul_f32_e32 v71, v69, v64
	;; [unrolled: 1-line block ×4, first 2 shown]
	v_fma_f32 v70, v68, v64, -v70
	v_fmac_f32_e32 v71, v68, v65
	v_mul_f32_e32 v73, v69, v61
	v_mul_f32_e32 v87, v69, v60
	v_fma_f32 v84, v68, v62, -v72
	v_fmac_f32_e32 v85, v68, v63
	ds_write_b64 v81, v[70:71]
	v_mul_f32_e32 v83, v69, v57
	v_mul_f32_e32 v89, v68, v57
	v_fma_f32 v86, v68, v60, -v73
	v_fmac_f32_e32 v87, v68, v61
	ds_read_b64 v[72:73], v80 offset:392
	ds_write_b64 v81, v[84:85] offset:536
	v_fma_f32 v88, v68, v56, -v83
	v_fmac_f32_e32 v89, v69, v56
	ds_read_b64 v[70:71], v80 offset:400
	ds_write_b64 v81, v[86:87] offset:1072
	ds_read_b64 v[68:69], v80 offset:408
	ds_write_b64 v81, v[88:89] offset:1608
	s_waitcnt lgkmcnt(0)
	s_barrier
	ds_read2_b64 v[84:87], v79 offset1:1
	ds_read2_b64 v[88:91], v79 offset0:2 offset1:3
	s_waitcnt lgkmcnt(0)
	s_barrier
	v_pk_add_f32 v[84:85], v[84:85], 0 op_sel_hi:[1,0]
	ds_write2_b64 v82, v[100:101], v[102:103] offset1:16
	v_pk_add_f32 v[84:85], v[84:85], v[86:87]
	s_nop 0
	v_pk_add_f32 v[84:85], v[84:85], v[88:89]
	s_nop 0
	v_pk_add_f32 v[84:85], v[84:85], v[90:91]
	ds_write2_b64 v82, v[92:93], v[84:85] offset0:32 offset1:48
	s_waitcnt lgkmcnt(0)
	s_barrier
	s_and_saveexec_b64 s[46:47], s[0:1]
	s_cbranch_execz .LBB187_96
; %bb.100:                              ;   in Loop: Header=BB187_97 Depth=1
	ds_read_b64 v[92:93], v77
	ds_read2_b64 v[84:87], v77 offset0:1 offset1:2
	ds_read2_b64 v[88:91], v77 offset0:3 offset1:4
	v_lshl_add_u64 v[96:97], v[6:7], 3, s[6:7]
	s_waitcnt lgkmcnt(1)
	v_add_f32_e32 v83, v84, v92
	v_add_f32_e32 v84, v85, v93
	;; [unrolled: 1-line block ×4, first 2 shown]
	ds_read2_b64 v[84:87], v77 offset0:5 offset1:6
	s_waitcnt lgkmcnt(1)
	v_add_f32_e32 v83, v83, v88
	v_add_f32_e32 v88, v92, v89
	;; [unrolled: 1-line block ×4, first 2 shown]
	ds_read2_b64 v[88:91], v77 offset0:7 offset1:8
	s_waitcnt lgkmcnt(1)
	v_pk_add_f32 v[84:85], v[92:93], v[84:85]
	ds_read2_b64 v[92:95], v77 offset0:9 offset1:10
	v_pk_add_f32 v[84:85], v[84:85], v[86:87]
	s_waitcnt lgkmcnt(1)
	v_pk_add_f32 v[84:85], v[84:85], v[88:89]
	s_nop 0
	v_pk_add_f32 v[88:89], v[84:85], v[90:91]
	ds_read2_b64 v[84:87], v77 offset0:11 offset1:12
	s_waitcnt lgkmcnt(1)
	v_pk_add_f32 v[92:93], v[88:89], v[92:93]
	ds_read2_b64 v[88:91], v77 offset0:13 offset1:14
	v_pk_add_f32 v[92:93], v[92:93], v[94:95]
	ds_read_b64 v[94:95], v78
	s_waitcnt lgkmcnt(2)
	v_pk_add_f32 v[84:85], v[92:93], v[84:85]
	s_nop 0
	v_pk_add_f32 v[84:85], v[84:85], v[86:87]
	s_waitcnt lgkmcnt(1)
	v_pk_add_f32 v[84:85], v[84:85], v[88:89]
	s_nop 0
	v_pk_add_f32 v[84:85], v[84:85], v[90:91]
	s_waitcnt lgkmcnt(0)
	v_pk_add_f32 v[84:85], v[84:85], v[94:95]
	global_store_dwordx2 v[96:97], v[84:85], off
	s_branch .LBB187_96
.LBB187_101:
	s_movk_i32 s0, 0x218
	v_mad_u32_u24 v0, v17, s0, v74
	s_or_b64 s[0:1], s[4:5], vcc
	s_xor_b64 s[0:1], s[0:1], -1
	ds_write_b64 v0, v[18:19]
	s_waitcnt lgkmcnt(0)
	s_barrier
	s_and_saveexec_b64 s[2:3], s[0:1]
	s_cbranch_execz .LBB187_103
; %bb.102:
	ds_read2_b64 v[0:3], v74 offset1:67
	ds_read2_b64 v[4:7], v74 offset0:134 offset1:201
	v_ashrrev_i32_e32 v17, 31, v16
	v_lshl_add_u64 v[8:9], v[16:17], 3, s[6:7]
	s_waitcnt lgkmcnt(1)
	v_pk_add_f32 v[0:1], v[2:3], v[0:1]
	s_waitcnt lgkmcnt(0)
	v_pk_add_f32 v[0:1], v[0:1], v[4:5]
	s_nop 0
	v_pk_add_f32 v[0:1], v[0:1], v[6:7]
	global_store_dwordx2 v[8:9], v[0:1], off
.LBB187_103:
	s_endpgm
	.section	.rodata,"a",@progbits
	.p2align	6, 0x0
	.amdhsa_kernel _ZL26rocblas_hemvn_kernel_lowerILb0ELi64ELi4ELi33ELi32ELi16Ei19rocblas_complex_numIfEPKPKS1_PS1_EviT6_lT7_lT5_lS8_lS9_lS7_lT8_i
		.amdhsa_group_segment_fixed_size 9600
		.amdhsa_private_segment_fixed_size 0
		.amdhsa_kernarg_size 376
		.amdhsa_user_sgpr_count 2
		.amdhsa_user_sgpr_dispatch_ptr 0
		.amdhsa_user_sgpr_queue_ptr 0
		.amdhsa_user_sgpr_kernarg_segment_ptr 1
		.amdhsa_user_sgpr_dispatch_id 0
		.amdhsa_user_sgpr_kernarg_preload_length 0
		.amdhsa_user_sgpr_kernarg_preload_offset 0
		.amdhsa_user_sgpr_private_segment_size 0
		.amdhsa_uses_dynamic_stack 0
		.amdhsa_enable_private_segment 0
		.amdhsa_system_sgpr_workgroup_id_x 1
		.amdhsa_system_sgpr_workgroup_id_y 0
		.amdhsa_system_sgpr_workgroup_id_z 1
		.amdhsa_system_sgpr_workgroup_info 0
		.amdhsa_system_vgpr_workitem_id 1
		.amdhsa_next_free_vgpr 104
		.amdhsa_next_free_sgpr 48
		.amdhsa_accum_offset 104
		.amdhsa_reserve_vcc 1
		.amdhsa_float_round_mode_32 0
		.amdhsa_float_round_mode_16_64 0
		.amdhsa_float_denorm_mode_32 3
		.amdhsa_float_denorm_mode_16_64 3
		.amdhsa_dx10_clamp 1
		.amdhsa_ieee_mode 1
		.amdhsa_fp16_overflow 0
		.amdhsa_tg_split 0
		.amdhsa_exception_fp_ieee_invalid_op 0
		.amdhsa_exception_fp_denorm_src 0
		.amdhsa_exception_fp_ieee_div_zero 0
		.amdhsa_exception_fp_ieee_overflow 0
		.amdhsa_exception_fp_ieee_underflow 0
		.amdhsa_exception_fp_ieee_inexact 0
		.amdhsa_exception_int_div_zero 0
	.end_amdhsa_kernel
	.section	.text._ZL26rocblas_hemvn_kernel_lowerILb0ELi64ELi4ELi33ELi32ELi16Ei19rocblas_complex_numIfEPKPKS1_PS1_EviT6_lT7_lT5_lS8_lS9_lS7_lT8_i,"axG",@progbits,_ZL26rocblas_hemvn_kernel_lowerILb0ELi64ELi4ELi33ELi32ELi16Ei19rocblas_complex_numIfEPKPKS1_PS1_EviT6_lT7_lT5_lS8_lS9_lS7_lT8_i,comdat
.Lfunc_end187:
	.size	_ZL26rocblas_hemvn_kernel_lowerILb0ELi64ELi4ELi33ELi32ELi16Ei19rocblas_complex_numIfEPKPKS1_PS1_EviT6_lT7_lT5_lS8_lS9_lS7_lT8_i, .Lfunc_end187-_ZL26rocblas_hemvn_kernel_lowerILb0ELi64ELi4ELi33ELi32ELi16Ei19rocblas_complex_numIfEPKPKS1_PS1_EviT6_lT7_lT5_lS8_lS9_lS7_lT8_i
                                        ; -- End function
	.section	.AMDGPU.csdata,"",@progbits
; Kernel info:
; codeLenInByte = 7364
; NumSgprs: 54
; NumVgprs: 104
; NumAgprs: 0
; TotalNumVgprs: 104
; ScratchSize: 0
; MemoryBound: 1
; FloatMode: 240
; IeeeMode: 1
; LDSByteSize: 9600 bytes/workgroup (compile time only)
; SGPRBlocks: 6
; VGPRBlocks: 12
; NumSGPRsForWavesPerEU: 54
; NumVGPRsForWavesPerEU: 104
; AccumOffset: 104
; Occupancy: 4
; WaveLimiterHint : 1
; COMPUTE_PGM_RSRC2:SCRATCH_EN: 0
; COMPUTE_PGM_RSRC2:USER_SGPR: 2
; COMPUTE_PGM_RSRC2:TRAP_HANDLER: 0
; COMPUTE_PGM_RSRC2:TGID_X_EN: 1
; COMPUTE_PGM_RSRC2:TGID_Y_EN: 0
; COMPUTE_PGM_RSRC2:TGID_Z_EN: 1
; COMPUTE_PGM_RSRC2:TIDIG_COMP_CNT: 1
; COMPUTE_PGM_RSRC3_GFX90A:ACCUM_OFFSET: 25
; COMPUTE_PGM_RSRC3_GFX90A:TG_SPLIT: 0
	.section	.text._ZL26rocblas_hemvn_kernel_upperILb0ELi64ELi4ELi33ELi32ELi16ElPK19rocblas_complex_numIdEPKS3_PS1_EviT6_lT7_lT5_lS8_lS9_lS7_lT8_i,"axG",@progbits,_ZL26rocblas_hemvn_kernel_upperILb0ELi64ELi4ELi33ELi32ELi16ElPK19rocblas_complex_numIdEPKS3_PS1_EviT6_lT7_lT5_lS8_lS9_lS7_lT8_i,comdat
	.globl	_ZL26rocblas_hemvn_kernel_upperILb0ELi64ELi4ELi33ELi32ELi16ElPK19rocblas_complex_numIdEPKS3_PS1_EviT6_lT7_lT5_lS8_lS9_lS7_lT8_i ; -- Begin function _ZL26rocblas_hemvn_kernel_upperILb0ELi64ELi4ELi33ELi32ELi16ElPK19rocblas_complex_numIdEPKS3_PS1_EviT6_lT7_lT5_lS8_lS9_lS7_lT8_i
	.p2align	8
	.type	_ZL26rocblas_hemvn_kernel_upperILb0ELi64ELi4ELi33ELi32ELi16ElPK19rocblas_complex_numIdEPKS3_PS1_EviT6_lT7_lT5_lS8_lS9_lS7_lT8_i,@function
_ZL26rocblas_hemvn_kernel_upperILb0ELi64ELi4ELi33ELi32ELi16ElPK19rocblas_complex_numIdEPKS3_PS1_EviT6_lT7_lT5_lS8_lS9_lS7_lT8_i: ; @_ZL26rocblas_hemvn_kernel_upperILb0ELi64ELi4ELi33ELi32ELi16ElPK19rocblas_complex_numIdEPKS3_PS1_EviT6_lT7_lT5_lS8_lS9_lS7_lT8_i
; %bb.0:
	s_load_dwordx2 s[4:5], s[0:1], 0x84
	s_add_u32 s12, s0, 0x78
	s_mov_b32 s24, s3
	s_addc_u32 s13, s1, 0
	s_waitcnt lgkmcnt(0)
	s_and_b32 s3, s5, 0xffff
	s_lshr_b32 s5, s4, 16
	s_and_b32 s4, s4, 0xffff
	s_mul_i32 s4, s5, s4
	s_mul_i32 s4, s4, s3
	s_cmpk_lg_i32 s4, 0x100
	s_cbranch_scc1 .LBB188_158
; %bb.1:
	s_load_dwordx8 s[4:11], s[0:1], 0x8
	s_load_dwordx2 s[26:27], s[0:1], 0x68
	s_mov_b32 s25, 0
	s_mov_b64 s[16:17], 0
	s_waitcnt lgkmcnt(0)
	s_mul_i32 s3, s24, s7
	s_mul_hi_u32 s7, s24, s6
	s_mul_i32 s6, s24, s6
	s_add_i32 s7, s7, s3
	s_lshl_b64 s[6:7], s[6:7], 4
	s_add_u32 s14, s4, s6
	s_addc_u32 s15, s5, s7
	s_load_dwordx4 s[28:31], s[14:15], 0x0
	s_load_dwordx2 s[22:23], s[0:1], 0x28
	s_load_dwordx4 s[4:7], s[0:1], 0x58
	s_waitcnt lgkmcnt(0)
	v_cmp_neq_f64_e64 s[14:15], s[28:29], 0
	v_cmp_neq_f64_e64 s[18:19], s[30:31], 0
	s_or_b64 s[14:15], s[14:15], s[18:19]
	s_and_b64 vcc, exec, s[14:15]
	s_cbranch_vccnz .LBB188_3
; %bb.2:
	s_mul_i32 s3, s24, s7
	s_mul_hi_u32 s7, s24, s6
	s_add_i32 s7, s7, s3
	s_mul_i32 s6, s24, s6
	s_lshl_b64 s[6:7], s[6:7], 4
	s_add_u32 s4, s4, s6
	s_addc_u32 s5, s5, s7
	s_load_dwordx4 s[16:19], s[4:5], 0x0
	s_mov_b64 s[6:7], 0
	s_waitcnt lgkmcnt(0)
	v_cmp_neq_f64_e64 s[4:5], s[16:17], 1.0
	v_cmp_neq_f64_e64 s[16:17], s[18:19], 0
	s_or_b64 s[16:17], s[4:5], s[16:17]
	s_cbranch_execz .LBB188_4
	s_branch .LBB188_5
.LBB188_3:
	s_mov_b64 s[6:7], -1
.LBB188_4:
	s_lshl_b64 s[4:5], s[24:25], 3
	s_add_u32 s4, s8, s4
	s_addc_u32 s5, s9, s5
	s_load_dwordx2 s[4:5], s[4:5], 0x0
	s_lshl_b64 s[6:7], s[10:11], 4
	s_mov_b64 s[16:17], -1
	s_waitcnt lgkmcnt(0)
	s_add_u32 s6, s4, s6
	s_addc_u32 s7, s5, s7
.LBB188_5:
	s_andn2_b64 vcc, exec, s[16:17]
	s_cbranch_vccnz .LBB188_158
; %bb.6:
	s_load_dwordx4 s[8:11], s[0:1], 0x38
	s_load_dwordx2 s[16:17], s[0:1], 0x48
	v_cndmask_b32_e64 v1, 0, 1, s[14:15]
	v_cmp_ne_u32_e64 s[4:5], 1, v1
	s_andn2_b64 vcc, exec, s[14:15]
	s_mov_b64 s[14:15], 0
	s_cbranch_vccnz .LBB188_8
; %bb.7:
	s_lshl_b64 s[14:15], s[24:25], 3
	s_waitcnt lgkmcnt(0)
	s_add_u32 s8, s8, s14
	s_addc_u32 s9, s9, s15
	s_load_dwordx2 s[8:9], s[8:9], 0x0
	s_lshl_b64 s[10:11], s[10:11], 4
	s_waitcnt lgkmcnt(0)
	s_add_u32 s14, s8, s10
	s_addc_u32 s15, s9, s11
.LBB188_8:
	s_and_b64 vcc, exec, s[4:5]
	s_cbranch_vccnz .LBB188_158
; %bb.9:
	s_load_dword s3, s[12:13], 0x0
	s_load_dword s25, s[0:1], 0x0
	v_and_b32_e32 v204, 0x3ff, v0
	s_lshl_b32 s28, s2, 6
	v_add_u32_e32 v166, s28, v204
	s_waitcnt lgkmcnt(0)
	s_add_i32 s0, s3, -1
	s_ashr_i32 s34, s25, 31
	s_lshr_b32 s1, s34, 26
	s_add_i32 s1, s25, s1
	s_andn2_b32 s1, s1, 63
	s_sub_i32 s33, s25, s1
	v_ashrrev_i32_e32 v167, 31, v166
	v_bfe_u32 v205, v0, 10, 10
	s_cmp_eq_u32 s2, s0
	v_mul_lo_u32 v2, v167, s16
	v_mul_lo_u32 v3, v166, s17
	v_mad_u64_u32 v[0:1], s[0:1], v166, s16, 0
	v_add3_u32 v1, v1, v3, v2
	s_cselect_b32 s18, s33, 0
	v_lshl_add_u64 v[36:37], v[0:1], 4, s[14:15]
	v_cmp_eq_u32_e64 s[0:1], 0, v205
	s_and_saveexec_b64 s[4:5], s[0:1]
	s_cbranch_execz .LBB188_14
; %bb.10:
	s_cmp_lg_u32 s18, 0
	s_cselect_b64 s[8:9], -1, 0
	v_cmp_le_i32_e32 vcc, s18, v204
	v_mov_b32_e32 v0, 0x4700
	s_and_b64 s[8:9], s[8:9], vcc
	v_lshl_add_u32 v0, v204, 4, v0
	s_and_saveexec_b64 s[10:11], s[8:9]
	s_xor_b64 s[8:9], exec, s[10:11]
	s_cbranch_execz .LBB188_12
; %bb.11:
	v_mov_b32_e32 v2, 0
	v_mov_b32_e32 v3, v2
	;; [unrolled: 1-line block ×4, first 2 shown]
	ds_write_b128 v0, v[2:5]
                                        ; implicit-def: $vgpr0
.LBB188_12:
	s_andn2_saveexec_b64 s[8:9], s[8:9]
	s_cbranch_execz .LBB188_14
; %bb.13:
	flat_load_dwordx4 v[2:5], v[36:37]
	s_waitcnt vmcnt(0) lgkmcnt(0)
	ds_write2_b64 v0, v[2:3], v[4:5] offset1:1
.LBB188_14:
	s_or_b64 exec, exec, s[4:5]
	s_ashr_i32 s29, s28, 31
	v_lshl_add_u32 v42, v205, 6, v204
	s_lshl_b64 s[4:5], s[28:29], 4
	v_and_b32_e32 v4, 31, v204
	v_lshrrev_b32_e32 v14, 5, v42
	s_add_u32 s6, s6, s4
	v_mov_b32_e32 v5, 0
	s_addc_u32 s7, s7, s5
	v_mad_u64_u32 v[38:39], s[4:5], v14, s22, v[4:5]
	v_mov_b32_e32 v0, v39
	v_mad_u64_u32 v[0:1], s[4:5], v14, s23, v[0:1]
	s_mul_i32 s4, s28, s23
	s_mul_hi_u32 s5, s28, s22
	s_add_i32 s4, s5, s4
	s_mul_i32 s5, s29, s22
	s_add_i32 s5, s4, s5
	s_mul_i32 s4, s28, s22
	s_lshl_b64 s[4:5], s[4:5], 4
	s_add_u32 s4, s4, s6
	s_addc_u32 s5, s5, s7
	s_cmp_eq_u32 s18, 0
	s_cselect_b64 s[20:21], -1, 0
	s_cmp_lg_u32 s18, 0
	v_mov_b32_e32 v39, v0
	s_cselect_b64 s[30:31], -1, 0
	v_lshl_add_u64 v[0:1], v[38:39], 4, s[4:5]
	s_and_b64 vcc, exec, s[30:31]
	v_cmp_gt_i32_e64 s[4:5], s18, v4
	v_lshlrev_b32_e32 v6, 4, v4
	v_mul_u32_u24_e32 v5, 33, v14
	s_mul_i32 s35, s23, 0x180
	s_cbranch_vccz .LBB188_32
; %bb.15:
	v_sub_co_u32_e32 v2, vcc, v0, v6
	s_ashr_i32 s19, s18, 31
	s_nop 0
	v_subbrev_co_u32_e32 v3, vcc, 0, v1, vcc
	v_lshl_add_u64 v[2:3], s[18:19], 4, v[2:3]
	v_lshl_add_u64 v[2:3], v[2:3], 0, -16
	v_cndmask_b32_e64 v3, v3, v1, s[4:5]
	v_cndmask_b32_e64 v2, v2, v0, s[4:5]
	v_cmp_le_i32_e32 vcc, s18, v14
	v_add_lshl_u32 v7, v5, v4, 4
	s_and_saveexec_b64 s[6:7], vcc
	s_xor_b64 s[6:7], exec, s[6:7]
	s_cbranch_execz .LBB188_17
; %bb.16:
	v_mov_b32_e32 v8, 0
	v_mov_b32_e32 v9, v8
	;; [unrolled: 1-line block ×4, first 2 shown]
	ds_write_b128 v7, v[8:11]
.LBB188_17:
	s_andn2_saveexec_b64 s[6:7], s[6:7]
	s_cbranch_execz .LBB188_19
; %bb.18:
	flat_load_dwordx4 v[8:11], v[2:3]
	s_waitcnt vmcnt(0) lgkmcnt(0)
	ds_write2_b64 v7, v[8:9], v[10:11] offset1:1
.LBB188_19:
	s_or_b64 exec, exec, s[6:7]
	v_add_u32_e32 v8, 8, v14
	v_cmp_le_i32_e32 vcc, s18, v8
	s_and_saveexec_b64 s[6:7], vcc
	s_xor_b64 s[6:7], exec, s[6:7]
	s_cbranch_execz .LBB188_21
; %bb.20:
	v_mul_u32_u24_e32 v8, 33, v8
	v_add_lshl_u32 v12, v8, v4, 4
	v_mov_b32_e32 v8, 0
	v_mov_b32_e32 v9, v8
	;; [unrolled: 1-line block ×4, first 2 shown]
	ds_write_b128 v12, v[8:11]
.LBB188_21:
	s_andn2_saveexec_b64 s[6:7], s[6:7]
	s_cbranch_execz .LBB188_23
; %bb.22:
	s_lshl_b64 s[8:9], s[22:23], 7
	v_lshl_add_u64 v[8:9], v[2:3], 0, s[8:9]
	flat_load_dwordx4 v[8:11], v[8:9]
	v_add_u32_e32 v12, 0x1080, v7
	s_waitcnt vmcnt(0) lgkmcnt(0)
	ds_write2_b64 v12, v[8:9], v[10:11] offset1:1
.LBB188_23:
	s_or_b64 exec, exec, s[6:7]
	v_add_u32_e32 v8, 16, v14
	v_cmp_le_i32_e32 vcc, s18, v8
	s_and_saveexec_b64 s[6:7], vcc
	s_xor_b64 s[6:7], exec, s[6:7]
	s_cbranch_execz .LBB188_25
; %bb.24:
	v_mov_b32_e32 v8, 0
	v_mov_b32_e32 v9, v8
	;; [unrolled: 1-line block ×4, first 2 shown]
	ds_write_b128 v7, v[8:11] offset:8448
.LBB188_25:
	s_andn2_saveexec_b64 s[6:7], s[6:7]
	s_cbranch_execz .LBB188_27
; %bb.26:
	s_lshl_b64 s[8:9], s[22:23], 8
	v_lshl_add_u64 v[8:9], v[2:3], 0, s[8:9]
	flat_load_dwordx4 v[8:11], v[8:9]
	v_add_u32_e32 v12, 0x2100, v7
	s_waitcnt vmcnt(0) lgkmcnt(0)
	ds_write2_b64 v12, v[8:9], v[10:11] offset1:1
.LBB188_27:
	s_or_b64 exec, exec, s[6:7]
	v_add_u32_e32 v8, 24, v14
	v_cmp_le_i32_e32 vcc, s18, v8
	s_and_saveexec_b64 s[6:7], vcc
	s_xor_b64 s[6:7], exec, s[6:7]
	s_cbranch_execz .LBB188_29
; %bb.28:
	v_mov_b32_e32 v8, 0
	v_mov_b32_e32 v9, v8
	;; [unrolled: 1-line block ×4, first 2 shown]
	ds_write_b128 v7, v[8:11] offset:12672
                                        ; implicit-def: $vgpr7
.LBB188_29:
	s_andn2_saveexec_b64 s[6:7], s[6:7]
	s_cbranch_execz .LBB188_31
; %bb.30:
	v_mov_b32_e32 v8, 0x180
	v_mad_u64_u32 v[8:9], s[8:9], s22, v8, v[2:3]
	v_add_u32_e32 v9, s35, v9
	flat_load_dwordx4 v[8:11], v[8:9]
	v_add_u32_e32 v7, 0x3180, v7
	s_waitcnt vmcnt(0) lgkmcnt(0)
	ds_write2_b64 v7, v[8:9], v[10:11] offset1:1
.LBB188_31:
	s_or_b64 exec, exec, s[6:7]
	v_mov_b32_e32 v7, 0
	v_lshl_add_u64 v[2:3], v[2:3], 0, v[6:7]
	s_lshl_b64 s[6:7], s[18:19], 4
	v_mov_b32_e32 v7, s7
	v_subrev_co_u32_e32 v2, vcc, s6, v2
	s_nop 1
	v_subb_co_u32_e32 v3, vcc, v3, v7, vcc
	v_lshl_add_u64 v[2:3], v[2:3], 0, 16
	v_cndmask_b32_e64 v9, v3, v1, s[4:5]
	v_cndmask_b32_e64 v8, v2, v0, s[4:5]
	s_branch .LBB188_34
.LBB188_32:
                                        ; implicit-def: $vgpr8_vgpr9
	s_cbranch_execz .LBB188_34
; %bb.33:
	flat_load_dwordx4 v[8:11], v[0:1]
	v_add_lshl_u32 v7, v5, v4, 4
	s_lshl_b64 s[4:5], s[22:23], 7
	v_lshl_add_u64 v[2:3], v[0:1], 0, s[4:5]
	v_add_u32_e32 v12, 0x1080, v7
	s_waitcnt vmcnt(0) lgkmcnt(0)
	ds_write2_b64 v7, v[8:9], v[10:11] offset1:1
	flat_load_dwordx4 v[8:11], v[2:3]
	v_lshl_add_u64 v[2:3], v[2:3], 0, s[4:5]
	s_waitcnt vmcnt(0) lgkmcnt(0)
	ds_write2_b64 v12, v[8:9], v[10:11] offset1:1
	flat_load_dwordx4 v[8:11], v[2:3]
	v_mov_b32_e32 v2, 0x180
	v_add_u32_e32 v12, 0x2100, v7
	v_mad_u64_u32 v[2:3], s[4:5], s22, v2, v[0:1]
	v_add_u32_e32 v3, s35, v3
	s_waitcnt vmcnt(0) lgkmcnt(0)
	ds_write2_b64 v12, v[8:9], v[10:11] offset1:1
	flat_load_dwordx4 v[8:11], v[2:3]
	v_add_u32_e32 v2, 0x3180, v7
	s_waitcnt vmcnt(0) lgkmcnt(0)
	ds_write2_b64 v2, v[8:9], v[10:11] offset1:1
	v_mov_b64_e32 v[8:9], v[0:1]
.LBB188_34:
	v_lshlrev_b32_e32 v0, 2, v14
	v_mul_u32_u24_e32 v15, 33, v4
	v_cmp_gt_u32_e64 s[4:5], v0, v4
	v_add_lshl_u32 v17, v0, v15, 4
	s_waitcnt lgkmcnt(0)
	s_barrier
	s_and_saveexec_b64 s[6:7], s[4:5]
	s_cbranch_execz .LBB188_36
; %bb.35:
	v_mul_u32_u24_e32 v1, 0x84, v14
	v_add_lshl_u32 v1, v1, v4, 4
	ds_read_b128 v[10:13], v1
	s_waitcnt lgkmcnt(0)
	ds_write_b128 v17, v[10:13]
.LBB188_36:
	s_or_b64 exec, exec, s[6:7]
	v_cmp_ge_u32_e64 s[6:7], v0, v4
	s_and_saveexec_b64 s[8:9], s[6:7]
	s_cbranch_execz .LBB188_38
; %bb.37:
	v_or_b32_e32 v1, 1, v0
	v_mul_u32_u24_e32 v1, 33, v1
	v_add_lshl_u32 v1, v1, v4, 4
	ds_read_b128 v[10:13], v1
	s_waitcnt lgkmcnt(0)
	ds_write_b128 v17, v[10:13] offset:16
.LBB188_38:
	s_or_b64 exec, exec, s[8:9]
	v_or_b32_e32 v1, 2, v0
	v_cmp_gt_u32_e64 s[8:9], v1, v4
	s_and_saveexec_b64 s[10:11], s[8:9]
	s_cbranch_execz .LBB188_40
; %bb.39:
	v_mul_u32_u24_e32 v1, 33, v1
	v_add_lshl_u32 v1, v1, v4, 4
	ds_read_b128 v[10:13], v1
	s_waitcnt lgkmcnt(0)
	ds_write_b128 v17, v[10:13] offset:32
.LBB188_40:
	s_or_b64 exec, exec, s[10:11]
	v_or_b32_e32 v1, 3, v0
	v_cmp_gt_u32_e64 s[10:11], v1, v4
	v_mad_u32_u24 v1, v1, 33, v4
	v_lshlrev_b32_e32 v16, 4, v1
	s_and_saveexec_b64 s[12:13], s[10:11]
	s_cbranch_execz .LBB188_42
; %bb.41:
	ds_read_b128 v[10:13], v16
	s_waitcnt lgkmcnt(0)
	ds_write_b128 v17, v[10:13] offset:48
.LBB188_42:
	s_or_b64 exec, exec, s[12:13]
	v_mul_u32_u24_e32 v1, 0x84, v14
	v_lshlrev_b32_e32 v18, 4, v0
	s_waitcnt lgkmcnt(0)
	s_barrier
	v_add_lshl_u32 v24, v1, v4, 4
	ds_read_b128 v[0:3], v18 offset:18176
	ds_read_b128 v[10:13], v24
	ds_read_b128 v[20:23], v18 offset:18192
	ds_read_b128 v[26:29], v18 offset:18208
	v_add_u32_e32 v25, 0xfffffbe0, v16
	ds_read_b128 v[30:33], v25
	ds_read_b128 v[44:47], v25 offset:528
	s_waitcnt lgkmcnt(4)
	v_mul_f64 v[34:35], v[2:3], v[12:13]
	v_fma_f64 v[34:35], v[0:1], v[10:11], -v[34:35]
	v_mul_f64 v[0:1], v[0:1], v[12:13]
	v_fmac_f64_e32 v[0:1], v[2:3], v[10:11]
	s_waitcnt lgkmcnt(1)
	v_mul_f64 v[12:13], v[20:21], v[32:33]
	v_add_f64 v[0:1], v[0:1], 0
	v_mul_f64 v[10:11], v[22:23], v[32:33]
	v_fmac_f64_e32 v[12:13], v[22:23], v[30:31]
	v_add_f64 v[2:3], v[34:35], 0
	v_fma_f64 v[10:11], v[20:21], v[30:31], -v[10:11]
	v_add_f64 v[22:23], v[0:1], v[12:13]
	s_waitcnt lgkmcnt(0)
	v_mul_f64 v[0:1], v[28:29], v[46:47]
	v_add_f64 v[20:21], v[2:3], v[10:11]
	v_fma_f64 v[30:31], v[26:27], v[44:45], -v[0:1]
	ds_read_b128 v[0:3], v18 offset:18224
	ds_read_b128 v[10:13], v16
	v_mul_f64 v[26:27], v[26:27], v[46:47]
	v_fmac_f64_e32 v[26:27], v[28:29], v[44:45]
	v_add_f64 v[22:23], v[22:23], v[26:27]
	v_add_f64 v[20:21], v[20:21], v[30:31]
	s_waitcnt lgkmcnt(0)
	v_mul_f64 v[26:27], v[2:3], v[12:13]
	v_mul_f64 v[12:13], v[0:1], v[12:13]
	v_fma_f64 v[26:27], v[0:1], v[10:11], -v[26:27]
	v_fmac_f64_e32 v[12:13], v[2:3], v[10:11]
	v_add_f64 v[0:1], v[20:21], v[26:27]
	v_add_f64 v[2:3], v[22:23], v[12:13]
	v_add_lshl_u32 v44, v14, v15, 4
	s_barrier
	ds_write_b128 v44, v[0:3]
	v_mov_b64_e32 v[0:1], 0
	v_cmp_gt_u32_e64 s[12:13], 32, v42
	v_lshlrev_b32_e32 v43, 4, v15
	v_mov_b64_e32 v[2:3], v[0:1]
	s_waitcnt lgkmcnt(0)
	s_barrier
	s_and_saveexec_b64 s[14:15], s[12:13]
	s_cbranch_execz .LBB188_44
; %bb.43:
	ds_read_b128 v[0:3], v43
	ds_read_b128 v[10:13], v43 offset:16
	ds_read_b128 v[20:23], v43 offset:32
	ds_read_b128 v[26:29], v43 offset:48
	s_waitcnt lgkmcnt(2)
	v_add_f64 v[0:1], v[10:11], v[0:1]
	v_add_f64 v[10:11], v[12:13], v[2:3]
	s_waitcnt lgkmcnt(1)
	v_add_f64 v[12:13], v[0:1], v[20:21]
	ds_read_b128 v[0:3], v43 offset:64
	v_add_f64 v[10:11], v[10:11], v[22:23]
	s_waitcnt lgkmcnt(1)
	v_add_f64 v[20:21], v[12:13], v[26:27]
	v_add_f64 v[26:27], v[10:11], v[28:29]
	ds_read_b128 v[10:13], v43 offset:80
	s_waitcnt lgkmcnt(1)
	v_add_f64 v[28:29], v[20:21], v[0:1]
	ds_read_b128 v[20:23], v43 offset:96
	v_add_f64 v[26:27], v[26:27], v[2:3]
	ds_read_b128 v[0:3], v43 offset:112
	s_waitcnt lgkmcnt(2)
	v_add_f64 v[10:11], v[28:29], v[10:11]
	v_add_f64 v[12:13], v[26:27], v[12:13]
	s_waitcnt lgkmcnt(1)
	v_add_f64 v[10:11], v[10:11], v[20:21]
	v_add_f64 v[12:13], v[12:13], v[22:23]
	;; [unrolled: 3-line block ×3, first 2 shown]
.LBB188_44:
	s_or_b64 exec, exec, s[14:15]
	s_lshl_b64 s[14:15], s[22:23], 9
	v_lshl_add_u64 v[12:13], v[8:9], 0, s[14:15]
	s_mov_b64 s[14:15], 0x200
	v_lshl_add_u64 v[10:11], v[12:13], 0, s[14:15]
	s_and_b64 vcc, exec, s[30:31]
	s_barrier
	s_cbranch_vccz .LBB188_62
; %bb.45:
	v_or_b32_e32 v7, 32, v4
	v_lshlrev_b32_e32 v8, 4, v7
	v_sub_co_u32_e32 v8, vcc, v10, v8
	s_ashr_i32 s19, s18, 31
	s_nop 0
	v_subbrev_co_u32_e32 v9, vcc, 0, v11, vcc
	v_lshl_add_u64 v[8:9], s[18:19], 4, v[8:9]
	v_lshl_add_u64 v[8:9], v[8:9], 0, -16
	v_cmp_gt_i32_e32 vcc, s18, v7
	s_sub_i32 s36, s18, 32
	v_cmp_le_i32_e64 s[14:15], s36, v14
	v_cndmask_b32_e32 v9, v9, v11, vcc
	v_cndmask_b32_e32 v8, v8, v10, vcc
	v_add_lshl_u32 v7, v5, v4, 4
	s_and_saveexec_b64 s[38:39], s[14:15]
	s_xor_b64 s[14:15], exec, s[38:39]
	s_cbranch_execz .LBB188_47
; %bb.46:
	v_mov_b32_e32 v20, 0
	v_mov_b32_e32 v21, v20
	;; [unrolled: 1-line block ×4, first 2 shown]
	ds_write_b128 v7, v[20:23]
.LBB188_47:
	s_andn2_saveexec_b64 s[14:15], s[14:15]
	s_cbranch_execz .LBB188_49
; %bb.48:
	flat_load_dwordx4 v[20:23], v[8:9]
	s_waitcnt vmcnt(0) lgkmcnt(0)
	ds_write2_b64 v7, v[20:21], v[22:23] offset1:1
.LBB188_49:
	s_or_b64 exec, exec, s[14:15]
	v_add_u32_e32 v19, 8, v14
	v_cmp_le_i32_e64 s[14:15], s36, v19
	s_and_saveexec_b64 s[38:39], s[14:15]
	s_xor_b64 s[14:15], exec, s[38:39]
	s_cbranch_execz .LBB188_51
; %bb.50:
	v_mul_u32_u24_e32 v19, 33, v19
	v_mov_b32_e32 v20, 0
	v_add_lshl_u32 v19, v19, v4, 4
	v_mov_b32_e32 v21, v20
	v_mov_b32_e32 v22, v20
	v_mov_b32_e32 v23, v20
	ds_write_b128 v19, v[20:23]
.LBB188_51:
	s_andn2_saveexec_b64 s[14:15], s[14:15]
	s_cbranch_execz .LBB188_53
; %bb.52:
	s_lshl_b64 s[38:39], s[22:23], 7
	v_lshl_add_u64 v[20:21], v[8:9], 0, s[38:39]
	flat_load_dwordx4 v[20:23], v[20:21]
	v_add_u32_e32 v19, 0x1080, v7
	s_waitcnt vmcnt(0) lgkmcnt(0)
	ds_write2_b64 v19, v[20:21], v[22:23] offset1:1
.LBB188_53:
	s_or_b64 exec, exec, s[14:15]
	v_add_u32_e32 v19, 16, v14
	v_cmp_le_i32_e64 s[14:15], s36, v19
	s_and_saveexec_b64 s[38:39], s[14:15]
	s_xor_b64 s[14:15], exec, s[38:39]
	s_cbranch_execz .LBB188_55
; %bb.54:
	v_mov_b32_e32 v20, 0
	v_mov_b32_e32 v21, v20
	;; [unrolled: 1-line block ×4, first 2 shown]
	ds_write_b128 v7, v[20:23] offset:8448
.LBB188_55:
	s_andn2_saveexec_b64 s[14:15], s[14:15]
	s_cbranch_execz .LBB188_57
; %bb.56:
	s_lshl_b64 s[38:39], s[22:23], 8
	v_lshl_add_u64 v[20:21], v[8:9], 0, s[38:39]
	flat_load_dwordx4 v[20:23], v[20:21]
	v_add_u32_e32 v19, 0x2100, v7
	s_waitcnt vmcnt(0) lgkmcnt(0)
	ds_write2_b64 v19, v[20:21], v[22:23] offset1:1
.LBB188_57:
	s_or_b64 exec, exec, s[14:15]
	v_add_u32_e32 v19, 24, v14
	v_cmp_le_i32_e64 s[14:15], s36, v19
	s_and_saveexec_b64 s[36:37], s[14:15]
	s_xor_b64 s[14:15], exec, s[36:37]
	s_cbranch_execz .LBB188_59
; %bb.58:
	v_mov_b32_e32 v20, 0
	v_mov_b32_e32 v21, v20
	;; [unrolled: 1-line block ×4, first 2 shown]
	ds_write_b128 v7, v[20:23] offset:12672
                                        ; implicit-def: $vgpr7
.LBB188_59:
	s_andn2_saveexec_b64 s[14:15], s[14:15]
	s_cbranch_execz .LBB188_61
; %bb.60:
	v_mov_b32_e32 v19, 0x180
	v_mad_u64_u32 v[20:21], s[36:37], s22, v19, v[8:9]
	v_add_u32_e32 v21, s35, v21
	flat_load_dwordx4 v[20:23], v[20:21]
	v_add_u32_e32 v7, 0x3180, v7
	s_waitcnt vmcnt(0) lgkmcnt(0)
	ds_write2_b64 v7, v[20:21], v[22:23] offset1:1
.LBB188_61:
	s_or_b64 exec, exec, s[14:15]
	v_mov_b32_e32 v7, 0
	v_lshl_add_u64 v[8:9], v[8:9], 0, v[6:7]
	s_lshl_b64 s[14:15], s[18:19], 4
	v_mov_b32_e32 v7, s15
	v_subrev_co_u32_e64 v8, s[14:15], s14, v8
	s_nop 1
	v_subb_co_u32_e64 v9, s[14:15], v9, v7, s[14:15]
	s_mov_b64 s[14:15], 0x210
	s_nop 0
	v_lshl_add_u64 v[8:9], v[8:9], 0, s[14:15]
	v_cndmask_b32_e32 v9, v9, v11, vcc
	v_cndmask_b32_e32 v8, v8, v10, vcc
	s_branch .LBB188_64
.LBB188_62:
                                        ; implicit-def: $vgpr8_vgpr9
	s_cbranch_execz .LBB188_64
; %bb.63:
	flat_load_dwordx4 v[20:23], v[10:11]
	v_add_lshl_u32 v7, v5, v4, 4
	s_lshl_b64 s[14:15], s[22:23], 7
	v_lshl_add_u64 v[8:9], v[12:13], 0, s[14:15]
	v_add_u32_e32 v19, 0x1080, v7
	s_waitcnt vmcnt(0) lgkmcnt(0)
	ds_write2_b64 v7, v[20:21], v[22:23] offset1:1
	flat_load_dwordx4 v[20:23], v[8:9] offset:512
	v_lshl_add_u64 v[8:9], v[8:9], 0, s[14:15]
	s_waitcnt vmcnt(0) lgkmcnt(0)
	ds_write2_b64 v19, v[20:21], v[22:23] offset1:1
	flat_load_dwordx4 v[20:23], v[8:9] offset:512
	v_mov_b32_e32 v8, 0x180
	v_add_u32_e32 v19, 0x2100, v7
	v_mad_u64_u32 v[8:9], s[14:15], s22, v8, v[12:13]
	v_add_u32_e32 v9, s35, v9
	v_add_u32_e32 v7, 0x3180, v7
	s_waitcnt vmcnt(0) lgkmcnt(0)
	ds_write2_b64 v19, v[20:21], v[22:23] offset1:1
	flat_load_dwordx4 v[20:23], v[8:9] offset:512
	v_mov_b64_e32 v[8:9], v[10:11]
	s_waitcnt vmcnt(0) lgkmcnt(0)
	ds_write2_b64 v7, v[20:21], v[22:23] offset1:1
.LBB188_64:
	s_waitcnt lgkmcnt(0)
	s_barrier
	s_and_saveexec_b64 s[14:15], s[4:5]
	s_cbranch_execnz .LBB188_89
; %bb.65:
	s_or_b64 exec, exec, s[14:15]
	s_and_saveexec_b64 s[4:5], s[6:7]
	s_cbranch_execnz .LBB188_90
.LBB188_66:
	s_or_b64 exec, exec, s[4:5]
	s_and_saveexec_b64 s[4:5], s[8:9]
	s_cbranch_execnz .LBB188_91
.LBB188_67:
	s_or_b64 exec, exec, s[4:5]
	v_add_u32_e32 v12, 0x4700, v18
	s_and_saveexec_b64 s[4:5], s[10:11]
	s_cbranch_execz .LBB188_69
.LBB188_68:
	ds_read_b128 v[18:21], v16
	s_waitcnt lgkmcnt(0)
	ds_write_b128 v17, v[18:21] offset:48
.LBB188_69:
	s_or_b64 exec, exec, s[4:5]
	s_waitcnt lgkmcnt(0)
	s_barrier
	ds_read_b128 v[18:21], v12 offset:512
	ds_read_b128 v[26:29], v24
	ds_read_b128 v[30:33], v12 offset:528
	ds_read_b128 v[46:49], v12 offset:544
	;; [unrolled: 1-line block ×3, first 2 shown]
	ds_read_b128 v[54:57], v25
	v_cmp_eq_u32_e64 s[4:5], 1, v14
	s_waitcnt lgkmcnt(4)
	v_mul_f64 v[10:11], v[20:21], v[28:29]
	v_fma_f64 v[10:11], v[18:19], v[26:27], -v[10:11]
	v_mul_f64 v[18:19], v[18:19], v[28:29]
	v_fmac_f64_e32 v[18:19], v[20:21], v[26:27]
	v_add_f64 v[22:23], v[18:19], 0
	s_waitcnt lgkmcnt(0)
	v_mul_f64 v[18:19], v[32:33], v[56:57]
	v_fma_f64 v[26:27], v[30:31], v[54:55], -v[18:19]
	v_mul_f64 v[28:29], v[30:31], v[56:57]
	ds_read_b128 v[18:21], v25 offset:528
	v_add_f64 v[10:11], v[10:11], 0
	v_fmac_f64_e32 v[28:29], v[32:33], v[54:55]
	v_add_f64 v[10:11], v[10:11], v[26:27]
	v_add_f64 v[22:23], v[22:23], v[28:29]
	ds_read_b128 v[26:29], v16
	s_waitcnt lgkmcnt(1)
	v_mul_f64 v[30:31], v[48:49], v[20:21]
	v_mul_f64 v[20:21], v[46:47], v[20:21]
	v_fmac_f64_e32 v[20:21], v[48:49], v[18:19]
	v_fma_f64 v[30:31], v[46:47], v[18:19], -v[30:31]
	v_add_f64 v[20:21], v[22:23], v[20:21]
	s_waitcnt lgkmcnt(0)
	v_mul_f64 v[18:19], v[52:53], v[28:29]
	v_mul_f64 v[22:23], v[50:51], v[28:29]
	v_add_f64 v[10:11], v[10:11], v[30:31]
	v_fma_f64 v[18:19], v[50:51], v[26:27], -v[18:19]
	v_fmac_f64_e32 v[22:23], v[52:53], v[26:27]
	v_add_f64 v[18:19], v[10:11], v[18:19]
	v_add_f64 v[20:21], v[20:21], v[22:23]
	s_barrier
	ds_write_b128 v44, v[18:21]
	s_waitcnt lgkmcnt(0)
	s_barrier
	s_and_saveexec_b64 s[6:7], s[4:5]
	s_cbranch_execz .LBB188_71
; %bb.70:
	ds_read_b128 v[0:3], v43
	ds_read_b128 v[18:21], v43 offset:16
	ds_read_b128 v[26:29], v43 offset:32
	;; [unrolled: 1-line block ×3, first 2 shown]
	s_waitcnt lgkmcnt(2)
	v_add_f64 v[0:1], v[18:19], v[0:1]
	v_add_f64 v[10:11], v[20:21], v[2:3]
	s_waitcnt lgkmcnt(1)
	v_add_f64 v[18:19], v[0:1], v[26:27]
	ds_read_b128 v[0:3], v43 offset:64
	v_add_f64 v[10:11], v[10:11], v[28:29]
	s_waitcnt lgkmcnt(1)
	v_add_f64 v[22:23], v[18:19], v[30:31]
	ds_read_b128 v[18:21], v43 offset:80
	v_add_f64 v[10:11], v[10:11], v[32:33]
	ds_read_b128 v[26:29], v43 offset:96
	s_waitcnt lgkmcnt(2)
	v_add_f64 v[22:23], v[22:23], v[0:1]
	v_add_f64 v[10:11], v[10:11], v[2:3]
	ds_read_b128 v[0:3], v43 offset:112
	s_waitcnt lgkmcnt(2)
	v_add_f64 v[18:19], v[22:23], v[18:19]
	v_add_f64 v[10:11], v[10:11], v[20:21]
	s_waitcnt lgkmcnt(1)
	v_add_f64 v[18:19], v[18:19], v[26:27]
	v_add_f64 v[10:11], v[10:11], v[28:29]
	;; [unrolled: 3-line block ×3, first 2 shown]
.LBB188_71:
	s_or_b64 exec, exec, s[6:7]
	s_movk_i32 s6, 0xfe00
	s_mov_b32 s7, -1
	v_lshl_add_u64 v[8:9], v[8:9], 0, s[6:7]
	s_and_b64 vcc, exec, s[30:31]
	s_barrier
	s_cbranch_vccz .LBB188_92
; %bb.72:
	v_sub_co_u32_e32 v10, vcc, v8, v6
	s_ashr_i32 s19, s18, 31
	s_nop 0
	v_subbrev_co_u32_e32 v11, vcc, 0, v9, vcc
	v_lshl_add_u64 v[10:11], s[18:19], 4, v[10:11]
	v_lshl_add_u64 v[10:11], v[10:11], 0, -16
	v_cmp_gt_i32_e32 vcc, s18, v4
	s_sub_i32 s8, s18, 32
	v_cmp_le_i32_e64 s[6:7], s8, v14
	v_cndmask_b32_e32 v11, v11, v9, vcc
	v_cndmask_b32_e32 v10, v10, v8, vcc
	v_add_lshl_u32 v7, v5, v4, 4
	s_and_saveexec_b64 s[10:11], s[6:7]
	s_xor_b64 s[6:7], exec, s[10:11]
	s_cbranch_execz .LBB188_74
; %bb.73:
	v_mov_b32_e32 v18, 0
	v_mov_b32_e32 v19, v18
	v_mov_b32_e32 v20, v18
	v_mov_b32_e32 v21, v18
	ds_write_b128 v7, v[18:21]
.LBB188_74:
	s_andn2_saveexec_b64 s[6:7], s[6:7]
	s_cbranch_execz .LBB188_76
; %bb.75:
	flat_load_dwordx4 v[18:21], v[10:11]
	s_waitcnt vmcnt(0) lgkmcnt(0)
	ds_write2_b64 v7, v[18:19], v[20:21] offset1:1
.LBB188_76:
	s_or_b64 exec, exec, s[6:7]
	v_add_u32_e32 v13, 8, v14
	v_cmp_le_i32_e64 s[6:7], s8, v13
	s_and_saveexec_b64 s[10:11], s[6:7]
	s_xor_b64 s[6:7], exec, s[10:11]
	s_cbranch_execz .LBB188_78
; %bb.77:
	v_mul_u32_u24_e32 v17, 33, v13
	v_mov_b32_e32 v18, 0
	v_add_lshl_u32 v17, v17, v4, 4
	v_mov_b32_e32 v19, v18
	v_mov_b32_e32 v20, v18
	;; [unrolled: 1-line block ×3, first 2 shown]
	ds_write_b128 v17, v[18:21]
.LBB188_78:
	s_andn2_saveexec_b64 s[6:7], s[6:7]
	s_cbranch_execz .LBB188_80
; %bb.79:
	s_lshl_b64 s[10:11], s[22:23], 7
	v_lshl_add_u64 v[18:19], v[10:11], 0, s[10:11]
	flat_load_dwordx4 v[18:21], v[18:19]
	v_add_u32_e32 v17, 0x1080, v7
	s_waitcnt vmcnt(0) lgkmcnt(0)
	ds_write2_b64 v17, v[18:19], v[20:21] offset1:1
.LBB188_80:
	s_or_b64 exec, exec, s[6:7]
	v_add_u32_e32 v17, 16, v14
	v_cmp_le_i32_e64 s[6:7], s8, v17
	s_and_saveexec_b64 s[10:11], s[6:7]
	s_xor_b64 s[6:7], exec, s[10:11]
	s_cbranch_execz .LBB188_82
; %bb.81:
	v_mov_b32_e32 v18, 0
	v_mov_b32_e32 v19, v18
	;; [unrolled: 1-line block ×4, first 2 shown]
	ds_write_b128 v7, v[18:21] offset:8448
.LBB188_82:
	s_andn2_saveexec_b64 s[6:7], s[6:7]
	s_cbranch_execz .LBB188_84
; %bb.83:
	s_lshl_b64 s[10:11], s[22:23], 8
	v_lshl_add_u64 v[18:19], v[10:11], 0, s[10:11]
	flat_load_dwordx4 v[18:21], v[18:19]
	v_add_u32_e32 v22, 0x2100, v7
	s_waitcnt vmcnt(0) lgkmcnt(0)
	ds_write2_b64 v22, v[18:19], v[20:21] offset1:1
.LBB188_84:
	s_or_b64 exec, exec, s[6:7]
	v_add_u32_e32 v18, 24, v14
	v_cmp_le_i32_e64 s[6:7], s8, v18
	s_and_saveexec_b64 s[8:9], s[6:7]
	s_xor_b64 s[6:7], exec, s[8:9]
	s_cbranch_execz .LBB188_86
; %bb.85:
	v_mov_b32_e32 v20, 0
	v_mov_b32_e32 v21, v20
	;; [unrolled: 1-line block ×4, first 2 shown]
	ds_write_b128 v7, v[20:23] offset:12672
                                        ; implicit-def: $vgpr7
.LBB188_86:
	s_andn2_saveexec_b64 s[6:7], s[6:7]
	s_cbranch_execz .LBB188_88
; %bb.87:
	v_mov_b32_e32 v19, 0x180
	v_mad_u64_u32 v[20:21], s[8:9], s22, v19, v[10:11]
	v_add_u32_e32 v21, s35, v21
	flat_load_dwordx4 v[20:23], v[20:21]
	v_add_u32_e32 v7, 0x3180, v7
	s_waitcnt vmcnt(0) lgkmcnt(0)
	ds_write2_b64 v7, v[20:21], v[22:23] offset1:1
.LBB188_88:
	s_or_b64 exec, exec, s[6:7]
	v_mov_b32_e32 v7, 0
	v_lshl_add_u64 v[6:7], v[10:11], 0, v[6:7]
	s_lshl_b64 s[6:7], s[18:19], 4
	v_mov_b32_e32 v10, s7
	v_subrev_co_u32_e64 v6, s[6:7], s6, v6
	s_nop 1
	v_subb_co_u32_e64 v7, s[6:7], v7, v10, s[6:7]
	v_lshl_add_u64 v[6:7], v[6:7], 0, 16
	v_cndmask_b32_e32 v41, v7, v9, vcc
	v_cndmask_b32_e32 v40, v6, v8, vcc
	s_branch .LBB188_94
.LBB188_89:
	ds_read_b128 v[10:13], v24
	s_waitcnt lgkmcnt(0)
	ds_write_b128 v17, v[10:13]
	s_or_b64 exec, exec, s[14:15]
	s_and_saveexec_b64 s[4:5], s[6:7]
	s_cbranch_execz .LBB188_66
.LBB188_90:
	ds_read_b128 v[10:13], v25
	s_waitcnt lgkmcnt(0)
	ds_write_b128 v17, v[10:13] offset:16
	s_or_b64 exec, exec, s[4:5]
	s_and_saveexec_b64 s[4:5], s[8:9]
	s_cbranch_execz .LBB188_67
.LBB188_91:
	v_add_u32_e32 v7, 0x210, v25
	ds_read_b128 v[10:13], v7
	s_waitcnt lgkmcnt(0)
	ds_write_b128 v17, v[10:13] offset:32
	s_or_b64 exec, exec, s[4:5]
	v_add_u32_e32 v12, 0x4700, v18
	s_and_saveexec_b64 s[4:5], s[10:11]
	s_cbranch_execnz .LBB188_68
	s_branch .LBB188_69
.LBB188_92:
                                        ; implicit-def: $vgpr40_vgpr41
                                        ; implicit-def: $vgpr13
                                        ; implicit-def: $vgpr17
                                        ; implicit-def: $vgpr18
	s_cbranch_execz .LBB188_94
; %bb.93:
	flat_load_dwordx4 v[18:21], v[8:9]
	v_add_lshl_u32 v22, v5, v4, 4
	s_lshl_b64 s[6:7], s[22:23], 7
	v_lshl_add_u64 v[10:11], v[8:9], 0, s[6:7]
	v_add_u32_e32 v13, 0x1080, v22
	v_add_u32_e32 v17, 16, v14
	v_mov_b64_e32 v[40:41], v[8:9]
	s_waitcnt vmcnt(0) lgkmcnt(0)
	ds_write2_b64 v22, v[18:19], v[20:21] offset1:1
	flat_load_dwordx4 v[4:7], v[10:11]
	v_lshl_add_u64 v[10:11], v[10:11], 0, s[6:7]
	v_add_u32_e32 v18, 24, v14
	s_waitcnt vmcnt(0) lgkmcnt(0)
	ds_write2_b64 v13, v[4:5], v[6:7] offset1:1
	flat_load_dwordx4 v[4:7], v[10:11]
	v_mov_b32_e32 v10, 0x180
	v_add_u32_e32 v13, 0x2100, v22
	v_mad_u64_u32 v[10:11], s[6:7], s22, v10, v[8:9]
	v_add_u32_e32 v11, s35, v11
	s_waitcnt vmcnt(0) lgkmcnt(0)
	ds_write2_b64 v13, v[4:5], v[6:7] offset1:1
	flat_load_dwordx4 v[4:7], v[10:11]
	v_add_u32_e32 v13, 8, v14
	v_add_u32_e32 v10, 0x3180, v22
	s_waitcnt vmcnt(0) lgkmcnt(0)
	ds_write2_b64 v10, v[4:5], v[6:7] offset1:1
.LBB188_94:
	v_lshlrev_b32_e32 v4, 4, v14
	s_waitcnt lgkmcnt(0)
	s_barrier
	ds_read_b128 v[46:49], v44
	ds_read_b128 v[50:53], v4 offset:18176
	v_add_lshl_u32 v4, v13, v15, 4
	v_lshlrev_b32_e32 v10, 4, v13
	ds_read_b128 v[54:57], v4
	ds_read_b128 v[4:7], v25 offset:528
	ds_read_b128 v[58:61], v10 offset:18176
	s_waitcnt lgkmcnt(3)
	v_mul_f64 v[8:9], v[48:49], v[52:53]
	v_add_lshl_u32 v10, v17, v15, 4
	v_lshlrev_b32_e32 v13, 4, v17
	v_fma_f64 v[8:9], v[46:47], v[50:51], -v[8:9]
	ds_read_b128 v[62:65], v10
	ds_read_b128 v[66:69], v13 offset:18176
	s_waitcnt lgkmcnt(2)
	v_mul_f64 v[10:11], v[56:57], v[60:61]
	v_add_f64 v[8:9], v[8:9], 0
	v_fma_f64 v[10:11], v[54:55], v[58:59], -v[10:11]
	v_add_f64 v[8:9], v[8:9], v[10:11]
	v_add_lshl_u32 v10, v18, v15, 4
	v_lshlrev_b32_e32 v13, 4, v18
	v_mul_f64 v[74:75], v[46:47], v[52:53]
	v_mul_f64 v[60:61], v[54:55], v[60:61]
	ds_read_b128 v[52:55], v10
	ds_read_b128 v[70:73], v13 offset:18176
	s_waitcnt lgkmcnt(2)
	v_mul_f64 v[10:11], v[64:65], v[68:69]
	v_fma_f64 v[10:11], v[62:63], v[66:67], -v[10:11]
	v_add_f64 v[14:15], v[8:9], v[10:11]
	ds_read_b128 v[8:11], v16
	s_waitcnt lgkmcnt(1)
	v_mul_f64 v[16:17], v[54:55], v[72:73]
	v_fma_f64 v[16:17], v[52:53], v[70:71], -v[16:17]
	v_add_f64 v[46:47], v[14:15], v[16:17]
	ds_read_b128 v[20:23], v12 offset:528
	ds_read_b128 v[16:19], v12 offset:544
	;; [unrolled: 1-line block ×3, first 2 shown]
	ds_read_b128 v[32:35], v24
	ds_read_b128 v[12:15], v12 offset:560
	ds_read_b128 v[24:27], v25
	v_fmac_f64_e32 v[74:75], v[48:49], v[50:51]
	v_mul_f64 v[62:63], v[62:63], v[68:69]
	v_add_f64 v[48:49], v[74:75], 0
	v_fmac_f64_e32 v[60:61], v[56:57], v[58:59]
	v_mul_f64 v[52:53], v[52:53], v[72:73]
	v_add_f64 v[48:49], v[48:49], v[60:61]
	v_fmac_f64_e32 v[62:63], v[64:65], v[66:67]
	v_add_f64 v[48:49], v[48:49], v[62:63]
	v_fmac_f64_e32 v[52:53], v[54:55], v[70:71]
	v_add_f64 v[48:49], v[48:49], v[52:53]
	s_waitcnt lgkmcnt(0)
	s_barrier
	ds_write_b128 v44, v[46:49]
	s_waitcnt lgkmcnt(0)
	s_barrier
	s_and_saveexec_b64 s[6:7], s[4:5]
	s_cbranch_execz .LBB188_96
; %bb.95:
	ds_read_b128 v[46:49], v43
	ds_read_b128 v[50:53], v43 offset:16
	ds_read_b128 v[54:57], v43 offset:32
	;; [unrolled: 1-line block ×3, first 2 shown]
	s_waitcnt lgkmcnt(3)
	v_add_f64 v[0:1], v[0:1], v[46:47]
	v_add_f64 v[2:3], v[2:3], v[48:49]
	s_waitcnt lgkmcnt(2)
	v_add_f64 v[0:1], v[0:1], v[50:51]
	v_add_f64 v[46:47], v[2:3], v[52:53]
	s_waitcnt lgkmcnt(1)
	v_add_f64 v[48:49], v[0:1], v[54:55]
	ds_read_b128 v[0:3], v43 offset:64
	v_add_f64 v[46:47], v[46:47], v[56:57]
	s_waitcnt lgkmcnt(1)
	v_add_f64 v[50:51], v[48:49], v[58:59]
	v_add_f64 v[54:55], v[46:47], v[60:61]
	ds_read_b128 v[46:49], v43 offset:80
	s_waitcnt lgkmcnt(1)
	v_add_f64 v[56:57], v[50:51], v[0:1]
	ds_read_b128 v[50:53], v43 offset:96
	v_add_f64 v[54:55], v[54:55], v[2:3]
	ds_read_b128 v[0:3], v43 offset:112
	s_waitcnt lgkmcnt(2)
	v_add_f64 v[46:47], v[56:57], v[46:47]
	v_add_f64 v[48:49], v[54:55], v[48:49]
	s_waitcnt lgkmcnt(1)
	v_add_f64 v[46:47], v[46:47], v[50:51]
	v_add_f64 v[48:49], v[48:49], v[52:53]
	;; [unrolled: 3-line block ×3, first 2 shown]
.LBB188_96:
	s_or_b64 exec, exec, s[6:7]
	v_mul_f64 v[46:47], v[30:31], v[34:35]
	v_fma_f64 v[46:47], v[28:29], v[32:33], -v[46:47]
	v_mul_f64 v[28:29], v[28:29], v[34:35]
	v_fmac_f64_e32 v[28:29], v[30:31], v[32:33]
	v_mul_f64 v[32:33], v[22:23], v[26:27]
	v_fma_f64 v[32:33], v[20:21], v[24:25], -v[32:33]
	v_mul_f64 v[20:21], v[20:21], v[26:27]
	v_add_f64 v[30:31], v[46:47], 0
	v_add_f64 v[28:29], v[28:29], 0
	v_fmac_f64_e32 v[20:21], v[22:23], v[24:25]
	v_mul_f64 v[24:25], v[18:19], v[6:7]
	v_mul_f64 v[6:7], v[16:17], v[6:7]
	v_add_f64 v[22:23], v[30:31], v[32:33]
	v_add_f64 v[20:21], v[28:29], v[20:21]
	v_fma_f64 v[24:25], v[16:17], v[4:5], -v[24:25]
	v_fmac_f64_e32 v[6:7], v[18:19], v[4:5]
	v_mul_f64 v[16:17], v[14:15], v[10:11]
	v_mul_f64 v[10:11], v[12:13], v[10:11]
	v_add_f64 v[4:5], v[22:23], v[24:25]
	v_add_f64 v[6:7], v[20:21], v[6:7]
	v_fma_f64 v[16:17], v[12:13], v[8:9], -v[16:17]
	v_fmac_f64_e32 v[10:11], v[14:15], v[8:9]
	v_add_f64 v[4:5], v[4:5], v[16:17]
	v_add_f64 v[6:7], v[6:7], v[10:11]
	s_barrier
	ds_write_b128 v44, v[4:7]
	s_waitcnt lgkmcnt(0)
	s_barrier
	s_and_saveexec_b64 s[4:5], s[12:13]
	s_cbranch_execz .LBB188_98
; %bb.97:
	ds_read_b128 v[4:7], v43
	ds_read_b128 v[8:11], v43 offset:16
	ds_read_b128 v[12:15], v43 offset:32
	;; [unrolled: 1-line block ×3, first 2 shown]
	s_waitcnt lgkmcnt(3)
	v_add_f64 v[0:1], v[0:1], v[4:5]
	v_add_f64 v[2:3], v[2:3], v[6:7]
	s_waitcnt lgkmcnt(2)
	v_add_f64 v[0:1], v[0:1], v[8:9]
	v_add_f64 v[4:5], v[2:3], v[10:11]
	s_waitcnt lgkmcnt(1)
	v_add_f64 v[6:7], v[0:1], v[12:13]
	ds_read_b128 v[0:3], v43 offset:64
	v_add_f64 v[4:5], v[4:5], v[14:15]
	s_waitcnt lgkmcnt(1)
	v_add_f64 v[8:9], v[6:7], v[16:17]
	v_add_f64 v[12:13], v[4:5], v[18:19]
	ds_read_b128 v[4:7], v43 offset:80
	s_waitcnt lgkmcnt(1)
	v_add_f64 v[14:15], v[8:9], v[0:1]
	ds_read_b128 v[8:11], v43 offset:96
	v_add_f64 v[12:13], v[12:13], v[2:3]
	ds_read_b128 v[0:3], v43 offset:112
	s_waitcnt lgkmcnt(2)
	v_add_f64 v[4:5], v[14:15], v[4:5]
	v_add_f64 v[6:7], v[12:13], v[6:7]
	s_waitcnt lgkmcnt(1)
	v_add_f64 v[4:5], v[4:5], v[8:9]
	v_add_f64 v[6:7], v[6:7], v[10:11]
	;; [unrolled: 3-line block ×3, first 2 shown]
.LBB188_98:
	s_or_b64 exec, exec, s[4:5]
	s_mul_hi_u32 s4, s25, s24
	s_mul_i32 s34, s34, s24
	s_add_i32 s4, s4, s34
	s_mul_i32 s6, s25, s24
	s_mul_i32 s4, s4, s3
	s_mul_hi_u32 s5, s6, s3
	s_add_i32 s5, s5, s4
	s_mul_i32 s4, s6, s3
	s_lshl_b64 s[4:5], s[4:5], 4
	s_add_u32 s6, s26, s4
	s_addc_u32 s7, s27, s5
	s_mul_hi_i32 s5, s25, s2
	s_mul_i32 s4, s25, s2
	s_lshl_b64 s[4:5], s[4:5], 4
	s_add_u32 s8, s6, s4
	s_addc_u32 s9, s7, s5
	s_add_i32 s4, s2, 1
	s_cmp_ge_u32 s4, s3
	v_lshlrev_b32_e32 v168, 4, v204
	s_barrier
	s_cbranch_scc1 .LBB188_156
; %bb.99:
	s_mul_i32 s4, s28, s17
	s_mul_hi_u32 s5, s28, s16
	s_add_i32 s4, s5, s4
	s_mul_i32 s5, s29, s16
	s_add_i32 s5, s4, s5
	s_mul_i32 s4, s28, s16
	s_lshl_b64 s[4:5], s[4:5], 4
	v_mov_b32_e32 v4, s5
	v_subrev_co_u32_e32 v170, vcc, s4, v36
	v_and_b32_e32 v6, 48, v204
	s_nop 0
	v_subb_co_u32_e32 v171, vcc, v37, v4, vcc
	v_and_b32_e32 v4, 15, v204
	v_lshlrev_b32_e32 v7, 4, v6
	s_movk_i32 s4, 0x430
	v_lshrrev_b32_e32 v5, 4, v42
	v_mad_u32_u24 v209, v4, s4, v7
	v_or_b32_e32 v7, 0xf0, v168
	v_mad_u32_u24 v210, v4, s4, v7
	v_lshlrev_b32_e32 v7, 6, v5
	v_lshlrev_b32_e32 v12, 6, v205
	v_mad_u32_u24 v211, v4, s4, v7
	s_movk_i32 s4, 0x10c0
	v_mul_i32_i24_e32 v13, 0xffffffd0, v5
	v_add_u32_e32 v5, 0x220, v12
	v_mad_u32_u24 v216, v205, s4, v168
	v_or_b32_e32 v229, v6, v4
	v_mad_u64_u32 v[6:7], s[4:5], s22, v5, 0
	v_mov_b32_e32 v8, v7
	v_mad_u64_u32 v[8:9], s[4:5], s23, v5, v[8:9]
	v_mov_b32_e32 v5, v8
	v_lshlrev_b64 v[8:9], 4, v[38:39]
	v_sub_co_u32_e32 v6, vcc, v6, v8
	v_lshlrev_b32_e32 v206, 2, v205
	s_nop 0
	v_subb_co_u32_e32 v7, vcc, v5, v9, vcc
	v_add_u32_e32 v5, 0x530, v12
	v_lshl_add_u64 v[172:173], v[40:41], 0, v[6:7]
	v_mad_u64_u32 v[6:7], s[4:5], s22, v5, 0
	v_mov_b32_e32 v10, v7
	v_mad_u64_u32 v[10:11], s[4:5], s23, v5, v[10:11]
	v_mov_b32_e32 v5, v10
	v_sub_co_u32_e32 v6, vcc, v6, v8
	v_mov_b32_e32 v4, 0
	s_nop 0
	v_subb_co_u32_e32 v7, vcc, v5, v9, vcc
	v_add_u32_e32 v5, 0x210, v12
	v_lshl_add_u64 v[174:175], v[40:41], 0, v[6:7]
	v_mad_u64_u32 v[6:7], s[4:5], s22, v5, 0
	v_mov_b32_e32 v10, v7
	v_mad_u64_u32 v[10:11], s[4:5], s23, v5, v[10:11]
	v_mov_b32_e32 v5, v10
	v_sub_co_u32_e32 v6, vcc, v6, v8
	s_add_i32 s19, s3, -2
	s_nop 0
	v_subb_co_u32_e32 v7, vcc, v5, v9, vcc
	v_add_u32_e32 v5, 0x500, v12
	v_lshl_add_u64 v[176:177], v[40:41], 0, v[6:7]
	v_mad_u64_u32 v[6:7], s[4:5], s22, v5, 0
	v_mov_b32_e32 v10, v7
	v_mad_u64_u32 v[10:11], s[4:5], s23, v5, v[10:11]
	v_mov_b32_e32 v5, v10
	v_sub_co_u32_e32 v6, vcc, v6, v8
	v_add_u32_e32 v207, 0x4300, v168
	s_nop 0
	v_subb_co_u32_e32 v7, vcc, v5, v9, vcc
	v_add_u32_e32 v5, 0x200, v12
	v_lshl_add_u64 v[178:179], v[40:41], 0, v[6:7]
	v_mad_u64_u32 v[6:7], s[4:5], s22, v5, 0
	v_mov_b32_e32 v10, v7
	v_mad_u64_u32 v[10:11], s[4:5], s23, v5, v[10:11]
	v_mov_b32_e32 v5, v10
	v_sub_co_u32_e32 v6, vcc, v6, v8
	v_add_u32_e32 v208, 0x4700, v168
	s_nop 0
	v_subb_co_u32_e32 v7, vcc, v5, v9, vcc
	v_add_u32_e32 v5, 0x510, v12
	v_lshl_add_u64 v[180:181], v[40:41], 0, v[6:7]
	v_mad_u64_u32 v[6:7], s[4:5], s22, v5, 0
	v_mov_b32_e32 v10, v7
	v_mad_u64_u32 v[10:11], s[4:5], s23, v5, v[10:11]
	v_mov_b32_e32 v5, v10
	v_sub_co_u32_e32 v6, vcc, v6, v8
	v_cmp_gt_u32_e64 s[6:7], 64, v42
	s_nop 0
	v_subb_co_u32_e32 v7, vcc, v5, v9, vcc
	v_add_u32_e32 v5, 0x230, v12
	v_lshl_add_u64 v[182:183], v[40:41], 0, v[6:7]
	v_mad_u64_u32 v[6:7], s[4:5], s22, v5, 0
	v_mov_b32_e32 v10, v7
	v_mad_u64_u32 v[10:11], s[4:5], s23, v5, v[10:11]
	v_mov_b32_e32 v5, v10
	v_sub_co_u32_e32 v6, vcc, v6, v8
	v_or_b32_e32 v212, 1, v206
	s_nop 0
	v_subb_co_u32_e32 v7, vcc, v5, v9, vcc
	v_add_u32_e32 v5, 0x320, v12
	v_lshl_add_u64 v[184:185], v[40:41], 0, v[6:7]
	v_mad_u64_u32 v[6:7], s[4:5], s22, v5, 0
	v_mov_b32_e32 v10, v7
	v_mad_u64_u32 v[10:11], s[4:5], s23, v5, v[10:11]
	v_mov_b32_e32 v5, v10
	v_sub_co_u32_e32 v6, vcc, v6, v8
	v_or_b32_e32 v213, 2, v206
	;; [unrolled: 10-line block ×3, first 2 shown]
	s_nop 0
	v_subb_co_u32_e32 v7, vcc, v5, v9, vcc
	v_add_u32_e32 v5, 0x430, v12
	v_lshl_add_u64 v[188:189], v[40:41], 0, v[6:7]
	v_mad_u64_u32 v[6:7], s[4:5], s22, v5, 0
	v_mov_b32_e32 v10, v7
	v_mad_u64_u32 v[10:11], s[4:5], s23, v5, v[10:11]
	v_mov_b32_e32 v5, v10
	v_sub_co_u32_e32 v6, vcc, v6, v8
	v_add_u32_e32 v215, 0x4300, v12
	s_nop 0
	v_subb_co_u32_e32 v7, vcc, v5, v9, vcc
	v_add_u32_e32 v5, 0x310, v12
	v_lshl_add_u64 v[190:191], v[40:41], 0, v[6:7]
	v_mad_u64_u32 v[6:7], s[4:5], s22, v5, 0
	v_mov_b32_e32 v10, v7
	v_mad_u64_u32 v[10:11], s[4:5], s23, v5, v[10:11]
	v_mov_b32_e32 v5, v10
	v_sub_co_u32_e32 v6, vcc, v6, v8
	v_add_u32_e32 v217, 16, v206
	;; [unrolled: 10-line block ×7, first 2 shown]
	s_nop 0
	v_subb_co_u32_e32 v7, vcc, v5, v9, vcc
	v_add_u32_e32 v223, 34, v206
	v_add_u32_e32 v224, 35, v206
	;; [unrolled: 1-line block ×6, first 2 shown]
	s_add_i32 s26, s28, 64
	v_mov_b32_e32 v169, v4
	s_lshl_b64 s[10:11], s[22:23], 10
	v_lshl_add_u64 v[202:203], v[40:41], 0, v[6:7]
	v_add_u32_e32 v230, v211, v13
	s_cmp_eq_u32 s19, s2
	s_cselect_b32 s27, s33, 0
	s_and_saveexec_b64 s[4:5], s[0:1]
	s_cbranch_execz .LBB188_104
.LBB188_100:
	s_cmp_lg_u32 s27, 0
	s_cselect_b64 s[12:13], -1, 0
	v_cmp_le_i32_e32 vcc, s27, v204
	s_and_b64 s[12:13], s[12:13], vcc
	s_and_saveexec_b64 s[14:15], s[12:13]
	s_xor_b64 s[12:13], exec, s[14:15]
	s_cbranch_execz .LBB188_102
; %bb.101:
	v_mov_b32_e32 v5, v4
	v_mov_b32_e32 v6, v4
	;; [unrolled: 1-line block ×3, first 2 shown]
	ds_write_b128 v207, v[4:7]
.LBB188_102:
	s_andn2_saveexec_b64 s[12:13], s[12:13]
	s_cbranch_execz .LBB188_104
; %bb.103:
	s_ashr_i32 s12, s26, 31
	s_mul_i32 s13, s26, s17
	s_mul_hi_u32 s14, s26, s16
	s_add_i32 s13, s14, s13
	s_mul_i32 s12, s12, s16
	s_add_i32 s13, s13, s12
	s_mul_i32 s12, s26, s16
	v_lshl_add_u64 v[6:7], s[12:13], 4, v[170:171]
	flat_load_dwordx4 v[6:9], v[6:7]
	s_waitcnt vmcnt(0) lgkmcnt(0)
	ds_write2_b64 v207, v[6:7], v[8:9] offset1:1
.LBB188_104:                            ; =>This Inner Loop Header: Depth=1
	s_or_b64 exec, exec, s[4:5]
	s_cmp_eq_u32 s27, 0
	s_cselect_b64 s[12:13], -1, 0
	s_cmp_lg_u32 s27, 0
	s_cselect_b64 s[14:15], -1, 0
	v_lshl_add_u64 v[18:19], v[180:181], 0, v[168:169]
	s_and_b64 vcc, exec, s[14:15]
	s_waitcnt lgkmcnt(0)
	s_barrier
	s_cbranch_vccz .LBB188_112
; %bb.105:                              ;   in Loop: Header=BB188_104 Depth=1
	v_mov_b64_e32 v[10:11], 0
	v_cmp_gt_i32_e32 vcc, s27, v206
	v_mov_b64_e32 v[6:7], v[10:11]
	v_mov_b64_e32 v[8:9], v[10:11]
	s_and_saveexec_b64 s[4:5], vcc
	s_cbranch_execz .LBB188_107
; %bb.106:                              ;   in Loop: Header=BB188_104 Depth=1
	flat_load_dwordx4 v[6:9], v[18:19]
.LBB188_107:                            ;   in Loop: Header=BB188_104 Depth=1
	s_or_b64 exec, exec, s[4:5]
	v_cmp_gt_i32_e32 vcc, s27, v212
	v_mov_b64_e32 v[12:13], v[10:11]
	s_and_saveexec_b64 s[4:5], vcc
	s_cbranch_execz .LBB188_109
; %bb.108:                              ;   in Loop: Header=BB188_104 Depth=1
	v_lshl_add_u64 v[10:11], v[176:177], 0, v[168:169]
	flat_load_dwordx4 v[10:13], v[10:11]
.LBB188_109:                            ;   in Loop: Header=BB188_104 Depth=1
	s_or_b64 exec, exec, s[4:5]
	v_mov_b64_e32 v[14:15], 0
	v_cmp_gt_i32_e32 vcc, s27, v213
	s_mov_b64 s[24:25], 0
	v_mov_b64_e32 v[16:17], v[14:15]
	s_and_saveexec_b64 s[4:5], vcc
	s_cbranch_execz .LBB188_111
; %bb.110:                              ;   in Loop: Header=BB188_104 Depth=1
	v_lshl_add_u64 v[14:15], v[172:173], 0, v[168:169]
	flat_load_dwordx4 v[14:17], v[14:15]
.LBB188_111:                            ;   in Loop: Header=BB188_104 Depth=1
	s_or_b64 exec, exec, s[4:5]
	v_cmp_gt_i32_e64 s[4:5], s27, v214
	s_mov_b64 s[22:23], 0
	s_and_b64 vcc, exec, s[24:25]
	s_cbranch_vccnz .LBB188_113
	s_branch .LBB188_114
.LBB188_112:                            ;   in Loop: Header=BB188_104 Depth=1
	s_mov_b64 s[4:5], 0
                                        ; implicit-def: $sgpr22_sgpr23
                                        ; implicit-def: $vgpr16_vgpr17
                                        ; implicit-def: $vgpr12_vgpr13
                                        ; implicit-def: $vgpr8_vgpr9
	s_cbranch_execz .LBB188_114
.LBB188_113:                            ;   in Loop: Header=BB188_104 Depth=1
	s_waitcnt vmcnt(0) lgkmcnt(0)
	v_lshl_add_u64 v[10:11], v[176:177], 0, v[168:169]
	v_lshl_add_u64 v[14:15], v[172:173], 0, v[168:169]
	flat_load_dwordx4 v[6:9], v[18:19]
	s_or_b64 s[4:5], s[4:5], exec
	flat_load_dwordx4 v[10:13], v[10:11]
                                        ; implicit-def: $sgpr22_sgpr23
	s_nop 0
	flat_load_dwordx4 v[14:17], v[14:15]
.LBB188_114:                            ;   in Loop: Header=BB188_104 Depth=1
	v_mov_b64_e32 v[18:19], s[22:23]
	v_mov_b64_e32 v[20:21], s[22:23]
	s_and_saveexec_b64 s[22:23], s[4:5]
	s_cbranch_execz .LBB188_116
; %bb.115:                              ;   in Loop: Header=BB188_104 Depth=1
	v_lshl_add_u64 v[18:19], v[184:185], 0, v[168:169]
	flat_load_dwordx4 v[18:21], v[18:19]
.LBB188_116:                            ;   in Loop: Header=BB188_104 Depth=1
	s_or_b64 exec, exec, s[22:23]
	ds_read_b128 v[34:37], v208
	ds_read_b128 v[22:25], v215
	v_cndmask_b32_e64 v5, 0, 1, s[14:15]
	v_cmp_ne_u32_e64 s[4:5], 1, v5
	s_andn2_b64 vcc, exec, s[14:15]
	s_waitcnt vmcnt(0) lgkmcnt(0)
	v_mul_f64 v[26:27], v[8:9], v[36:37]
	v_mul_f64 v[28:29], v[6:7], v[36:37]
	;; [unrolled: 1-line block ×3, first 2 shown]
	v_fma_f64 v[26:27], v[6:7], v[34:35], -v[26:27]
	v_fmac_f64_e32 v[28:29], v[8:9], v[34:35]
	v_mul_f64 v[32:33], v[10:11], v[36:37]
	ds_write_b128 v216, v[26:29]
	v_fma_f64 v[30:31], v[10:11], v[34:35], -v[30:31]
	v_fmac_f64_e32 v[32:33], v[12:13], v[34:35]
	v_mul_f64 v[38:39], v[16:17], v[36:37]
	v_mul_f64 v[40:41], v[14:15], v[36:37]
	ds_read_b128 v[26:29], v215 offset:16
	ds_write_b128 v216, v[30:33] offset:1072
	v_fma_f64 v[38:39], v[14:15], v[34:35], -v[38:39]
	v_fmac_f64_e32 v[40:41], v[16:17], v[34:35]
	v_mul_f64 v[42:43], v[20:21], v[36:37]
	v_mul_f64 v[44:45], v[18:19], v[36:37]
	ds_read_b128 v[30:33], v215 offset:32
	ds_write_b128 v216, v[38:41] offset:2144
	v_fma_f64 v[42:43], v[18:19], v[34:35], -v[42:43]
	v_fmac_f64_e32 v[44:45], v[20:21], v[34:35]
	ds_read_b128 v[38:41], v215 offset:48
	ds_write_b128 v216, v[42:45] offset:3216
	s_waitcnt lgkmcnt(0)
	s_barrier
	ds_read_b128 v[98:101], v211
	ds_read_b128 v[94:97], v211 offset:16
	ds_read_b128 v[86:89], v211 offset:32
	;; [unrolled: 1-line block ×3, first 2 shown]
	v_lshl_add_u64 v[50:51], v[196:197], 0, v[168:169]
	s_waitcnt lgkmcnt(0)
	s_barrier
	s_cbranch_vccnz .LBB188_124
; %bb.117:                              ;   in Loop: Header=BB188_104 Depth=1
	v_mov_b64_e32 v[42:43], 0
	v_cmp_gt_i32_e32 vcc, s27, v217
	v_mov_b64_e32 v[34:35], v[42:43]
	v_mov_b64_e32 v[36:37], v[42:43]
	s_and_saveexec_b64 s[14:15], vcc
	s_cbranch_execz .LBB188_119
; %bb.118:                              ;   in Loop: Header=BB188_104 Depth=1
	flat_load_dwordx4 v[34:37], v[50:51]
.LBB188_119:                            ;   in Loop: Header=BB188_104 Depth=1
	s_or_b64 exec, exec, s[14:15]
	v_cmp_gt_i32_e32 vcc, s27, v218
	v_mov_b64_e32 v[44:45], v[42:43]
	s_and_saveexec_b64 s[14:15], vcc
	s_cbranch_execz .LBB188_121
; %bb.120:                              ;   in Loop: Header=BB188_104 Depth=1
	v_lshl_add_u64 v[42:43], v[192:193], 0, v[168:169]
	flat_load_dwordx4 v[42:45], v[42:43]
.LBB188_121:                            ;   in Loop: Header=BB188_104 Depth=1
	s_or_b64 exec, exec, s[14:15]
	v_mov_b64_e32 v[46:47], 0
	v_cmp_gt_i32_e32 vcc, s27, v219
	s_mov_b64 s[24:25], 0
	v_mov_b64_e32 v[48:49], v[46:47]
	s_and_saveexec_b64 s[14:15], vcc
	s_cbranch_execz .LBB188_123
; %bb.122:                              ;   in Loop: Header=BB188_104 Depth=1
	v_lshl_add_u64 v[46:47], v[186:187], 0, v[168:169]
	flat_load_dwordx4 v[46:49], v[46:47]
.LBB188_123:                            ;   in Loop: Header=BB188_104 Depth=1
	s_or_b64 exec, exec, s[14:15]
	v_cmp_gt_i32_e64 s[14:15], s27, v220
	s_mov_b64 s[22:23], 0
	s_and_b64 vcc, exec, s[24:25]
	s_cbranch_vccnz .LBB188_125
	s_branch .LBB188_126
.LBB188_124:                            ;   in Loop: Header=BB188_104 Depth=1
	s_mov_b64 s[14:15], 0
                                        ; implicit-def: $sgpr22_sgpr23
                                        ; implicit-def: $vgpr48_vgpr49
                                        ; implicit-def: $vgpr44_vgpr45
                                        ; implicit-def: $vgpr36_vgpr37
	s_cbranch_execz .LBB188_126
.LBB188_125:                            ;   in Loop: Header=BB188_104 Depth=1
	s_waitcnt vmcnt(0) lgkmcnt(0)
	v_lshl_add_u64 v[42:43], v[192:193], 0, v[168:169]
	v_lshl_add_u64 v[46:47], v[186:187], 0, v[168:169]
	flat_load_dwordx4 v[34:37], v[50:51]
	s_or_b64 s[14:15], s[14:15], exec
	flat_load_dwordx4 v[42:45], v[42:43]
                                        ; implicit-def: $sgpr22_sgpr23
	s_nop 0
	flat_load_dwordx4 v[46:49], v[46:47]
.LBB188_126:                            ;   in Loop: Header=BB188_104 Depth=1
	v_mov_b64_e32 v[50:51], s[22:23]
	v_mov_b64_e32 v[52:53], s[22:23]
	s_and_saveexec_b64 s[22:23], s[14:15]
	s_cbranch_execz .LBB188_128
; %bb.127:                              ;   in Loop: Header=BB188_104 Depth=1
	v_lshl_add_u64 v[50:51], v[200:201], 0, v[168:169]
	flat_load_dwordx4 v[50:53], v[50:51]
.LBB188_128:                            ;   in Loop: Header=BB188_104 Depth=1
	s_or_b64 exec, exec, s[22:23]
	ds_read_b128 v[66:69], v208
	ds_read_b128 v[54:57], v215 offset:256
	s_and_b64 vcc, exec, s[4:5]
	v_lshl_add_u64 v[90:91], v[194:195], 0, v[168:169]
	s_waitcnt vmcnt(0) lgkmcnt(0)
	v_mul_f64 v[58:59], v[36:37], v[68:69]
	v_mul_f64 v[60:61], v[34:35], v[68:69]
	;; [unrolled: 1-line block ×3, first 2 shown]
	v_fma_f64 v[58:59], v[34:35], v[66:67], -v[58:59]
	v_fmac_f64_e32 v[60:61], v[36:37], v[66:67]
	v_mul_f64 v[64:65], v[42:43], v[68:69]
	ds_write_b128 v216, v[58:61]
	v_fma_f64 v[62:63], v[42:43], v[66:67], -v[62:63]
	v_fmac_f64_e32 v[64:65], v[44:45], v[66:67]
	v_mul_f64 v[70:71], v[48:49], v[68:69]
	v_mul_f64 v[72:73], v[46:47], v[68:69]
	ds_read_b128 v[58:61], v215 offset:272
	ds_write_b128 v216, v[62:65] offset:1072
	v_fma_f64 v[70:71], v[46:47], v[66:67], -v[70:71]
	v_fmac_f64_e32 v[72:73], v[48:49], v[66:67]
	ds_read_b128 v[62:65], v215 offset:288
	ds_write_b128 v216, v[70:73] offset:2144
	v_mul_f64 v[70:71], v[52:53], v[68:69]
	v_mul_f64 v[72:73], v[50:51], v[68:69]
	v_fma_f64 v[70:71], v[50:51], v[66:67], -v[70:71]
	v_fmac_f64_e32 v[72:73], v[52:53], v[66:67]
	ds_read_b128 v[74:77], v215 offset:304
	ds_write_b128 v216, v[70:73] offset:3216
	s_waitcnt lgkmcnt(0)
	s_barrier
	ds_read_b128 v[146:149], v211
	ds_read_b128 v[142:145], v211 offset:16
	ds_read_b128 v[138:141], v211 offset:32
	ds_read_b128 v[134:137], v211 offset:48
	s_waitcnt lgkmcnt(0)
	s_barrier
	s_cbranch_vccnz .LBB188_136
; %bb.129:                              ;   in Loop: Header=BB188_104 Depth=1
	v_mov_b64_e32 v[70:71], 0
	v_cmp_gt_i32_e32 vcc, s27, v221
	v_mov_b64_e32 v[66:67], v[70:71]
	v_mov_b64_e32 v[68:69], v[70:71]
	s_and_saveexec_b64 s[14:15], vcc
	s_cbranch_execz .LBB188_131
; %bb.130:                              ;   in Loop: Header=BB188_104 Depth=1
	flat_load_dwordx4 v[66:69], v[90:91]
.LBB188_131:                            ;   in Loop: Header=BB188_104 Depth=1
	s_or_b64 exec, exec, s[14:15]
	v_cmp_gt_i32_e32 vcc, s27, v222
	v_mov_b64_e32 v[72:73], v[70:71]
	s_and_saveexec_b64 s[14:15], vcc
	s_cbranch_execz .LBB188_133
; %bb.132:                              ;   in Loop: Header=BB188_104 Depth=1
	v_lshl_add_u64 v[70:71], v[198:199], 0, v[168:169]
	flat_load_dwordx4 v[70:73], v[70:71]
.LBB188_133:                            ;   in Loop: Header=BB188_104 Depth=1
	s_or_b64 exec, exec, s[14:15]
	v_mov_b64_e32 v[78:79], 0
	v_cmp_gt_i32_e32 vcc, s27, v223
	s_mov_b64 s[24:25], 0
	v_mov_b64_e32 v[80:81], v[78:79]
	s_and_saveexec_b64 s[14:15], vcc
	s_cbranch_execz .LBB188_135
; %bb.134:                              ;   in Loop: Header=BB188_104 Depth=1
	v_lshl_add_u64 v[78:79], v[202:203], 0, v[168:169]
	flat_load_dwordx4 v[78:81], v[78:79]
.LBB188_135:                            ;   in Loop: Header=BB188_104 Depth=1
	s_or_b64 exec, exec, s[14:15]
	v_cmp_gt_i32_e64 s[14:15], s27, v224
	s_mov_b64 s[22:23], 0
	s_and_b64 vcc, exec, s[24:25]
	s_cbranch_vccnz .LBB188_137
	s_branch .LBB188_138
.LBB188_136:                            ;   in Loop: Header=BB188_104 Depth=1
	s_mov_b64 s[14:15], 0
                                        ; implicit-def: $sgpr22_sgpr23
                                        ; implicit-def: $vgpr80_vgpr81
                                        ; implicit-def: $vgpr72_vgpr73
                                        ; implicit-def: $vgpr68_vgpr69
	s_cbranch_execz .LBB188_138
.LBB188_137:                            ;   in Loop: Header=BB188_104 Depth=1
	s_waitcnt vmcnt(0) lgkmcnt(0)
	v_lshl_add_u64 v[70:71], v[198:199], 0, v[168:169]
	v_lshl_add_u64 v[78:79], v[202:203], 0, v[168:169]
	flat_load_dwordx4 v[66:69], v[90:91]
	s_or_b64 s[14:15], s[14:15], exec
	flat_load_dwordx4 v[70:73], v[70:71]
                                        ; implicit-def: $sgpr22_sgpr23
	s_nop 0
	flat_load_dwordx4 v[78:81], v[78:79]
.LBB188_138:                            ;   in Loop: Header=BB188_104 Depth=1
	v_mov_b64_e32 v[90:91], s[22:23]
	v_mov_b64_e32 v[92:93], s[22:23]
	s_and_saveexec_b64 s[22:23], s[14:15]
	s_cbranch_execz .LBB188_140
; %bb.139:                              ;   in Loop: Header=BB188_104 Depth=1
	v_lshl_add_u64 v[90:91], v[190:191], 0, v[168:169]
	flat_load_dwordx4 v[90:93], v[90:91]
.LBB188_140:                            ;   in Loop: Header=BB188_104 Depth=1
	s_or_b64 exec, exec, s[22:23]
	ds_read_b128 v[114:117], v208
	ds_read_b128 v[102:105], v215 offset:512
	s_and_b64 vcc, exec, s[4:5]
	v_lshl_add_u64 v[130:131], v[178:179], 0, v[168:169]
	s_waitcnt vmcnt(0) lgkmcnt(0)
	v_mul_f64 v[106:107], v[68:69], v[116:117]
	v_mul_f64 v[108:109], v[66:67], v[116:117]
	;; [unrolled: 1-line block ×3, first 2 shown]
	v_fma_f64 v[106:107], v[66:67], v[114:115], -v[106:107]
	v_fmac_f64_e32 v[108:109], v[68:69], v[114:115]
	v_mul_f64 v[112:113], v[70:71], v[116:117]
	ds_write_b128 v216, v[106:109]
	v_fma_f64 v[110:111], v[70:71], v[114:115], -v[110:111]
	v_fmac_f64_e32 v[112:113], v[72:73], v[114:115]
	v_mul_f64 v[118:119], v[80:81], v[116:117]
	v_mul_f64 v[120:121], v[78:79], v[116:117]
	ds_read_b128 v[106:109], v215 offset:528
	ds_write_b128 v216, v[110:113] offset:1072
	v_fma_f64 v[118:119], v[78:79], v[114:115], -v[118:119]
	v_fmac_f64_e32 v[120:121], v[80:81], v[114:115]
	v_mul_f64 v[122:123], v[92:93], v[116:117]
	v_mul_f64 v[124:125], v[90:91], v[116:117]
	ds_read_b128 v[110:113], v215 offset:544
	ds_write_b128 v216, v[118:121] offset:2144
	v_fma_f64 v[122:123], v[90:91], v[114:115], -v[122:123]
	v_fmac_f64_e32 v[124:125], v[92:93], v[114:115]
	ds_read_b128 v[118:121], v215 offset:560
	ds_write_b128 v216, v[122:125] offset:3216
	s_waitcnt lgkmcnt(0)
	s_barrier
	ds_read_b128 v[162:165], v211
	ds_read_b128 v[158:161], v211 offset:16
	ds_read_b128 v[154:157], v211 offset:32
	;; [unrolled: 1-line block ×3, first 2 shown]
	s_waitcnt lgkmcnt(0)
	s_barrier
	s_cbranch_vccnz .LBB188_148
; %bb.141:                              ;   in Loop: Header=BB188_104 Depth=1
	v_mov_b64_e32 v[122:123], 0
	v_cmp_gt_i32_e32 vcc, s27, v225
	v_mov_b64_e32 v[114:115], v[122:123]
	v_mov_b64_e32 v[116:117], v[122:123]
	s_and_saveexec_b64 s[4:5], vcc
	s_cbranch_execz .LBB188_143
; %bb.142:                              ;   in Loop: Header=BB188_104 Depth=1
	flat_load_dwordx4 v[114:117], v[130:131]
.LBB188_143:                            ;   in Loop: Header=BB188_104 Depth=1
	s_or_b64 exec, exec, s[4:5]
	v_cmp_gt_i32_e32 vcc, s27, v226
	v_mov_b64_e32 v[124:125], v[122:123]
	s_and_saveexec_b64 s[4:5], vcc
	s_cbranch_execz .LBB188_145
; %bb.144:                              ;   in Loop: Header=BB188_104 Depth=1
	v_lshl_add_u64 v[122:123], v[182:183], 0, v[168:169]
	flat_load_dwordx4 v[122:125], v[122:123]
.LBB188_145:                            ;   in Loop: Header=BB188_104 Depth=1
	s_or_b64 exec, exec, s[4:5]
	v_mov_b64_e32 v[126:127], 0
	v_cmp_gt_i32_e32 vcc, s27, v227
	s_mov_b64 s[22:23], 0
	v_mov_b64_e32 v[128:129], v[126:127]
	s_and_saveexec_b64 s[4:5], vcc
	s_cbranch_execz .LBB188_147
; %bb.146:                              ;   in Loop: Header=BB188_104 Depth=1
	v_lshl_add_u64 v[126:127], v[188:189], 0, v[168:169]
	flat_load_dwordx4 v[126:129], v[126:127]
.LBB188_147:                            ;   in Loop: Header=BB188_104 Depth=1
	s_or_b64 exec, exec, s[4:5]
	v_cmp_gt_i32_e64 s[4:5], s27, v228
	s_mov_b64 s[14:15], 0
	s_and_b64 vcc, exec, s[22:23]
	s_cbranch_vccnz .LBB188_149
	s_branch .LBB188_150
.LBB188_148:                            ;   in Loop: Header=BB188_104 Depth=1
	s_mov_b64 s[4:5], 0
                                        ; implicit-def: $sgpr14_sgpr15
                                        ; implicit-def: $vgpr128_vgpr129
                                        ; implicit-def: $vgpr124_vgpr125
                                        ; implicit-def: $vgpr116_vgpr117
	s_cbranch_execz .LBB188_150
.LBB188_149:                            ;   in Loop: Header=BB188_104 Depth=1
	s_waitcnt vmcnt(0) lgkmcnt(0)
	v_lshl_add_u64 v[122:123], v[182:183], 0, v[168:169]
	v_lshl_add_u64 v[126:127], v[188:189], 0, v[168:169]
	flat_load_dwordx4 v[114:117], v[130:131]
	s_or_b64 s[4:5], s[4:5], exec
	flat_load_dwordx4 v[122:125], v[122:123]
                                        ; implicit-def: $sgpr14_sgpr15
	s_nop 0
	flat_load_dwordx4 v[126:129], v[126:127]
.LBB188_150:                            ;   in Loop: Header=BB188_104 Depth=1
	v_mov_b64_e32 v[130:131], s[14:15]
	v_mov_b64_e32 v[132:133], s[14:15]
	s_and_saveexec_b64 s[14:15], s[4:5]
	s_cbranch_execz .LBB188_152
; %bb.151:                              ;   in Loop: Header=BB188_104 Depth=1
	v_lshl_add_u64 v[130:131], v[174:175], 0, v[168:169]
	flat_load_dwordx4 v[130:133], v[130:131]
.LBB188_152:                            ;   in Loop: Header=BB188_104 Depth=1
	s_or_b64 exec, exec, s[14:15]
	v_add_f64 v[146:147], v[146:147], 0
	v_add_f64 v[148:149], v[148:149], 0
	;; [unrolled: 1-line block ×6, first 2 shown]
	ds_read_b128 v[142:145], v208
	v_add_f64 v[162:163], v[162:163], 0
	v_add_f64 v[98:99], v[98:99], 0
	;; [unrolled: 1-line block ×11, first 2 shown]
	ds_read_b128 v[86:89], v215 offset:768
	s_waitcnt vmcnt(0) lgkmcnt(0)
	v_mul_f64 v[94:95], v[116:117], v[144:145]
	v_mul_f64 v[96:97], v[114:115], v[144:145]
	v_fma_f64 v[94:95], v[114:115], v[142:143], -v[94:95]
	v_fmac_f64_e32 v[96:97], v[116:117], v[142:143]
	v_mul_f64 v[98:99], v[124:125], v[144:145]
	v_mul_f64 v[100:101], v[122:123], v[144:145]
	v_add_f64 v[138:139], v[138:139], v[134:135]
	v_add_f64 v[140:141], v[140:141], v[136:137]
	ds_write_b128 v216, v[94:97]
	v_fma_f64 v[98:99], v[122:123], v[142:143], -v[98:99]
	v_fmac_f64_e32 v[100:101], v[124:125], v[142:143]
	v_mul_f64 v[134:135], v[128:129], v[144:145]
	v_mul_f64 v[136:137], v[126:127], v[144:145]
	ds_read_b128 v[94:97], v215 offset:784
	ds_write_b128 v216, v[98:101] offset:1072
	v_fma_f64 v[134:135], v[126:127], v[142:143], -v[134:135]
	v_fmac_f64_e32 v[136:137], v[128:129], v[142:143]
	v_mul_f64 v[146:147], v[132:133], v[144:145]
	v_mul_f64 v[148:149], v[130:131], v[144:145]
	ds_read_b128 v[98:101], v215 offset:800
	ds_write_b128 v216, v[134:137] offset:2144
	v_fma_f64 v[146:147], v[130:131], v[142:143], -v[146:147]
	v_fmac_f64_e32 v[148:149], v[132:133], v[142:143]
	v_add_f64 v[164:165], v[164:165], 0
	ds_read_b128 v[134:137], v215 offset:816
	ds_write_b128 v216, v[146:149] offset:3216
	s_waitcnt lgkmcnt(0)
	s_barrier
	ds_read_b128 v[142:145], v211
	v_add_f64 v[160:161], v[164:165], v[160:161]
	v_add_f64 v[156:157], v[160:161], v[156:157]
	;; [unrolled: 1-line block ×4, first 2 shown]
	ds_read_b128 v[146:149], v211 offset:16
	ds_read_b128 v[154:157], v211 offset:32
	;; [unrolled: 1-line block ×3, first 2 shown]
	s_waitcnt lgkmcnt(3)
	v_add_f64 v[142:143], v[142:143], 0
	v_add_f64 v[144:145], v[144:145], 0
	v_cmp_gt_i32_e32 vcc, s27, v204
	s_waitcnt lgkmcnt(2)
	v_add_f64 v[142:143], v[142:143], v[146:147]
	v_add_f64 v[144:145], v[144:145], v[148:149]
	s_or_b64 s[4:5], s[12:13], vcc
	s_waitcnt lgkmcnt(1)
	v_add_f64 v[142:143], v[142:143], v[154:155]
	v_add_f64 v[144:145], v[144:145], v[156:157]
	s_and_b64 s[12:13], s[6:7], s[4:5]
	s_waitcnt lgkmcnt(0)
	v_add_f64 v[142:143], v[142:143], v[158:159]
	v_add_f64 v[144:145], v[144:145], v[160:161]
	s_barrier
	ds_write_b128 v230, v[82:85]
	ds_write_b128 v230, v[138:141] offset:256
	ds_write_b128 v230, v[150:153] offset:512
	;; [unrolled: 1-line block ×3, first 2 shown]
	s_waitcnt lgkmcnt(0)
	s_barrier
	s_and_saveexec_b64 s[4:5], s[12:13]
	s_cbranch_execz .LBB188_154
; %bb.153:                              ;   in Loop: Header=BB188_104 Depth=1
	ds_read_b128 v[82:85], v209
	ds_read_b128 v[138:141], v209 offset:16
	ds_read_b128 v[142:145], v209 offset:32
	;; [unrolled: 1-line block ×3, first 2 shown]
	s_waitcnt lgkmcnt(2)
	v_add_f64 v[82:83], v[138:139], v[82:83]
	v_add_f64 v[138:139], v[140:141], v[84:85]
	s_waitcnt lgkmcnt(1)
	v_add_f64 v[140:141], v[82:83], v[142:143]
	ds_read_b128 v[82:85], v209 offset:64
	v_add_f64 v[142:143], v[138:139], v[144:145]
	s_waitcnt lgkmcnt(1)
	v_add_f64 v[144:145], v[140:141], v[146:147]
	ds_read_b128 v[138:141], v209 offset:80
	;; [unrolled: 4-line block ×9, first 2 shown]
	v_add_f64 v[84:85], v[146:147], v[84:85]
	s_waitcnt lgkmcnt(1)
	v_add_f64 v[138:139], v[82:83], v[138:139]
	v_add_f64 v[146:147], v[84:85], v[140:141]
	ds_read_b128 v[82:85], v209 offset:208
	s_waitcnt lgkmcnt(1)
	v_add_f64 v[148:149], v[138:139], v[142:143]
	ds_read_b128 v[138:141], v209 offset:224
	v_add_f64 v[146:147], v[146:147], v[144:145]
	ds_read_b128 v[142:145], v210
	s_waitcnt lgkmcnt(2)
	v_add_f64 v[82:83], v[148:149], v[82:83]
	v_add_f64 v[84:85], v[146:147], v[84:85]
	s_waitcnt lgkmcnt(1)
	v_add_f64 v[82:83], v[82:83], v[138:139]
	v_add_u32_e32 v138, s26, v229
	v_add_f64 v[84:85], v[84:85], v[140:141]
	v_ashrrev_i32_e32 v139, 31, v138
	s_waitcnt lgkmcnt(0)
	v_add_f64 v[82:83], v[82:83], v[142:143]
	v_add_f64 v[84:85], v[84:85], v[144:145]
	v_lshl_add_u64 v[138:139], v[138:139], 4, s[8:9]
	global_store_dwordx4 v[138:139], v[82:85], off
.LBB188_154:                            ;   in Loop: Header=BB188_104 Depth=1
	s_or_b64 exec, exec, s[4:5]
	s_nop 0
	v_mul_f64 v[82:83], v[8:9], v[24:25]
	v_fma_f64 v[82:83], v[6:7], v[22:23], -v[82:83]
	v_mul_f64 v[6:7], v[6:7], v[24:25]
	v_mul_f64 v[24:25], v[12:13], v[28:29]
	v_add_f64 v[0:1], v[0:1], v[82:83]
	v_fma_f64 v[24:25], v[10:11], v[26:27], -v[24:25]
	v_add_f64 v[0:1], v[0:1], v[24:25]
	v_mul_f64 v[24:25], v[16:17], v[32:33]
	v_fma_f64 v[24:25], v[14:15], v[30:31], -v[24:25]
	v_add_f64 v[0:1], v[0:1], v[24:25]
	v_mul_f64 v[24:25], v[20:21], v[40:41]
	v_fmac_f64_e32 v[6:7], v[8:9], v[22:23]
	v_fma_f64 v[24:25], v[18:19], v[38:39], -v[24:25]
	v_add_f64 v[2:3], v[2:3], v[6:7]
	v_mul_f64 v[6:7], v[36:37], v[56:57]
	v_add_f64 v[0:1], v[0:1], v[24:25]
	v_fma_f64 v[6:7], v[34:35], v[54:55], -v[6:7]
	v_add_f64 v[0:1], v[0:1], v[6:7]
	v_mul_f64 v[6:7], v[44:45], v[60:61]
	v_fma_f64 v[6:7], v[42:43], v[58:59], -v[6:7]
	v_add_f64 v[0:1], v[0:1], v[6:7]
	v_mul_f64 v[6:7], v[48:49], v[64:65]
	;; [unrolled: 3-line block ×3, first 2 shown]
	v_fma_f64 v[6:7], v[50:51], v[74:75], -v[6:7]
	v_mul_f64 v[10:11], v[10:11], v[28:29]
	v_add_f64 v[0:1], v[0:1], v[6:7]
	v_mul_f64 v[6:7], v[68:69], v[104:105]
	v_mul_f64 v[14:15], v[14:15], v[32:33]
	v_fmac_f64_e32 v[10:11], v[12:13], v[26:27]
	v_fma_f64 v[6:7], v[66:67], v[102:103], -v[6:7]
	v_mul_f64 v[18:19], v[18:19], v[40:41]
	v_add_f64 v[2:3], v[2:3], v[10:11]
	v_fmac_f64_e32 v[14:15], v[16:17], v[30:31]
	v_add_f64 v[0:1], v[0:1], v[6:7]
	v_mul_f64 v[6:7], v[72:73], v[108:109]
	v_add_f64 v[2:3], v[2:3], v[14:15]
	v_fmac_f64_e32 v[18:19], v[20:21], v[38:39]
	v_mul_f64 v[8:9], v[34:35], v[56:57]
	v_fma_f64 v[6:7], v[70:71], v[106:107], -v[6:7]
	v_add_f64 v[2:3], v[2:3], v[18:19]
	v_mul_f64 v[10:11], v[42:43], v[60:61]
	v_fmac_f64_e32 v[8:9], v[36:37], v[54:55]
	v_add_f64 v[0:1], v[0:1], v[6:7]
	v_mul_f64 v[6:7], v[80:81], v[112:113]
	v_mul_f64 v[12:13], v[46:47], v[64:65]
	v_add_f64 v[2:3], v[2:3], v[8:9]
	v_fmac_f64_e32 v[10:11], v[44:45], v[58:59]
	v_fma_f64 v[6:7], v[78:79], v[110:111], -v[6:7]
	v_mul_f64 v[14:15], v[50:51], v[76:77]
	v_add_f64 v[2:3], v[2:3], v[10:11]
	v_fmac_f64_e32 v[12:13], v[48:49], v[62:63]
	v_add_f64 v[0:1], v[0:1], v[6:7]
	v_mul_f64 v[6:7], v[92:93], v[120:121]
	v_add_f64 v[2:3], v[2:3], v[12:13]
	v_fmac_f64_e32 v[14:15], v[52:53], v[74:75]
	v_mul_f64 v[8:9], v[66:67], v[104:105]
	v_fma_f64 v[6:7], v[90:91], v[118:119], -v[6:7]
	v_add_f64 v[2:3], v[2:3], v[14:15]
	v_mul_f64 v[10:11], v[70:71], v[108:109]
	v_add_f64 v[0:1], v[0:1], v[6:7]
	v_fmac_f64_e32 v[8:9], v[68:69], v[102:103]
	v_mul_f64 v[6:7], v[116:117], v[88:89]
	v_mul_f64 v[12:13], v[78:79], v[112:113]
	v_add_f64 v[2:3], v[2:3], v[8:9]
	v_fmac_f64_e32 v[10:11], v[72:73], v[106:107]
	v_fma_f64 v[6:7], v[114:115], v[86:87], -v[6:7]
	v_mul_f64 v[14:15], v[90:91], v[120:121]
	v_add_f64 v[2:3], v[2:3], v[10:11]
	v_fmac_f64_e32 v[12:13], v[80:81], v[110:111]
	v_add_f64 v[0:1], v[0:1], v[6:7]
	v_mul_f64 v[6:7], v[124:125], v[96:97]
	v_add_f64 v[2:3], v[2:3], v[12:13]
	v_fmac_f64_e32 v[14:15], v[92:93], v[118:119]
	v_mul_f64 v[8:9], v[114:115], v[88:89]
	v_fma_f64 v[6:7], v[122:123], v[94:95], -v[6:7]
	v_add_f64 v[2:3], v[2:3], v[14:15]
	v_mul_f64 v[10:11], v[122:123], v[96:97]
	v_add_f64 v[0:1], v[0:1], v[6:7]
	v_mul_f64 v[6:7], v[128:129], v[100:101]
	v_fmac_f64_e32 v[8:9], v[116:117], v[86:87]
	v_fma_f64 v[6:7], v[126:127], v[98:99], -v[6:7]
	v_mul_f64 v[12:13], v[126:127], v[100:101]
	v_fmac_f64_e32 v[10:11], v[124:125], v[94:95]
	v_add_f64 v[2:3], v[2:3], v[8:9]
	v_add_f64 v[0:1], v[0:1], v[6:7]
	v_mul_f64 v[6:7], v[132:133], v[136:137]
	v_mul_f64 v[14:15], v[130:131], v[136:137]
	v_fmac_f64_e32 v[12:13], v[128:129], v[98:99]
	v_add_f64 v[2:3], v[2:3], v[10:11]
	v_fma_f64 v[6:7], v[130:131], v[134:135], -v[6:7]
	v_fmac_f64_e32 v[14:15], v[132:133], v[134:135]
	v_add_f64 v[2:3], v[2:3], v[12:13]
	s_add_i32 s4, s2, 1
	s_add_i32 s26, s26, 64
	;; [unrolled: 1-line block ×3, first 2 shown]
	v_add_f64 v[0:1], v[0:1], v[6:7]
	v_add_f64 v[2:3], v[2:3], v[14:15]
	v_lshl_add_u64 v[172:173], v[172:173], 0, s[10:11]
	v_lshl_add_u64 v[174:175], v[174:175], 0, s[10:11]
	;; [unrolled: 1-line block ×15, first 2 shown]
	s_cmp_ge_u32 s2, s3
	v_lshl_add_u64 v[202:203], v[202:203], 0, s[10:11]
	s_barrier
	s_cbranch_scc1 .LBB188_156
; %bb.155:                              ;   in Loop: Header=BB188_104 Depth=1
	s_mov_b32 s2, s4
	s_cmp_eq_u32 s19, s2
	s_cselect_b32 s27, s33, 0
	s_and_saveexec_b64 s[4:5], s[0:1]
	s_cbranch_execnz .LBB188_100
	s_branch .LBB188_104
.LBB188_156:
	s_movk_i32 s2, 0x430
	v_cmp_gt_i32_e32 vcc, s18, v204
	v_mad_u32_u24 v4, v205, s2, v168
	s_or_b64 s[2:3], s[20:21], vcc
	s_and_b64 s[0:1], s[0:1], s[2:3]
	ds_write_b128 v4, v[0:3]
	s_waitcnt lgkmcnt(0)
	s_barrier
	s_and_saveexec_b64 s[2:3], s[0:1]
	s_cbranch_execz .LBB188_158
; %bb.157:
	ds_read_b128 v[0:3], v168 offset:1072
	ds_read_b128 v[4:7], v168
	ds_read_b128 v[8:11], v168 offset:2144
	ds_read_b128 v[12:15], v168 offset:3216
	s_waitcnt lgkmcnt(2)
	v_add_f64 v[0:1], v[0:1], v[4:5]
	v_add_f64 v[2:3], v[2:3], v[6:7]
	s_waitcnt lgkmcnt(1)
	v_add_f64 v[0:1], v[0:1], v[8:9]
	v_add_f64 v[2:3], v[2:3], v[10:11]
	;; [unrolled: 3-line block ×3, first 2 shown]
	v_lshl_add_u64 v[4:5], v[166:167], 4, s[8:9]
	global_store_dwordx4 v[4:5], v[0:3], off
.LBB188_158:
	s_endpgm
	.section	.rodata,"a",@progbits
	.p2align	6, 0x0
	.amdhsa_kernel _ZL26rocblas_hemvn_kernel_upperILb0ELi64ELi4ELi33ELi32ELi16ElPK19rocblas_complex_numIdEPKS3_PS1_EviT6_lT7_lT5_lS8_lS9_lS7_lT8_i
		.amdhsa_group_segment_fixed_size 19200
		.amdhsa_private_segment_fixed_size 0
		.amdhsa_kernarg_size 376
		.amdhsa_user_sgpr_count 2
		.amdhsa_user_sgpr_dispatch_ptr 0
		.amdhsa_user_sgpr_queue_ptr 0
		.amdhsa_user_sgpr_kernarg_segment_ptr 1
		.amdhsa_user_sgpr_dispatch_id 0
		.amdhsa_user_sgpr_kernarg_preload_length 0
		.amdhsa_user_sgpr_kernarg_preload_offset 0
		.amdhsa_user_sgpr_private_segment_size 0
		.amdhsa_uses_dynamic_stack 0
		.amdhsa_enable_private_segment 0
		.amdhsa_system_sgpr_workgroup_id_x 1
		.amdhsa_system_sgpr_workgroup_id_y 0
		.amdhsa_system_sgpr_workgroup_id_z 1
		.amdhsa_system_sgpr_workgroup_info 0
		.amdhsa_system_vgpr_workitem_id 1
		.amdhsa_next_free_vgpr 231
		.amdhsa_next_free_sgpr 40
		.amdhsa_accum_offset 232
		.amdhsa_reserve_vcc 1
		.amdhsa_float_round_mode_32 0
		.amdhsa_float_round_mode_16_64 0
		.amdhsa_float_denorm_mode_32 3
		.amdhsa_float_denorm_mode_16_64 3
		.amdhsa_dx10_clamp 1
		.amdhsa_ieee_mode 1
		.amdhsa_fp16_overflow 0
		.amdhsa_tg_split 0
		.amdhsa_exception_fp_ieee_invalid_op 0
		.amdhsa_exception_fp_denorm_src 0
		.amdhsa_exception_fp_ieee_div_zero 0
		.amdhsa_exception_fp_ieee_overflow 0
		.amdhsa_exception_fp_ieee_underflow 0
		.amdhsa_exception_fp_ieee_inexact 0
		.amdhsa_exception_int_div_zero 0
	.end_amdhsa_kernel
	.section	.text._ZL26rocblas_hemvn_kernel_upperILb0ELi64ELi4ELi33ELi32ELi16ElPK19rocblas_complex_numIdEPKS3_PS1_EviT6_lT7_lT5_lS8_lS9_lS7_lT8_i,"axG",@progbits,_ZL26rocblas_hemvn_kernel_upperILb0ELi64ELi4ELi33ELi32ELi16ElPK19rocblas_complex_numIdEPKS3_PS1_EviT6_lT7_lT5_lS8_lS9_lS7_lT8_i,comdat
.Lfunc_end188:
	.size	_ZL26rocblas_hemvn_kernel_upperILb0ELi64ELi4ELi33ELi32ELi16ElPK19rocblas_complex_numIdEPKS3_PS1_EviT6_lT7_lT5_lS8_lS9_lS7_lT8_i, .Lfunc_end188-_ZL26rocblas_hemvn_kernel_upperILb0ELi64ELi4ELi33ELi32ELi16ElPK19rocblas_complex_numIdEPKS3_PS1_EviT6_lT7_lT5_lS8_lS9_lS7_lT8_i
                                        ; -- End function
	.section	.AMDGPU.csdata,"",@progbits
; Kernel info:
; codeLenInByte = 10576
; NumSgprs: 46
; NumVgprs: 231
; NumAgprs: 0
; TotalNumVgprs: 231
; ScratchSize: 0
; MemoryBound: 1
; FloatMode: 240
; IeeeMode: 1
; LDSByteSize: 19200 bytes/workgroup (compile time only)
; SGPRBlocks: 5
; VGPRBlocks: 28
; NumSGPRsForWavesPerEU: 46
; NumVGPRsForWavesPerEU: 231
; AccumOffset: 232
; Occupancy: 2
; WaveLimiterHint : 1
; COMPUTE_PGM_RSRC2:SCRATCH_EN: 0
; COMPUTE_PGM_RSRC2:USER_SGPR: 2
; COMPUTE_PGM_RSRC2:TRAP_HANDLER: 0
; COMPUTE_PGM_RSRC2:TGID_X_EN: 1
; COMPUTE_PGM_RSRC2:TGID_Y_EN: 0
; COMPUTE_PGM_RSRC2:TGID_Z_EN: 1
; COMPUTE_PGM_RSRC2:TIDIG_COMP_CNT: 1
; COMPUTE_PGM_RSRC3_GFX90A:ACCUM_OFFSET: 57
; COMPUTE_PGM_RSRC3_GFX90A:TG_SPLIT: 0
	.section	.text._ZL26rocblas_hemvn_kernel_upperILb0ELi64ELi4ELi33ELi32ELi16EiPK19rocblas_complex_numIdEPKS3_PS1_EviT6_lT7_lT5_lS8_lS9_lS7_lT8_i,"axG",@progbits,_ZL26rocblas_hemvn_kernel_upperILb0ELi64ELi4ELi33ELi32ELi16EiPK19rocblas_complex_numIdEPKS3_PS1_EviT6_lT7_lT5_lS8_lS9_lS7_lT8_i,comdat
	.globl	_ZL26rocblas_hemvn_kernel_upperILb0ELi64ELi4ELi33ELi32ELi16EiPK19rocblas_complex_numIdEPKS3_PS1_EviT6_lT7_lT5_lS8_lS9_lS7_lT8_i ; -- Begin function _ZL26rocblas_hemvn_kernel_upperILb0ELi64ELi4ELi33ELi32ELi16EiPK19rocblas_complex_numIdEPKS3_PS1_EviT6_lT7_lT5_lS8_lS9_lS7_lT8_i
	.p2align	8
	.type	_ZL26rocblas_hemvn_kernel_upperILb0ELi64ELi4ELi33ELi32ELi16EiPK19rocblas_complex_numIdEPKS3_PS1_EviT6_lT7_lT5_lS8_lS9_lS7_lT8_i,@function
_ZL26rocblas_hemvn_kernel_upperILb0ELi64ELi4ELi33ELi32ELi16EiPK19rocblas_complex_numIdEPKS3_PS1_EviT6_lT7_lT5_lS8_lS9_lS7_lT8_i: ; @_ZL26rocblas_hemvn_kernel_upperILb0ELi64ELi4ELi33ELi32ELi16EiPK19rocblas_complex_numIdEPKS3_PS1_EviT6_lT7_lT5_lS8_lS9_lS7_lT8_i
; %bb.0:
	s_load_dwordx2 s[4:5], s[0:1], 0x84
	s_add_u32 s12, s0, 0x78
	s_mov_b32 s20, s3
	s_addc_u32 s13, s1, 0
	s_waitcnt lgkmcnt(0)
	s_and_b32 s3, s5, 0xffff
	s_lshr_b32 s5, s4, 16
	s_and_b32 s4, s4, 0xffff
	s_mul_i32 s4, s5, s4
	s_mul_i32 s4, s4, s3
	s_cmpk_lg_i32 s4, 0x100
	s_cbranch_scc1 .LBB189_158
; %bb.1:
	s_load_dwordx8 s[4:11], s[0:1], 0x8
	s_mov_b32 s21, 0
	s_mov_b64 s[16:17], 0
	s_waitcnt lgkmcnt(0)
	s_mul_i32 s3, s20, s7
	s_mul_hi_u32 s7, s20, s6
	s_mul_i32 s6, s20, s6
	s_add_i32 s7, s7, s3
	s_lshl_b64 s[6:7], s[6:7], 4
	s_add_u32 s14, s4, s6
	s_addc_u32 s15, s5, s7
	s_load_dwordx4 s[24:27], s[14:15], 0x0
	s_load_dwordx2 s[22:23], s[0:1], 0x68
	s_load_dwordx4 s[4:7], s[0:1], 0x58
	s_waitcnt lgkmcnt(0)
	v_cmp_neq_f64_e64 s[14:15], s[24:25], 0
	v_cmp_neq_f64_e64 s[18:19], s[26:27], 0
	s_or_b64 s[14:15], s[14:15], s[18:19]
	s_and_b64 vcc, exec, s[14:15]
	s_cbranch_vccnz .LBB189_3
; %bb.2:
	s_mul_i32 s3, s20, s7
	s_mul_hi_u32 s7, s20, s6
	s_add_i32 s7, s7, s3
	s_mul_i32 s6, s20, s6
	s_lshl_b64 s[6:7], s[6:7], 4
	s_add_u32 s4, s4, s6
	s_addc_u32 s5, s5, s7
	s_load_dwordx4 s[16:19], s[4:5], 0x0
	s_mov_b64 s[6:7], 0
	s_waitcnt lgkmcnt(0)
	v_cmp_neq_f64_e64 s[4:5], s[16:17], 1.0
	v_cmp_neq_f64_e64 s[16:17], s[18:19], 0
	s_or_b64 s[16:17], s[4:5], s[16:17]
	s_cbranch_execz .LBB189_4
	s_branch .LBB189_5
.LBB189_3:
	s_mov_b64 s[6:7], -1
.LBB189_4:
	s_lshl_b64 s[4:5], s[20:21], 3
	s_add_u32 s4, s8, s4
	s_addc_u32 s5, s9, s5
	s_load_dwordx2 s[4:5], s[4:5], 0x0
	s_lshl_b64 s[6:7], s[10:11], 4
	s_mov_b64 s[16:17], -1
	s_waitcnt lgkmcnt(0)
	s_add_u32 s6, s4, s6
	s_addc_u32 s7, s5, s7
.LBB189_5:
	s_andn2_b64 vcc, exec, s[16:17]
	s_cbranch_vccnz .LBB189_158
; %bb.6:
	v_cndmask_b32_e64 v1, 0, 1, s[14:15]
	v_cmp_ne_u32_e64 s[4:5], 1, v1
	s_andn2_b64 vcc, exec, s[14:15]
	s_mov_b64 s[8:9], 0
	s_cbranch_vccnz .LBB189_8
; %bb.7:
	s_load_dwordx4 s[8:11], s[0:1], 0x38
	s_lshl_b64 s[14:15], s[20:21], 3
	s_waitcnt lgkmcnt(0)
	s_add_u32 s8, s8, s14
	s_addc_u32 s9, s9, s15
	s_load_dwordx2 s[8:9], s[8:9], 0x0
	s_lshl_b64 s[10:11], s[10:11], 4
	s_waitcnt lgkmcnt(0)
	s_add_u32 s8, s8, s10
	s_addc_u32 s9, s9, s11
.LBB189_8:
	s_and_b64 vcc, exec, s[4:5]
	s_cbranch_vccnz .LBB189_158
; %bb.9:
	s_load_dword s3, s[12:13], 0x0
	s_load_dword s34, s[0:1], 0x0
	s_load_dword s21, s[0:1], 0x48
	v_and_b32_e32 v168, 0x3ff, v0
	s_lshl_b32 s24, s2, 6
	v_add_u32_e32 v166, s24, v168
	s_waitcnt lgkmcnt(0)
	s_ashr_i32 s35, s34, 31
	s_lshr_b32 s5, s35, 26
	s_add_i32 s5, s34, s5
	s_andn2_b32 s5, s5, 63
	v_bfe_u32 v167, v0, 10, 10
	s_add_i32 s4, s3, -1
	s_sub_i32 s33, s34, s5
	v_mul_lo_u32 v0, v166, s21
	s_cmp_eq_u32 s2, s4
	v_ashrrev_i32_e32 v1, 31, v0
	s_cselect_b32 s16, s33, 0
	v_lshl_add_u64 v[38:39], v[0:1], 4, s[8:9]
	v_cmp_eq_u32_e64 s[12:13], 0, v167
	s_and_saveexec_b64 s[4:5], s[12:13]
	s_cbranch_execz .LBB189_14
; %bb.10:
	s_cmp_lg_u32 s16, 0
	s_cselect_b64 s[8:9], -1, 0
	v_cmp_le_i32_e32 vcc, s16, v168
	v_mov_b32_e32 v0, 0x4700
	s_and_b64 s[8:9], s[8:9], vcc
	v_lshl_add_u32 v0, v168, 4, v0
	s_and_saveexec_b64 s[10:11], s[8:9]
	s_xor_b64 s[8:9], exec, s[10:11]
	s_cbranch_execz .LBB189_12
; %bb.11:
	v_mov_b32_e32 v2, 0
	v_mov_b32_e32 v3, v2
	;; [unrolled: 1-line block ×4, first 2 shown]
	ds_write_b128 v0, v[2:5]
                                        ; implicit-def: $vgpr0
.LBB189_12:
	s_andn2_saveexec_b64 s[8:9], s[8:9]
	s_cbranch_execz .LBB189_14
; %bb.13:
	flat_load_dwordx4 v[2:5], v[38:39]
	s_waitcnt vmcnt(0) lgkmcnt(0)
	ds_write2_b64 v0, v[2:3], v[4:5] offset1:1
.LBB189_14:
	s_or_b64 exec, exec, s[4:5]
	s_load_dword s26, s[0:1], 0x28
	s_ashr_i32 s25, s24, 31
	v_lshl_add_u32 v42, v167, 6, v168
	s_lshl_b64 s[0:1], s[24:25], 4
	v_and_b32_e32 v4, 31, v168
	v_lshrrev_b32_e32 v5, 5, v42
	s_add_u32 s4, s6, s0
	s_addc_u32 s5, s7, s1
	s_waitcnt lgkmcnt(0)
	v_mad_u64_u32 v[36:37], s[0:1], v5, s26, v[4:5]
	s_mul_i32 s0, s24, s26
	s_ashr_i32 s1, s0, 31
	s_lshl_b64 s[0:1], s[0:1], 4
	s_add_u32 s0, s0, s4
	s_addc_u32 s1, s1, s5
	s_cmp_eq_u32 s16, 0
	s_cselect_b64 s[18:19], -1, 0
	s_cmp_lg_u32 s16, 0
	v_ashrrev_i32_e32 v37, 31, v36
	s_cselect_b64 s[30:31], -1, 0
	v_lshl_add_u64 v[0:1], v[36:37], 4, s[0:1]
	s_and_b64 vcc, exec, s[30:31]
	v_cmp_gt_i32_e64 s[0:1], s16, v4
	v_lshlrev_b32_e32 v6, 4, v4
	v_mul_u32_u24_e32 v14, 33, v5
	s_cbranch_vccz .LBB189_32
; %bb.15:
	v_sub_co_u32_e32 v2, vcc, v0, v6
	s_ashr_i32 s17, s16, 31
	s_nop 0
	v_subbrev_co_u32_e32 v3, vcc, 0, v1, vcc
	v_lshl_add_u64 v[2:3], s[16:17], 4, v[2:3]
	v_lshl_add_u64 v[2:3], v[2:3], 0, -16
	v_cndmask_b32_e64 v3, v3, v1, s[0:1]
	v_cndmask_b32_e64 v2, v2, v0, s[0:1]
	v_cmp_le_i32_e32 vcc, s16, v5
	v_add_lshl_u32 v7, v14, v4, 4
	s_and_saveexec_b64 s[4:5], vcc
	s_xor_b64 s[4:5], exec, s[4:5]
	s_cbranch_execz .LBB189_17
; %bb.16:
	v_mov_b32_e32 v8, 0
	v_mov_b32_e32 v9, v8
	;; [unrolled: 1-line block ×4, first 2 shown]
	ds_write_b128 v7, v[8:11]
.LBB189_17:
	s_andn2_saveexec_b64 s[4:5], s[4:5]
	s_cbranch_execz .LBB189_19
; %bb.18:
	flat_load_dwordx4 v[8:11], v[2:3]
	s_waitcnt vmcnt(0) lgkmcnt(0)
	ds_write2_b64 v7, v[8:9], v[10:11] offset1:1
.LBB189_19:
	s_or_b64 exec, exec, s[4:5]
	v_add_u32_e32 v8, 8, v5
	v_cmp_le_i32_e32 vcc, s16, v8
	s_and_saveexec_b64 s[4:5], vcc
	s_xor_b64 s[4:5], exec, s[4:5]
	s_cbranch_execz .LBB189_21
; %bb.20:
	v_mul_u32_u24_e32 v8, 33, v8
	v_add_lshl_u32 v12, v8, v4, 4
	v_mov_b32_e32 v8, 0
	v_mov_b32_e32 v9, v8
	;; [unrolled: 1-line block ×4, first 2 shown]
	ds_write_b128 v12, v[8:11]
.LBB189_21:
	s_andn2_saveexec_b64 s[4:5], s[4:5]
	s_cbranch_execz .LBB189_23
; %bb.22:
	s_lshl_b32 s6, s26, 3
	s_ashr_i32 s7, s6, 31
	v_lshl_add_u64 v[8:9], s[6:7], 4, v[2:3]
	flat_load_dwordx4 v[8:11], v[8:9]
	v_add_u32_e32 v12, 0x1080, v7
	s_waitcnt vmcnt(0) lgkmcnt(0)
	ds_write2_b64 v12, v[8:9], v[10:11] offset1:1
.LBB189_23:
	s_or_b64 exec, exec, s[4:5]
	v_add_u32_e32 v8, 16, v5
	v_cmp_le_i32_e32 vcc, s16, v8
	s_and_saveexec_b64 s[4:5], vcc
	s_xor_b64 s[4:5], exec, s[4:5]
	s_cbranch_execz .LBB189_25
; %bb.24:
	v_mul_u32_u24_e32 v8, 33, v8
	v_add_lshl_u32 v12, v8, v4, 4
	v_mov_b32_e32 v8, 0
	v_mov_b32_e32 v9, v8
	;; [unrolled: 1-line block ×4, first 2 shown]
	ds_write_b128 v12, v[8:11]
.LBB189_25:
	s_andn2_saveexec_b64 s[4:5], s[4:5]
	s_cbranch_execz .LBB189_27
; %bb.26:
	s_lshl_b32 s6, s26, 4
	s_ashr_i32 s7, s6, 31
	v_lshl_add_u64 v[8:9], s[6:7], 4, v[2:3]
	flat_load_dwordx4 v[8:11], v[8:9]
	v_add_u32_e32 v12, 0x2100, v7
	s_waitcnt vmcnt(0) lgkmcnt(0)
	ds_write2_b64 v12, v[8:9], v[10:11] offset1:1
.LBB189_27:
	s_or_b64 exec, exec, s[4:5]
	v_add_u32_e32 v8, 24, v5
	v_cmp_le_i32_e32 vcc, s16, v8
	s_and_saveexec_b64 s[4:5], vcc
	s_xor_b64 s[4:5], exec, s[4:5]
	s_cbranch_execz .LBB189_29
; %bb.28:
	v_mov_b32_e32 v8, 0
	v_mov_b32_e32 v9, v8
	;; [unrolled: 1-line block ×4, first 2 shown]
	ds_write_b128 v7, v[8:11] offset:12672
                                        ; implicit-def: $vgpr7
.LBB189_29:
	s_andn2_saveexec_b64 s[4:5], s[4:5]
	s_cbranch_execz .LBB189_31
; %bb.30:
	s_mul_i32 s6, s26, 24
	s_ashr_i32 s7, s6, 31
	v_lshl_add_u64 v[8:9], s[6:7], 4, v[2:3]
	flat_load_dwordx4 v[8:11], v[8:9]
	v_add_u32_e32 v7, 0x3180, v7
	s_waitcnt vmcnt(0) lgkmcnt(0)
	ds_write2_b64 v7, v[8:9], v[10:11] offset1:1
.LBB189_31:
	s_or_b64 exec, exec, s[4:5]
	v_mov_b32_e32 v7, 0
	v_lshl_add_u64 v[2:3], v[2:3], 0, v[6:7]
	s_lshl_b64 s[4:5], s[16:17], 4
	v_mov_b32_e32 v7, s5
	v_subrev_co_u32_e32 v2, vcc, s4, v2
	s_nop 1
	v_subb_co_u32_e32 v3, vcc, v3, v7, vcc
	v_lshl_add_u64 v[2:3], v[2:3], 0, 16
	v_cndmask_b32_e64 v9, v3, v1, s[0:1]
	v_cndmask_b32_e64 v8, v2, v0, s[0:1]
	s_branch .LBB189_34
.LBB189_32:
                                        ; implicit-def: $vgpr8_vgpr9
	s_cbranch_execz .LBB189_34
; %bb.33:
	flat_load_dwordx4 v[8:11], v[0:1]
	s_lshl_b32 s0, s26, 3
	v_add_lshl_u32 v7, v14, v4, 4
	s_ashr_i32 s1, s0, 31
	v_lshl_add_u64 v[2:3], s[0:1], 4, v[0:1]
	s_ashr_i32 s27, s26, 31
	v_add_u32_e32 v12, 0x1080, v7
	s_lshl_b64 s[0:1], s[26:27], 7
	s_waitcnt vmcnt(0) lgkmcnt(0)
	ds_write2_b64 v7, v[8:9], v[10:11] offset1:1
	flat_load_dwordx4 v[8:11], v[2:3]
	v_lshl_add_u64 v[2:3], v[2:3], 0, s[0:1]
	s_waitcnt vmcnt(0) lgkmcnt(0)
	ds_write2_b64 v12, v[8:9], v[10:11] offset1:1
	flat_load_dwordx4 v[8:11], v[2:3]
	v_add_u32_e32 v12, 0x2100, v7
	v_lshl_add_u64 v[2:3], v[2:3], 0, s[0:1]
	s_waitcnt vmcnt(0) lgkmcnt(0)
	ds_write2_b64 v12, v[8:9], v[10:11] offset1:1
	flat_load_dwordx4 v[8:11], v[2:3]
	v_add_u32_e32 v2, 0x3180, v7
	s_waitcnt vmcnt(0) lgkmcnt(0)
	ds_write2_b64 v2, v[8:9], v[10:11] offset1:1
	v_mov_b64_e32 v[8:9], v[0:1]
.LBB189_34:
	v_lshlrev_b32_e32 v0, 2, v5
	v_mul_u32_u24_e32 v15, 33, v4
	v_cmp_gt_u32_e64 s[4:5], v0, v4
	v_add_lshl_u32 v17, v0, v15, 4
	s_waitcnt lgkmcnt(0)
	s_barrier
	s_and_saveexec_b64 s[0:1], s[4:5]
	s_cbranch_execz .LBB189_36
; %bb.35:
	v_mul_u32_u24_e32 v1, 0x84, v5
	v_add_lshl_u32 v1, v1, v4, 4
	ds_read_b128 v[10:13], v1
	s_waitcnt lgkmcnt(0)
	ds_write_b128 v17, v[10:13]
.LBB189_36:
	s_or_b64 exec, exec, s[0:1]
	v_cmp_ge_u32_e64 s[6:7], v0, v4
	s_and_saveexec_b64 s[0:1], s[6:7]
	s_cbranch_execz .LBB189_38
; %bb.37:
	v_or_b32_e32 v1, 1, v0
	v_mul_u32_u24_e32 v1, 33, v1
	v_add_lshl_u32 v1, v1, v4, 4
	ds_read_b128 v[10:13], v1
	s_waitcnt lgkmcnt(0)
	ds_write_b128 v17, v[10:13] offset:16
.LBB189_38:
	s_or_b64 exec, exec, s[0:1]
	v_or_b32_e32 v1, 2, v0
	v_cmp_gt_u32_e64 s[8:9], v1, v4
	s_and_saveexec_b64 s[0:1], s[8:9]
	s_cbranch_execz .LBB189_40
; %bb.39:
	v_mul_u32_u24_e32 v1, 33, v1
	v_add_lshl_u32 v1, v1, v4, 4
	ds_read_b128 v[10:13], v1
	s_waitcnt lgkmcnt(0)
	ds_write_b128 v17, v[10:13] offset:32
.LBB189_40:
	s_or_b64 exec, exec, s[0:1]
	v_or_b32_e32 v1, 3, v0
	v_cmp_gt_u32_e64 s[10:11], v1, v4
	v_mad_u32_u24 v1, v1, 33, v4
	v_lshlrev_b32_e32 v16, 4, v1
	s_and_saveexec_b64 s[0:1], s[10:11]
	s_cbranch_execz .LBB189_42
; %bb.41:
	ds_read_b128 v[10:13], v16
	s_waitcnt lgkmcnt(0)
	ds_write_b128 v17, v[10:13] offset:48
.LBB189_42:
	s_or_b64 exec, exec, s[0:1]
	v_mul_u32_u24_e32 v1, 0x84, v5
	v_lshlrev_b32_e32 v18, 4, v0
	s_waitcnt lgkmcnt(0)
	s_barrier
	v_add_lshl_u32 v24, v1, v4, 4
	ds_read_b128 v[0:3], v18 offset:18176
	ds_read_b128 v[10:13], v24
	ds_read_b128 v[20:23], v18 offset:18192
	ds_read_b128 v[26:29], v18 offset:18208
	v_add_u32_e32 v25, 0xfffffbe0, v16
	ds_read_b128 v[30:33], v25
	ds_read_b128 v[44:47], v25 offset:528
	s_waitcnt lgkmcnt(4)
	v_mul_f64 v[34:35], v[2:3], v[12:13]
	v_fma_f64 v[34:35], v[0:1], v[10:11], -v[34:35]
	v_mul_f64 v[0:1], v[0:1], v[12:13]
	v_fmac_f64_e32 v[0:1], v[2:3], v[10:11]
	s_waitcnt lgkmcnt(1)
	v_mul_f64 v[12:13], v[20:21], v[32:33]
	v_add_f64 v[0:1], v[0:1], 0
	v_mul_f64 v[10:11], v[22:23], v[32:33]
	v_fmac_f64_e32 v[12:13], v[22:23], v[30:31]
	v_add_f64 v[2:3], v[34:35], 0
	v_fma_f64 v[10:11], v[20:21], v[30:31], -v[10:11]
	v_add_f64 v[22:23], v[0:1], v[12:13]
	s_waitcnt lgkmcnt(0)
	v_mul_f64 v[0:1], v[28:29], v[46:47]
	v_add_f64 v[20:21], v[2:3], v[10:11]
	v_fma_f64 v[30:31], v[26:27], v[44:45], -v[0:1]
	ds_read_b128 v[0:3], v18 offset:18224
	ds_read_b128 v[10:13], v16
	v_mul_f64 v[26:27], v[26:27], v[46:47]
	v_fmac_f64_e32 v[26:27], v[28:29], v[44:45]
	v_add_f64 v[22:23], v[22:23], v[26:27]
	v_add_f64 v[20:21], v[20:21], v[30:31]
	s_waitcnt lgkmcnt(0)
	v_mul_f64 v[26:27], v[2:3], v[12:13]
	v_mul_f64 v[12:13], v[0:1], v[12:13]
	v_fma_f64 v[26:27], v[0:1], v[10:11], -v[26:27]
	v_fmac_f64_e32 v[12:13], v[2:3], v[10:11]
	v_add_f64 v[0:1], v[20:21], v[26:27]
	v_add_f64 v[2:3], v[22:23], v[12:13]
	v_add_lshl_u32 v44, v5, v15, 4
	s_barrier
	ds_write_b128 v44, v[0:3]
	v_mov_b64_e32 v[0:1], 0
	v_cmp_gt_u32_e64 s[0:1], 32, v42
	v_lshlrev_b32_e32 v43, 4, v15
	v_mov_b64_e32 v[2:3], v[0:1]
	s_waitcnt lgkmcnt(0)
	s_barrier
	s_and_saveexec_b64 s[14:15], s[0:1]
	s_cbranch_execz .LBB189_44
; %bb.43:
	ds_read_b128 v[0:3], v43
	ds_read_b128 v[10:13], v43 offset:16
	ds_read_b128 v[20:23], v43 offset:32
	;; [unrolled: 1-line block ×3, first 2 shown]
	s_waitcnt lgkmcnt(2)
	v_add_f64 v[0:1], v[10:11], v[0:1]
	v_add_f64 v[10:11], v[12:13], v[2:3]
	s_waitcnt lgkmcnt(1)
	v_add_f64 v[12:13], v[0:1], v[20:21]
	ds_read_b128 v[0:3], v43 offset:64
	v_add_f64 v[10:11], v[10:11], v[22:23]
	s_waitcnt lgkmcnt(1)
	v_add_f64 v[20:21], v[12:13], v[26:27]
	v_add_f64 v[26:27], v[10:11], v[28:29]
	ds_read_b128 v[10:13], v43 offset:80
	s_waitcnt lgkmcnt(1)
	v_add_f64 v[28:29], v[20:21], v[0:1]
	ds_read_b128 v[20:23], v43 offset:96
	v_add_f64 v[26:27], v[26:27], v[2:3]
	ds_read_b128 v[0:3], v43 offset:112
	s_waitcnt lgkmcnt(2)
	v_add_f64 v[10:11], v[28:29], v[10:11]
	v_add_f64 v[12:13], v[26:27], v[12:13]
	s_waitcnt lgkmcnt(1)
	v_add_f64 v[10:11], v[10:11], v[20:21]
	v_add_f64 v[12:13], v[12:13], v[22:23]
	s_waitcnt lgkmcnt(0)
	v_add_f64 v[0:1], v[10:11], v[0:1]
	v_add_f64 v[2:3], v[12:13], v[2:3]
.LBB189_44:
	s_or_b64 exec, exec, s[14:15]
	s_lshl_b32 s28, s26, 5
	s_ashr_i32 s29, s28, 31
	v_lshl_add_u64 v[12:13], s[28:29], 4, v[8:9]
	s_mov_b64 s[14:15], 0x200
	v_lshl_add_u64 v[10:11], v[12:13], 0, s[14:15]
	s_and_b64 vcc, exec, s[30:31]
	s_barrier
	s_cbranch_vccz .LBB189_62
; %bb.45:
	v_or_b32_e32 v7, 32, v4
	v_lshlrev_b32_e32 v8, 4, v7
	v_sub_co_u32_e32 v8, vcc, v10, v8
	s_ashr_i32 s17, s16, 31
	s_nop 0
	v_subbrev_co_u32_e32 v9, vcc, 0, v11, vcc
	v_lshl_add_u64 v[8:9], s[16:17], 4, v[8:9]
	v_lshl_add_u64 v[8:9], v[8:9], 0, -16
	v_cmp_gt_i32_e32 vcc, s16, v7
	s_sub_i32 s25, s16, 32
	v_cmp_le_i32_e64 s[14:15], s25, v5
	v_cndmask_b32_e32 v9, v9, v11, vcc
	v_cndmask_b32_e32 v8, v8, v10, vcc
	v_add_lshl_u32 v7, v14, v4, 4
	s_and_saveexec_b64 s[36:37], s[14:15]
	s_xor_b64 s[14:15], exec, s[36:37]
	s_cbranch_execz .LBB189_47
; %bb.46:
	v_mov_b32_e32 v20, 0
	v_mov_b32_e32 v21, v20
	v_mov_b32_e32 v22, v20
	v_mov_b32_e32 v23, v20
	ds_write_b128 v7, v[20:23]
.LBB189_47:
	s_andn2_saveexec_b64 s[14:15], s[14:15]
	s_cbranch_execz .LBB189_49
; %bb.48:
	flat_load_dwordx4 v[20:23], v[8:9]
	s_waitcnt vmcnt(0) lgkmcnt(0)
	ds_write2_b64 v7, v[20:21], v[22:23] offset1:1
.LBB189_49:
	s_or_b64 exec, exec, s[14:15]
	v_add_u32_e32 v19, 8, v5
	v_cmp_le_i32_e64 s[14:15], s25, v19
	s_and_saveexec_b64 s[36:37], s[14:15]
	s_xor_b64 s[14:15], exec, s[36:37]
	s_cbranch_execz .LBB189_51
; %bb.50:
	v_mul_u32_u24_e32 v19, 33, v19
	v_mov_b32_e32 v20, 0
	v_add_lshl_u32 v19, v19, v4, 4
	v_mov_b32_e32 v21, v20
	v_mov_b32_e32 v22, v20
	;; [unrolled: 1-line block ×3, first 2 shown]
	ds_write_b128 v19, v[20:23]
.LBB189_51:
	s_andn2_saveexec_b64 s[14:15], s[14:15]
	s_cbranch_execz .LBB189_53
; %bb.52:
	s_lshl_b32 s36, s26, 3
	s_ashr_i32 s37, s36, 31
	v_lshl_add_u64 v[20:21], s[36:37], 4, v[8:9]
	flat_load_dwordx4 v[20:23], v[20:21]
	v_add_u32_e32 v19, 0x1080, v7
	s_waitcnt vmcnt(0) lgkmcnt(0)
	ds_write2_b64 v19, v[20:21], v[22:23] offset1:1
.LBB189_53:
	s_or_b64 exec, exec, s[14:15]
	v_add_u32_e32 v19, 16, v5
	v_cmp_le_i32_e64 s[14:15], s25, v19
	s_and_saveexec_b64 s[36:37], s[14:15]
	s_xor_b64 s[14:15], exec, s[36:37]
	s_cbranch_execz .LBB189_55
; %bb.54:
	v_mul_u32_u24_e32 v19, 33, v19
	v_mov_b32_e32 v20, 0
	v_add_lshl_u32 v19, v19, v4, 4
	v_mov_b32_e32 v21, v20
	v_mov_b32_e32 v22, v20
	v_mov_b32_e32 v23, v20
	ds_write_b128 v19, v[20:23]
.LBB189_55:
	s_andn2_saveexec_b64 s[14:15], s[14:15]
	s_cbranch_execz .LBB189_57
; %bb.56:
	s_lshl_b32 s36, s26, 4
	s_ashr_i32 s37, s36, 31
	v_lshl_add_u64 v[20:21], s[36:37], 4, v[8:9]
	flat_load_dwordx4 v[20:23], v[20:21]
	v_add_u32_e32 v19, 0x2100, v7
	s_waitcnt vmcnt(0) lgkmcnt(0)
	ds_write2_b64 v19, v[20:21], v[22:23] offset1:1
.LBB189_57:
	s_or_b64 exec, exec, s[14:15]
	v_add_u32_e32 v19, 24, v5
	v_cmp_le_i32_e64 s[14:15], s25, v19
	s_and_saveexec_b64 s[36:37], s[14:15]
	s_xor_b64 s[14:15], exec, s[36:37]
	s_cbranch_execz .LBB189_59
; %bb.58:
	v_mov_b32_e32 v20, 0
	v_mov_b32_e32 v21, v20
	;; [unrolled: 1-line block ×4, first 2 shown]
	ds_write_b128 v7, v[20:23] offset:12672
                                        ; implicit-def: $vgpr7
.LBB189_59:
	s_andn2_saveexec_b64 s[14:15], s[14:15]
	s_cbranch_execz .LBB189_61
; %bb.60:
	s_mul_i32 s36, s26, 24
	s_ashr_i32 s37, s36, 31
	v_lshl_add_u64 v[20:21], s[36:37], 4, v[8:9]
	flat_load_dwordx4 v[20:23], v[20:21]
	v_add_u32_e32 v7, 0x3180, v7
	s_waitcnt vmcnt(0) lgkmcnt(0)
	ds_write2_b64 v7, v[20:21], v[22:23] offset1:1
.LBB189_61:
	s_or_b64 exec, exec, s[14:15]
	v_mov_b32_e32 v7, 0
	v_lshl_add_u64 v[8:9], v[8:9], 0, v[6:7]
	s_lshl_b64 s[14:15], s[16:17], 4
	v_mov_b32_e32 v7, s15
	v_subrev_co_u32_e64 v8, s[14:15], s14, v8
	s_nop 1
	v_subb_co_u32_e64 v9, s[14:15], v9, v7, s[14:15]
	s_mov_b64 s[14:15], 0x210
	s_nop 0
	v_lshl_add_u64 v[8:9], v[8:9], 0, s[14:15]
	v_cndmask_b32_e32 v9, v9, v11, vcc
	v_cndmask_b32_e32 v8, v8, v10, vcc
	s_branch .LBB189_64
.LBB189_62:
                                        ; implicit-def: $vgpr8_vgpr9
	s_cbranch_execz .LBB189_64
; %bb.63:
	flat_load_dwordx4 v[20:23], v[10:11]
	s_lshl_b32 s14, s26, 3
	v_add_lshl_u32 v7, v14, v4, 4
	s_ashr_i32 s15, s14, 31
	v_lshl_add_u64 v[8:9], s[14:15], 4, v[12:13]
	s_ashr_i32 s27, s26, 31
	v_add_u32_e32 v12, 0x1080, v7
	s_lshl_b64 s[14:15], s[26:27], 7
	s_waitcnt vmcnt(0) lgkmcnt(0)
	ds_write2_b64 v7, v[20:21], v[22:23] offset1:1
	flat_load_dwordx4 v[20:23], v[8:9] offset:512
	v_lshl_add_u64 v[8:9], v[8:9], 0, s[14:15]
	s_waitcnt vmcnt(0) lgkmcnt(0)
	ds_write2_b64 v12, v[20:21], v[22:23] offset1:1
	flat_load_dwordx4 v[20:23], v[8:9] offset:512
	v_add_u32_e32 v12, 0x2100, v7
	v_lshl_add_u64 v[8:9], v[8:9], 0, s[14:15]
	v_add_u32_e32 v7, 0x3180, v7
	s_waitcnt vmcnt(0) lgkmcnt(0)
	ds_write2_b64 v12, v[20:21], v[22:23] offset1:1
	flat_load_dwordx4 v[20:23], v[8:9] offset:512
	v_mov_b64_e32 v[8:9], v[10:11]
	s_waitcnt vmcnt(0) lgkmcnt(0)
	ds_write2_b64 v7, v[20:21], v[22:23] offset1:1
.LBB189_64:
	s_waitcnt lgkmcnt(0)
	s_barrier
	s_and_saveexec_b64 s[14:15], s[4:5]
	s_cbranch_execnz .LBB189_89
; %bb.65:
	s_or_b64 exec, exec, s[14:15]
	s_and_saveexec_b64 s[4:5], s[6:7]
	s_cbranch_execnz .LBB189_90
.LBB189_66:
	s_or_b64 exec, exec, s[4:5]
	s_and_saveexec_b64 s[4:5], s[8:9]
	s_cbranch_execnz .LBB189_91
.LBB189_67:
	s_or_b64 exec, exec, s[4:5]
	v_add_u32_e32 v12, 0x4700, v18
	s_and_saveexec_b64 s[4:5], s[10:11]
	s_cbranch_execz .LBB189_69
.LBB189_68:
	ds_read_b128 v[18:21], v16
	s_waitcnt lgkmcnt(0)
	ds_write_b128 v17, v[18:21] offset:48
.LBB189_69:
	s_or_b64 exec, exec, s[4:5]
	s_waitcnt lgkmcnt(0)
	s_barrier
	ds_read_b128 v[18:21], v12 offset:512
	ds_read_b128 v[26:29], v24
	ds_read_b128 v[30:33], v12 offset:528
	ds_read_b128 v[46:49], v12 offset:544
	;; [unrolled: 1-line block ×3, first 2 shown]
	ds_read_b128 v[54:57], v25
	v_cmp_eq_u32_e64 s[4:5], 1, v5
	s_waitcnt lgkmcnt(4)
	v_mul_f64 v[10:11], v[20:21], v[28:29]
	v_fma_f64 v[10:11], v[18:19], v[26:27], -v[10:11]
	v_mul_f64 v[18:19], v[18:19], v[28:29]
	v_fmac_f64_e32 v[18:19], v[20:21], v[26:27]
	v_add_f64 v[22:23], v[18:19], 0
	s_waitcnt lgkmcnt(0)
	v_mul_f64 v[18:19], v[32:33], v[56:57]
	v_fma_f64 v[26:27], v[30:31], v[54:55], -v[18:19]
	v_mul_f64 v[28:29], v[30:31], v[56:57]
	ds_read_b128 v[18:21], v25 offset:528
	v_add_f64 v[10:11], v[10:11], 0
	v_fmac_f64_e32 v[28:29], v[32:33], v[54:55]
	v_add_f64 v[10:11], v[10:11], v[26:27]
	v_add_f64 v[22:23], v[22:23], v[28:29]
	ds_read_b128 v[26:29], v16
	s_waitcnt lgkmcnt(1)
	v_mul_f64 v[30:31], v[48:49], v[20:21]
	v_mul_f64 v[20:21], v[46:47], v[20:21]
	v_fmac_f64_e32 v[20:21], v[48:49], v[18:19]
	v_fma_f64 v[30:31], v[46:47], v[18:19], -v[30:31]
	v_add_f64 v[20:21], v[22:23], v[20:21]
	s_waitcnt lgkmcnt(0)
	v_mul_f64 v[18:19], v[52:53], v[28:29]
	v_mul_f64 v[22:23], v[50:51], v[28:29]
	v_add_f64 v[10:11], v[10:11], v[30:31]
	v_fma_f64 v[18:19], v[50:51], v[26:27], -v[18:19]
	v_fmac_f64_e32 v[22:23], v[52:53], v[26:27]
	v_add_f64 v[18:19], v[10:11], v[18:19]
	v_add_f64 v[20:21], v[20:21], v[22:23]
	s_barrier
	ds_write_b128 v44, v[18:21]
	s_waitcnt lgkmcnt(0)
	s_barrier
	s_and_saveexec_b64 s[6:7], s[4:5]
	s_cbranch_execz .LBB189_71
; %bb.70:
	ds_read_b128 v[0:3], v43
	ds_read_b128 v[18:21], v43 offset:16
	ds_read_b128 v[26:29], v43 offset:32
	ds_read_b128 v[30:33], v43 offset:48
	s_waitcnt lgkmcnt(2)
	v_add_f64 v[0:1], v[18:19], v[0:1]
	v_add_f64 v[10:11], v[20:21], v[2:3]
	s_waitcnt lgkmcnt(1)
	v_add_f64 v[18:19], v[0:1], v[26:27]
	ds_read_b128 v[0:3], v43 offset:64
	v_add_f64 v[10:11], v[10:11], v[28:29]
	s_waitcnt lgkmcnt(1)
	v_add_f64 v[22:23], v[18:19], v[30:31]
	ds_read_b128 v[18:21], v43 offset:80
	v_add_f64 v[10:11], v[10:11], v[32:33]
	ds_read_b128 v[26:29], v43 offset:96
	s_waitcnt lgkmcnt(2)
	v_add_f64 v[22:23], v[22:23], v[0:1]
	v_add_f64 v[10:11], v[10:11], v[2:3]
	ds_read_b128 v[0:3], v43 offset:112
	s_waitcnt lgkmcnt(2)
	v_add_f64 v[18:19], v[22:23], v[18:19]
	v_add_f64 v[10:11], v[10:11], v[20:21]
	s_waitcnt lgkmcnt(1)
	v_add_f64 v[18:19], v[18:19], v[26:27]
	v_add_f64 v[10:11], v[10:11], v[28:29]
	;; [unrolled: 3-line block ×3, first 2 shown]
.LBB189_71:
	s_or_b64 exec, exec, s[6:7]
	s_movk_i32 s6, 0xfe00
	s_mov_b32 s7, -1
	v_lshl_add_u64 v[8:9], v[8:9], 0, s[6:7]
	s_and_b64 vcc, exec, s[30:31]
	s_barrier
	s_cbranch_vccz .LBB189_92
; %bb.72:
	v_sub_co_u32_e32 v10, vcc, v8, v6
	s_ashr_i32 s17, s16, 31
	s_nop 0
	v_subbrev_co_u32_e32 v11, vcc, 0, v9, vcc
	v_lshl_add_u64 v[10:11], s[16:17], 4, v[10:11]
	v_lshl_add_u64 v[10:11], v[10:11], 0, -16
	v_cmp_gt_i32_e32 vcc, s16, v4
	s_sub_i32 s8, s16, 32
	v_cmp_le_i32_e64 s[6:7], s8, v5
	v_cndmask_b32_e32 v11, v11, v9, vcc
	v_cndmask_b32_e32 v10, v10, v8, vcc
	v_add_lshl_u32 v7, v14, v4, 4
	s_and_saveexec_b64 s[10:11], s[6:7]
	s_xor_b64 s[6:7], exec, s[10:11]
	s_cbranch_execz .LBB189_74
; %bb.73:
	v_mov_b32_e32 v18, 0
	v_mov_b32_e32 v19, v18
	;; [unrolled: 1-line block ×4, first 2 shown]
	ds_write_b128 v7, v[18:21]
.LBB189_74:
	s_andn2_saveexec_b64 s[6:7], s[6:7]
	s_cbranch_execz .LBB189_76
; %bb.75:
	flat_load_dwordx4 v[18:21], v[10:11]
	s_waitcnt vmcnt(0) lgkmcnt(0)
	ds_write2_b64 v7, v[18:19], v[20:21] offset1:1
.LBB189_76:
	s_or_b64 exec, exec, s[6:7]
	v_add_u32_e32 v13, 8, v5
	v_cmp_le_i32_e64 s[6:7], s8, v13
	s_and_saveexec_b64 s[10:11], s[6:7]
	s_xor_b64 s[6:7], exec, s[10:11]
	s_cbranch_execz .LBB189_78
; %bb.77:
	v_mul_u32_u24_e32 v17, 33, v13
	v_mov_b32_e32 v18, 0
	v_add_lshl_u32 v17, v17, v4, 4
	v_mov_b32_e32 v19, v18
	v_mov_b32_e32 v20, v18
	;; [unrolled: 1-line block ×3, first 2 shown]
	ds_write_b128 v17, v[18:21]
.LBB189_78:
	s_andn2_saveexec_b64 s[6:7], s[6:7]
	s_cbranch_execz .LBB189_80
; %bb.79:
	s_lshl_b32 s10, s26, 3
	s_ashr_i32 s11, s10, 31
	v_lshl_add_u64 v[18:19], s[10:11], 4, v[10:11]
	flat_load_dwordx4 v[18:21], v[18:19]
	v_add_u32_e32 v17, 0x1080, v7
	s_waitcnt vmcnt(0) lgkmcnt(0)
	ds_write2_b64 v17, v[18:19], v[20:21] offset1:1
.LBB189_80:
	s_or_b64 exec, exec, s[6:7]
	v_add_u32_e32 v17, 16, v5
	v_cmp_le_i32_e64 s[6:7], s8, v17
	s_and_saveexec_b64 s[10:11], s[6:7]
	s_xor_b64 s[6:7], exec, s[10:11]
	s_cbranch_execz .LBB189_82
; %bb.81:
	v_mul_u32_u24_e32 v18, 33, v17
	v_add_lshl_u32 v22, v18, v4, 4
	v_mov_b32_e32 v18, 0
	v_mov_b32_e32 v19, v18
	;; [unrolled: 1-line block ×4, first 2 shown]
	ds_write_b128 v22, v[18:21]
.LBB189_82:
	s_andn2_saveexec_b64 s[6:7], s[6:7]
	s_cbranch_execz .LBB189_84
; %bb.83:
	s_lshl_b32 s10, s26, 4
	s_ashr_i32 s11, s10, 31
	v_lshl_add_u64 v[18:19], s[10:11], 4, v[10:11]
	flat_load_dwordx4 v[18:21], v[18:19]
	v_add_u32_e32 v22, 0x2100, v7
	s_waitcnt vmcnt(0) lgkmcnt(0)
	ds_write2_b64 v22, v[18:19], v[20:21] offset1:1
.LBB189_84:
	s_or_b64 exec, exec, s[6:7]
	v_add_u32_e32 v18, 24, v5
	v_cmp_le_i32_e64 s[6:7], s8, v18
	s_and_saveexec_b64 s[8:9], s[6:7]
	s_xor_b64 s[6:7], exec, s[8:9]
	s_cbranch_execz .LBB189_86
; %bb.85:
	v_mov_b32_e32 v20, 0
	v_mov_b32_e32 v21, v20
	;; [unrolled: 1-line block ×4, first 2 shown]
	ds_write_b128 v7, v[20:23] offset:12672
                                        ; implicit-def: $vgpr7
.LBB189_86:
	s_andn2_saveexec_b64 s[6:7], s[6:7]
	s_cbranch_execz .LBB189_88
; %bb.87:
	s_mul_i32 s8, s26, 24
	s_ashr_i32 s9, s8, 31
	v_lshl_add_u64 v[20:21], s[8:9], 4, v[10:11]
	flat_load_dwordx4 v[20:23], v[20:21]
	v_add_u32_e32 v7, 0x3180, v7
	s_waitcnt vmcnt(0) lgkmcnt(0)
	ds_write2_b64 v7, v[20:21], v[22:23] offset1:1
.LBB189_88:
	s_or_b64 exec, exec, s[6:7]
	v_mov_b32_e32 v7, 0
	v_lshl_add_u64 v[6:7], v[10:11], 0, v[6:7]
	s_lshl_b64 s[6:7], s[16:17], 4
	v_mov_b32_e32 v10, s7
	v_subrev_co_u32_e64 v6, s[6:7], s6, v6
	s_nop 1
	v_subb_co_u32_e64 v7, s[6:7], v7, v10, s[6:7]
	v_lshl_add_u64 v[6:7], v[6:7], 0, 16
	v_cndmask_b32_e32 v41, v7, v9, vcc
	v_cndmask_b32_e32 v40, v6, v8, vcc
	s_branch .LBB189_94
.LBB189_89:
	ds_read_b128 v[10:13], v24
	s_waitcnt lgkmcnt(0)
	ds_write_b128 v17, v[10:13]
	s_or_b64 exec, exec, s[14:15]
	s_and_saveexec_b64 s[4:5], s[6:7]
	s_cbranch_execz .LBB189_66
.LBB189_90:
	ds_read_b128 v[10:13], v25
	s_waitcnt lgkmcnt(0)
	ds_write_b128 v17, v[10:13] offset:16
	s_or_b64 exec, exec, s[4:5]
	s_and_saveexec_b64 s[4:5], s[8:9]
	s_cbranch_execz .LBB189_67
.LBB189_91:
	v_add_u32_e32 v7, 0x210, v25
	ds_read_b128 v[10:13], v7
	s_waitcnt lgkmcnt(0)
	ds_write_b128 v17, v[10:13] offset:32
	s_or_b64 exec, exec, s[4:5]
	v_add_u32_e32 v12, 0x4700, v18
	s_and_saveexec_b64 s[4:5], s[10:11]
	s_cbranch_execnz .LBB189_68
	s_branch .LBB189_69
.LBB189_92:
                                        ; implicit-def: $vgpr40_vgpr41
                                        ; implicit-def: $vgpr13
                                        ; implicit-def: $vgpr17
                                        ; implicit-def: $vgpr18
	s_cbranch_execz .LBB189_94
; %bb.93:
	flat_load_dwordx4 v[18:21], v[8:9]
	s_lshl_b32 s6, s26, 3
	v_add_lshl_u32 v4, v14, v4, 4
	s_ashr_i32 s7, s6, 31
	v_lshl_add_u64 v[6:7], s[6:7], 4, v[8:9]
	s_ashr_i32 s27, s26, 31
	v_add_u32_e32 v10, 0x1080, v4
	s_lshl_b64 s[6:7], s[26:27], 7
	v_add_u32_e32 v13, 8, v5
	v_add_u32_e32 v17, 16, v5
	v_mov_b64_e32 v[40:41], v[8:9]
	s_waitcnt vmcnt(0) lgkmcnt(0)
	ds_write2_b64 v4, v[18:19], v[20:21] offset1:1
	flat_load_dwordx4 v[18:21], v[6:7]
	v_lshl_add_u64 v[6:7], v[6:7], 0, s[6:7]
	s_waitcnt vmcnt(0) lgkmcnt(0)
	ds_write2_b64 v10, v[18:19], v[20:21] offset1:1
	flat_load_dwordx4 v[18:21], v[6:7]
	v_add_u32_e32 v10, 0x2100, v4
	v_lshl_add_u64 v[6:7], v[6:7], 0, s[6:7]
	v_add_u32_e32 v4, 0x3180, v4
	s_waitcnt vmcnt(0) lgkmcnt(0)
	ds_write2_b64 v10, v[18:19], v[20:21] offset1:1
	flat_load_dwordx4 v[20:23], v[6:7]
	v_add_u32_e32 v18, 24, v5
	s_waitcnt vmcnt(0) lgkmcnt(0)
	ds_write2_b64 v4, v[20:21], v[22:23] offset1:1
.LBB189_94:
	v_lshlrev_b32_e32 v4, 4, v5
	s_waitcnt lgkmcnt(0)
	s_barrier
	ds_read_b128 v[46:49], v44
	ds_read_b128 v[50:53], v4 offset:18176
	v_add_lshl_u32 v4, v13, v15, 4
	v_lshlrev_b32_e32 v10, 4, v13
	ds_read_b128 v[54:57], v4
	ds_read_b128 v[4:7], v25 offset:528
	ds_read_b128 v[58:61], v10 offset:18176
	s_waitcnt lgkmcnt(3)
	v_mul_f64 v[8:9], v[48:49], v[52:53]
	v_add_lshl_u32 v10, v17, v15, 4
	v_lshlrev_b32_e32 v13, 4, v17
	v_fma_f64 v[8:9], v[46:47], v[50:51], -v[8:9]
	ds_read_b128 v[62:65], v10
	ds_read_b128 v[66:69], v13 offset:18176
	s_waitcnt lgkmcnt(2)
	v_mul_f64 v[10:11], v[56:57], v[60:61]
	v_add_f64 v[8:9], v[8:9], 0
	v_fma_f64 v[10:11], v[54:55], v[58:59], -v[10:11]
	v_add_f64 v[8:9], v[8:9], v[10:11]
	v_add_lshl_u32 v10, v18, v15, 4
	v_lshlrev_b32_e32 v13, 4, v18
	v_mul_f64 v[74:75], v[46:47], v[52:53]
	v_mul_f64 v[60:61], v[54:55], v[60:61]
	ds_read_b128 v[52:55], v10
	ds_read_b128 v[70:73], v13 offset:18176
	s_waitcnt lgkmcnt(2)
	v_mul_f64 v[10:11], v[64:65], v[68:69]
	v_fma_f64 v[10:11], v[62:63], v[66:67], -v[10:11]
	v_add_f64 v[14:15], v[8:9], v[10:11]
	ds_read_b128 v[8:11], v16
	s_waitcnt lgkmcnt(1)
	v_mul_f64 v[16:17], v[54:55], v[72:73]
	v_fma_f64 v[16:17], v[52:53], v[70:71], -v[16:17]
	v_add_f64 v[46:47], v[14:15], v[16:17]
	ds_read_b128 v[20:23], v12 offset:528
	ds_read_b128 v[16:19], v12 offset:544
	;; [unrolled: 1-line block ×3, first 2 shown]
	ds_read_b128 v[32:35], v24
	ds_read_b128 v[12:15], v12 offset:560
	ds_read_b128 v[24:27], v25
	v_fmac_f64_e32 v[74:75], v[48:49], v[50:51]
	v_mul_f64 v[62:63], v[62:63], v[68:69]
	v_add_f64 v[48:49], v[74:75], 0
	v_fmac_f64_e32 v[60:61], v[56:57], v[58:59]
	v_mul_f64 v[52:53], v[52:53], v[72:73]
	v_add_f64 v[48:49], v[48:49], v[60:61]
	v_fmac_f64_e32 v[62:63], v[64:65], v[66:67]
	v_add_f64 v[48:49], v[48:49], v[62:63]
	v_fmac_f64_e32 v[52:53], v[54:55], v[70:71]
	v_add_f64 v[48:49], v[48:49], v[52:53]
	s_waitcnt lgkmcnt(0)
	s_barrier
	ds_write_b128 v44, v[46:49]
	s_waitcnt lgkmcnt(0)
	s_barrier
	s_and_saveexec_b64 s[6:7], s[4:5]
	s_cbranch_execz .LBB189_96
; %bb.95:
	ds_read_b128 v[46:49], v43
	ds_read_b128 v[50:53], v43 offset:16
	ds_read_b128 v[54:57], v43 offset:32
	;; [unrolled: 1-line block ×3, first 2 shown]
	s_waitcnt lgkmcnt(3)
	v_add_f64 v[0:1], v[0:1], v[46:47]
	v_add_f64 v[2:3], v[2:3], v[48:49]
	s_waitcnt lgkmcnt(2)
	v_add_f64 v[0:1], v[0:1], v[50:51]
	v_add_f64 v[46:47], v[2:3], v[52:53]
	s_waitcnt lgkmcnt(1)
	v_add_f64 v[48:49], v[0:1], v[54:55]
	ds_read_b128 v[0:3], v43 offset:64
	v_add_f64 v[46:47], v[46:47], v[56:57]
	s_waitcnt lgkmcnt(1)
	v_add_f64 v[50:51], v[48:49], v[58:59]
	v_add_f64 v[54:55], v[46:47], v[60:61]
	ds_read_b128 v[46:49], v43 offset:80
	s_waitcnt lgkmcnt(1)
	v_add_f64 v[56:57], v[50:51], v[0:1]
	ds_read_b128 v[50:53], v43 offset:96
	v_add_f64 v[54:55], v[54:55], v[2:3]
	ds_read_b128 v[0:3], v43 offset:112
	s_waitcnt lgkmcnt(2)
	v_add_f64 v[46:47], v[56:57], v[46:47]
	v_add_f64 v[48:49], v[54:55], v[48:49]
	s_waitcnt lgkmcnt(1)
	v_add_f64 v[46:47], v[46:47], v[50:51]
	v_add_f64 v[48:49], v[48:49], v[52:53]
	;; [unrolled: 3-line block ×3, first 2 shown]
.LBB189_96:
	s_or_b64 exec, exec, s[6:7]
	v_mul_f64 v[46:47], v[30:31], v[34:35]
	v_fma_f64 v[46:47], v[28:29], v[32:33], -v[46:47]
	v_mul_f64 v[28:29], v[28:29], v[34:35]
	v_fmac_f64_e32 v[28:29], v[30:31], v[32:33]
	v_mul_f64 v[32:33], v[22:23], v[26:27]
	v_fma_f64 v[32:33], v[20:21], v[24:25], -v[32:33]
	v_mul_f64 v[20:21], v[20:21], v[26:27]
	v_add_f64 v[30:31], v[46:47], 0
	v_add_f64 v[28:29], v[28:29], 0
	v_fmac_f64_e32 v[20:21], v[22:23], v[24:25]
	v_mul_f64 v[24:25], v[18:19], v[6:7]
	v_mul_f64 v[6:7], v[16:17], v[6:7]
	v_add_f64 v[22:23], v[30:31], v[32:33]
	v_add_f64 v[20:21], v[28:29], v[20:21]
	v_fma_f64 v[24:25], v[16:17], v[4:5], -v[24:25]
	v_fmac_f64_e32 v[6:7], v[18:19], v[4:5]
	v_mul_f64 v[16:17], v[14:15], v[10:11]
	v_mul_f64 v[10:11], v[12:13], v[10:11]
	v_add_f64 v[4:5], v[22:23], v[24:25]
	v_add_f64 v[6:7], v[20:21], v[6:7]
	v_fma_f64 v[16:17], v[12:13], v[8:9], -v[16:17]
	v_fmac_f64_e32 v[10:11], v[14:15], v[8:9]
	v_add_f64 v[4:5], v[4:5], v[16:17]
	v_add_f64 v[6:7], v[6:7], v[10:11]
	s_barrier
	ds_write_b128 v44, v[4:7]
	s_waitcnt lgkmcnt(0)
	s_barrier
	s_and_saveexec_b64 s[4:5], s[0:1]
	s_cbranch_execz .LBB189_98
; %bb.97:
	ds_read_b128 v[4:7], v43
	ds_read_b128 v[8:11], v43 offset:16
	ds_read_b128 v[12:15], v43 offset:32
	;; [unrolled: 1-line block ×3, first 2 shown]
	s_waitcnt lgkmcnt(3)
	v_add_f64 v[0:1], v[0:1], v[4:5]
	v_add_f64 v[2:3], v[2:3], v[6:7]
	s_waitcnt lgkmcnt(2)
	v_add_f64 v[0:1], v[0:1], v[8:9]
	v_add_f64 v[4:5], v[2:3], v[10:11]
	s_waitcnt lgkmcnt(1)
	v_add_f64 v[6:7], v[0:1], v[12:13]
	ds_read_b128 v[0:3], v43 offset:64
	v_add_f64 v[4:5], v[4:5], v[14:15]
	s_waitcnt lgkmcnt(1)
	v_add_f64 v[8:9], v[6:7], v[16:17]
	v_add_f64 v[12:13], v[4:5], v[18:19]
	ds_read_b128 v[4:7], v43 offset:80
	s_waitcnt lgkmcnt(1)
	v_add_f64 v[14:15], v[8:9], v[0:1]
	ds_read_b128 v[8:11], v43 offset:96
	v_add_f64 v[12:13], v[12:13], v[2:3]
	ds_read_b128 v[0:3], v43 offset:112
	s_waitcnt lgkmcnt(2)
	v_add_f64 v[4:5], v[14:15], v[4:5]
	v_add_f64 v[6:7], v[12:13], v[6:7]
	s_waitcnt lgkmcnt(1)
	v_add_f64 v[4:5], v[4:5], v[8:9]
	v_add_f64 v[6:7], v[6:7], v[10:11]
	;; [unrolled: 3-line block ×3, first 2 shown]
.LBB189_98:
	s_or_b64 exec, exec, s[4:5]
	s_mul_hi_u32 s0, s34, s20
	s_mul_i32 s35, s35, s20
	s_add_i32 s0, s0, s35
	s_mul_i32 s4, s34, s20
	s_mul_i32 s0, s0, s3
	s_mul_hi_u32 s1, s4, s3
	s_add_i32 s1, s1, s0
	s_mul_i32 s0, s4, s3
	s_lshl_b64 s[0:1], s[0:1], 4
	s_add_u32 s4, s22, s0
	s_addc_u32 s5, s23, s1
	s_mul_hi_i32 s1, s34, s2
	s_mul_i32 s0, s34, s2
	s_lshl_b64 s[0:1], s[0:1], 4
	s_add_u32 s6, s4, s0
	s_addc_u32 s7, s5, s1
	s_add_i32 s8, s2, 1
	s_cmp_ge_u32 s8, s3
	v_lshlrev_b32_e32 v169, 4, v168
	s_barrier
	s_cbranch_scc1 .LBB189_156
; %bb.99:
	s_mul_i32 s0, s24, s21
	v_and_b32_e32 v8, 48, v168
	s_ashr_i32 s1, s0, 31
	v_and_b32_e32 v6, 15, v168
	v_lshlrev_b32_e32 v9, 4, v8
	s_movk_i32 s9, 0x430
	s_lshl_b64 s[0:1], s[0:1], 4
	v_lshrrev_b32_e32 v7, 4, v42
	v_mad_u32_u24 v219, v6, s9, v9
	v_or_b32_e32 v9, 0xf0, v169
	v_lshlrev_b32_e32 v216, 2, v167
	v_mov_b32_e32 v4, s1
	v_subrev_co_u32_e32 v170, vcc, s0, v38
	s_lshl_b32 s30, s21, 6
	s_lshl_b32 s4, s26, 4
	v_mad_u32_u24 v220, v6, s9, v9
	v_lshlrev_b32_e32 v9, 6, v7
	s_ashr_i32 s27, s26, 31
	s_lshl_b32 s22, s26, 1
	v_mul_i32_i24_e32 v12, 0xffffffd0, v7
	s_mul_i32 s34, s26, 3
	s_mul_i32 s21, s21, s8
	v_add_u32_e32 v7, s24, v8
	v_subb_co_u32_e32 v171, vcc, v39, v4, vcc
	v_mad_u64_u32 v[4:5], s[0:1], v216, s26, v[168:169]
	s_add_i32 s17, s3, -2
	s_ashr_i32 s5, s4, 31
	v_mad_u32_u24 v221, v6, s9, v9
	s_ashr_i32 s23, s22, 31
	s_ashr_i32 s35, s34, 31
	s_lshl_b64 s[14:15], s[26:27], 4
	s_lshl_b32 s8, s21, 6
	v_add3_u32 v172, v7, v6, 64
	v_lshlrev_b64 v[6:7], 4, v[36:37]
	s_lshl_b64 s[24:25], s[26:27], 5
	s_lshl_b64 s[36:37], s[28:29], 4
	v_ashrrev_i32_e32 v5, 31, v4
	v_sub_co_u32_e32 v174, vcc, 0, v6
	s_add_u32 s20, s24, s36
	v_mov_b32_e32 v9, 0x4300
	v_subb_co_u32_e32 v175, vcc, 0, v7, vcc
	s_addc_u32 s21, s25, s37
	v_lshlrev_b64 v[6:7], 4, v[4:5]
	v_lshl_add_u64 v[4:5], s[28:29], 0, v[4:5]
	v_lshl_add_u32 v225, v167, 6, v9
	s_movk_i32 s9, 0x10c0
	v_lshl_add_u64 v[8:9], s[20:21], 0, v[6:7]
	v_lshlrev_b64 v[4:5], 4, v[4:5]
	v_mad_u32_u24 v226, v167, s9, v169
	v_lshl_add_u64 v[176:177], v[40:41], 0, v[8:9]
	s_mul_i32 s9, s26, 0x300
	v_mad_i64_i32 v[8:9], s[26:27], s4, 48, v[4:5]
	s_lshl_b64 s[10:11], s[4:5], 6
	s_lshl_b64 s[26:27], s[34:35], 4
	s_add_u32 s28, s14, s36
	v_lshl_add_u64 v[10:11], v[8:9], 0, s[26:27]
	s_addc_u32 s29, s15, s37
	v_lshl_add_u64 v[178:179], v[40:41], 0, v[10:11]
	v_lshl_add_u64 v[10:11], s[28:29], 0, v[6:7]
	s_lshl_b64 s[22:23], s[22:23], 4
	v_lshl_add_u64 v[180:181], v[40:41], 0, v[10:11]
	v_lshl_add_u64 v[10:11], v[8:9], 0, s[22:23]
	s_add_u32 s34, s36, s22
	v_lshl_add_u64 v[182:183], v[40:41], 0, v[10:11]
	v_lshl_add_u64 v[10:11], s[36:37], 0, v[6:7]
	s_addc_u32 s35, s37, s23
	v_lshl_add_u64 v[184:185], v[40:41], 0, v[10:11]
	v_lshl_add_u64 v[10:11], s[34:35], 0, v[6:7]
	s_add_u32 s34, s36, s26
	v_lshl_add_u64 v[186:187], v[40:41], 0, v[8:9]
	v_lshl_add_u64 v[8:9], v[8:9], 0, s[14:15]
	s_addc_u32 s35, s37, s27
	v_lshl_add_u64 v[190:191], v[40:41], 0, v[8:9]
	v_lshl_add_u64 v[8:9], s[34:35], 0, v[6:7]
	s_lshl_b64 s[34:35], s[4:5], 4
	s_add_u32 s38, s20, s34
	s_addc_u32 s39, s21, s35
	s_mul_hi_i32 s31, s4, 48
	s_add_u32 s24, s9, s24
	s_addc_u32 s25, s31, s25
	s_lshl_b64 s[4:5], s[4:5], 5
	v_lshl_add_u64 v[4:5], s[24:25], 0, v[4:5]
	s_add_u32 s24, s4, s36
	s_addc_u32 s25, s5, s37
	v_lshl_add_u64 v[192:193], v[40:41], 0, v[8:9]
	v_lshl_add_u64 v[8:9], s[38:39], 0, v[6:7]
	s_add_u32 s38, s24, s26
	s_addc_u32 s39, s25, s27
	s_add_u32 s28, s28, s34
	v_lshl_add_u64 v[196:197], v[40:41], 0, v[4:5]
	v_lshl_add_u64 v[4:5], s[38:39], 0, v[6:7]
	s_addc_u32 s29, s29, s35
	v_lshl_add_u64 v[198:199], v[40:41], 0, v[4:5]
	v_lshl_add_u64 v[4:5], s[28:29], 0, v[6:7]
	s_add_u32 s28, s24, s22
	s_addc_u32 s29, s25, s23
	v_lshl_add_u64 v[200:201], v[40:41], 0, v[4:5]
	v_lshl_add_u64 v[4:5], s[28:29], 0, v[6:7]
	s_add_u32 s28, s36, s34
	s_addc_u32 s29, s37, s35
	s_add_u32 s22, s28, s22
	v_lshl_add_u64 v[202:203], v[40:41], 0, v[4:5]
	v_lshl_add_u64 v[4:5], s[28:29], 0, v[6:7]
	s_addc_u32 s23, s29, s23
	v_lshl_add_u64 v[204:205], v[40:41], 0, v[4:5]
	v_lshl_add_u64 v[4:5], s[24:25], 0, v[6:7]
	s_add_u32 s14, s24, s14
	v_lshl_add_u64 v[206:207], v[40:41], 0, v[4:5]
	v_lshl_add_u64 v[4:5], s[22:23], 0, v[6:7]
	s_addc_u32 s15, s25, s15
	v_lshl_add_u64 v[208:209], v[40:41], 0, v[4:5]
	v_lshl_add_u64 v[4:5], s[14:15], 0, v[6:7]
	s_add_u32 s14, s28, s26
	s_addc_u32 s15, s29, s27
	s_add_u32 s4, s20, s4
	v_lshl_add_u64 v[210:211], v[40:41], 0, v[4:5]
	v_lshl_add_u64 v[4:5], s[14:15], 0, v[6:7]
	s_addc_u32 s5, s21, s5
	v_lshl_add_u64 v[212:213], v[40:41], 0, v[4:5]
	v_lshl_add_u64 v[4:5], s[4:5], 0, v[6:7]
	v_add_u32_e32 v217, 0x4300, v169
	v_add_u32_e32 v218, 0x4700, v169
	v_cmp_gt_u32_e64 s[0:1], 64, v42
	v_or_b32_e32 v222, 1, v216
	v_or_b32_e32 v223, 2, v216
	;; [unrolled: 1-line block ×3, first 2 shown]
	v_add_u32_e32 v227, 16, v216
	v_add_u32_e32 v228, 17, v216
	v_add_u32_e32 v229, 18, v216
	v_add_u32_e32 v230, 19, v216
	v_add_u32_e32 v231, 32, v216
	v_add_u32_e32 v232, 33, v216
	v_add_u32_e32 v233, 34, v216
	v_add_u32_e32 v234, 35, v216
	v_add_u32_e32 v235, 48, v216
	v_add_u32_e32 v236, 49, v216
	v_add_u32_e32 v237, 50, v216
	v_add_u32_e32 v238, 51, v216
	v_lshl_add_u64 v[188:189], v[40:41], 0, v[10:11]
	v_lshl_add_u64 v[194:195], v[40:41], 0, v[8:9]
	;; [unrolled: 1-line block ×3, first 2 shown]
	v_add_u32_e32 v239, v221, v12
	v_mov_b32_e32 v4, 0
	s_cmp_eq_u32 s17, s2
	s_cselect_b32 s26, s33, 0
	s_and_saveexec_b64 s[4:5], s[12:13]
	s_cbranch_execz .LBB189_104
.LBB189_100:
	s_cmp_lg_u32 s26, 0
	s_cselect_b64 s[14:15], -1, 0
	v_cmp_le_i32_e32 vcc, s26, v168
	s_and_b64 s[14:15], s[14:15], vcc
	s_and_saveexec_b64 s[20:21], s[14:15]
	s_xor_b64 s[14:15], exec, s[20:21]
	s_cbranch_execz .LBB189_102
; %bb.101:
	v_mov_b32_e32 v5, v4
	v_mov_b32_e32 v6, v4
	;; [unrolled: 1-line block ×3, first 2 shown]
	ds_write_b128 v217, v[4:7]
.LBB189_102:
	s_andn2_saveexec_b64 s[14:15], s[14:15]
	s_cbranch_execz .LBB189_104
; %bb.103:
	s_ashr_i32 s9, s8, 31
	v_lshl_add_u64 v[6:7], s[8:9], 4, v[170:171]
	flat_load_dwordx4 v[6:9], v[6:7]
	s_waitcnt vmcnt(0) lgkmcnt(0)
	ds_write2_b64 v217, v[6:7], v[8:9] offset1:1
.LBB189_104:                            ; =>This Inner Loop Header: Depth=1
	s_or_b64 exec, exec, s[4:5]
	s_cmp_eq_u32 s26, 0
	s_cselect_b64 s[14:15], -1, 0
	s_cmp_lg_u32 s26, 0
	s_cselect_b64 s[20:21], -1, 0
	v_lshl_add_u64 v[18:19], v[184:185], 0, v[174:175]
	s_and_b64 vcc, exec, s[20:21]
	s_waitcnt lgkmcnt(0)
	s_barrier
	s_cbranch_vccz .LBB189_112
; %bb.105:                              ;   in Loop: Header=BB189_104 Depth=1
	v_mov_b64_e32 v[10:11], 0
	v_cmp_gt_i32_e32 vcc, s26, v216
	v_mov_b64_e32 v[6:7], v[10:11]
	v_mov_b64_e32 v[8:9], v[10:11]
	s_and_saveexec_b64 s[4:5], vcc
	s_cbranch_execz .LBB189_107
; %bb.106:                              ;   in Loop: Header=BB189_104 Depth=1
	flat_load_dwordx4 v[6:9], v[18:19]
.LBB189_107:                            ;   in Loop: Header=BB189_104 Depth=1
	s_or_b64 exec, exec, s[4:5]
	v_cmp_gt_i32_e32 vcc, s26, v222
	v_mov_b64_e32 v[12:13], v[10:11]
	s_and_saveexec_b64 s[4:5], vcc
	s_cbranch_execz .LBB189_109
; %bb.108:                              ;   in Loop: Header=BB189_104 Depth=1
	v_lshl_add_u64 v[10:11], v[180:181], 0, v[174:175]
	flat_load_dwordx4 v[10:13], v[10:11]
.LBB189_109:                            ;   in Loop: Header=BB189_104 Depth=1
	s_or_b64 exec, exec, s[4:5]
	v_mov_b64_e32 v[14:15], 0
	v_cmp_gt_i32_e32 vcc, s26, v223
	s_mov_b64 s[24:25], 0
	v_mov_b64_e32 v[16:17], v[14:15]
	s_and_saveexec_b64 s[4:5], vcc
	s_cbranch_execz .LBB189_111
; %bb.110:                              ;   in Loop: Header=BB189_104 Depth=1
	v_lshl_add_u64 v[14:15], v[188:189], 0, v[174:175]
	flat_load_dwordx4 v[14:17], v[14:15]
.LBB189_111:                            ;   in Loop: Header=BB189_104 Depth=1
	s_or_b64 exec, exec, s[4:5]
	v_cmp_gt_i32_e64 s[4:5], s26, v224
	s_mov_b64 s[22:23], 0
	s_and_b64 vcc, exec, s[24:25]
	s_cbranch_vccnz .LBB189_113
	s_branch .LBB189_114
.LBB189_112:                            ;   in Loop: Header=BB189_104 Depth=1
	s_mov_b64 s[4:5], 0
                                        ; implicit-def: $sgpr22_sgpr23
                                        ; implicit-def: $vgpr16_vgpr17
                                        ; implicit-def: $vgpr12_vgpr13
                                        ; implicit-def: $vgpr8_vgpr9
	s_cbranch_execz .LBB189_114
.LBB189_113:                            ;   in Loop: Header=BB189_104 Depth=1
	s_waitcnt vmcnt(0) lgkmcnt(0)
	v_lshl_add_u64 v[10:11], v[180:181], 0, v[174:175]
	v_lshl_add_u64 v[14:15], v[176:177], 0, v[174:175]
	flat_load_dwordx4 v[6:9], v[18:19]
	s_or_b64 s[4:5], s[4:5], exec
	flat_load_dwordx4 v[10:13], v[10:11]
                                        ; implicit-def: $sgpr22_sgpr23
	s_nop 0
	flat_load_dwordx4 v[14:17], v[14:15]
.LBB189_114:                            ;   in Loop: Header=BB189_104 Depth=1
	v_mov_b64_e32 v[18:19], s[22:23]
	v_mov_b64_e32 v[20:21], s[22:23]
	s_and_saveexec_b64 s[22:23], s[4:5]
	s_cbranch_execz .LBB189_116
; %bb.115:                              ;   in Loop: Header=BB189_104 Depth=1
	v_lshl_add_u64 v[18:19], v[192:193], 0, v[174:175]
	flat_load_dwordx4 v[18:21], v[18:19]
.LBB189_116:                            ;   in Loop: Header=BB189_104 Depth=1
	s_or_b64 exec, exec, s[22:23]
	ds_read_b128 v[34:37], v218
	ds_read_b128 v[22:25], v225
	v_cndmask_b32_e64 v5, 0, 1, s[20:21]
	v_cmp_ne_u32_e64 s[4:5], 1, v5
	s_andn2_b64 vcc, exec, s[20:21]
	s_waitcnt vmcnt(0) lgkmcnt(0)
	v_mul_f64 v[26:27], v[8:9], v[36:37]
	v_mul_f64 v[28:29], v[6:7], v[36:37]
	;; [unrolled: 1-line block ×3, first 2 shown]
	v_fma_f64 v[26:27], v[6:7], v[34:35], -v[26:27]
	v_fmac_f64_e32 v[28:29], v[8:9], v[34:35]
	v_mul_f64 v[32:33], v[10:11], v[36:37]
	ds_write_b128 v226, v[26:29]
	v_fma_f64 v[30:31], v[10:11], v[34:35], -v[30:31]
	v_fmac_f64_e32 v[32:33], v[12:13], v[34:35]
	v_mul_f64 v[38:39], v[16:17], v[36:37]
	v_mul_f64 v[40:41], v[14:15], v[36:37]
	ds_read_b128 v[26:29], v225 offset:16
	ds_write_b128 v226, v[30:33] offset:1072
	v_fma_f64 v[38:39], v[14:15], v[34:35], -v[38:39]
	v_fmac_f64_e32 v[40:41], v[16:17], v[34:35]
	v_mul_f64 v[42:43], v[20:21], v[36:37]
	v_mul_f64 v[44:45], v[18:19], v[36:37]
	ds_read_b128 v[30:33], v225 offset:32
	ds_write_b128 v226, v[38:41] offset:2144
	v_fma_f64 v[42:43], v[18:19], v[34:35], -v[42:43]
	v_fmac_f64_e32 v[44:45], v[20:21], v[34:35]
	ds_read_b128 v[38:41], v225 offset:48
	ds_write_b128 v226, v[42:45] offset:3216
	s_waitcnt lgkmcnt(0)
	s_barrier
	ds_read_b128 v[98:101], v221
	ds_read_b128 v[94:97], v221 offset:16
	ds_read_b128 v[86:89], v221 offset:32
	ds_read_b128 v[82:85], v221 offset:48
	v_lshl_add_u64 v[50:51], v[204:205], 0, v[174:175]
	s_waitcnt lgkmcnt(0)
	s_barrier
	s_cbranch_vccnz .LBB189_124
; %bb.117:                              ;   in Loop: Header=BB189_104 Depth=1
	v_mov_b64_e32 v[42:43], 0
	v_cmp_gt_i32_e32 vcc, s26, v227
	v_mov_b64_e32 v[34:35], v[42:43]
	v_mov_b64_e32 v[36:37], v[42:43]
	s_and_saveexec_b64 s[20:21], vcc
	s_cbranch_execz .LBB189_119
; %bb.118:                              ;   in Loop: Header=BB189_104 Depth=1
	flat_load_dwordx4 v[34:37], v[50:51]
.LBB189_119:                            ;   in Loop: Header=BB189_104 Depth=1
	s_or_b64 exec, exec, s[20:21]
	v_cmp_gt_i32_e32 vcc, s26, v228
	v_mov_b64_e32 v[44:45], v[42:43]
	s_and_saveexec_b64 s[20:21], vcc
	s_cbranch_execz .LBB189_121
; %bb.120:                              ;   in Loop: Header=BB189_104 Depth=1
	v_lshl_add_u64 v[42:43], v[200:201], 0, v[174:175]
	flat_load_dwordx4 v[42:45], v[42:43]
.LBB189_121:                            ;   in Loop: Header=BB189_104 Depth=1
	s_or_b64 exec, exec, s[20:21]
	v_mov_b64_e32 v[46:47], 0
	v_cmp_gt_i32_e32 vcc, s26, v229
	s_mov_b64 s[24:25], 0
	v_mov_b64_e32 v[48:49], v[46:47]
	s_and_saveexec_b64 s[20:21], vcc
	s_cbranch_execz .LBB189_123
; %bb.122:                              ;   in Loop: Header=BB189_104 Depth=1
	v_lshl_add_u64 v[46:47], v[208:209], 0, v[174:175]
	flat_load_dwordx4 v[46:49], v[46:47]
.LBB189_123:                            ;   in Loop: Header=BB189_104 Depth=1
	s_or_b64 exec, exec, s[20:21]
	v_cmp_gt_i32_e64 s[20:21], s26, v230
	s_mov_b64 s[22:23], 0
	s_and_b64 vcc, exec, s[24:25]
	s_cbranch_vccnz .LBB189_125
	s_branch .LBB189_126
.LBB189_124:                            ;   in Loop: Header=BB189_104 Depth=1
	s_mov_b64 s[20:21], 0
                                        ; implicit-def: $sgpr22_sgpr23
                                        ; implicit-def: $vgpr48_vgpr49
                                        ; implicit-def: $vgpr44_vgpr45
                                        ; implicit-def: $vgpr36_vgpr37
	s_cbranch_execz .LBB189_126
.LBB189_125:                            ;   in Loop: Header=BB189_104 Depth=1
	s_waitcnt vmcnt(0) lgkmcnt(0)
	v_lshl_add_u64 v[42:43], v[200:201], 0, v[174:175]
	v_lshl_add_u64 v[46:47], v[194:195], 0, v[174:175]
	flat_load_dwordx4 v[34:37], v[50:51]
	s_or_b64 s[20:21], s[20:21], exec
	flat_load_dwordx4 v[42:45], v[42:43]
                                        ; implicit-def: $sgpr22_sgpr23
	s_nop 0
	flat_load_dwordx4 v[46:49], v[46:47]
.LBB189_126:                            ;   in Loop: Header=BB189_104 Depth=1
	v_mov_b64_e32 v[50:51], s[22:23]
	v_mov_b64_e32 v[52:53], s[22:23]
	s_and_saveexec_b64 s[22:23], s[20:21]
	s_cbranch_execz .LBB189_128
; %bb.127:                              ;   in Loop: Header=BB189_104 Depth=1
	v_lshl_add_u64 v[50:51], v[212:213], 0, v[174:175]
	flat_load_dwordx4 v[50:53], v[50:51]
.LBB189_128:                            ;   in Loop: Header=BB189_104 Depth=1
	s_or_b64 exec, exec, s[22:23]
	ds_read_b128 v[66:69], v218
	ds_read_b128 v[54:57], v225 offset:256
	s_and_b64 vcc, exec, s[4:5]
	v_lshl_add_u64 v[90:91], v[206:207], 0, v[174:175]
	s_waitcnt vmcnt(0) lgkmcnt(0)
	v_mul_f64 v[58:59], v[36:37], v[68:69]
	v_mul_f64 v[60:61], v[34:35], v[68:69]
	;; [unrolled: 1-line block ×3, first 2 shown]
	v_fma_f64 v[58:59], v[34:35], v[66:67], -v[58:59]
	v_fmac_f64_e32 v[60:61], v[36:37], v[66:67]
	v_mul_f64 v[64:65], v[42:43], v[68:69]
	ds_write_b128 v226, v[58:61]
	v_fma_f64 v[62:63], v[42:43], v[66:67], -v[62:63]
	v_fmac_f64_e32 v[64:65], v[44:45], v[66:67]
	v_mul_f64 v[70:71], v[48:49], v[68:69]
	v_mul_f64 v[72:73], v[46:47], v[68:69]
	ds_read_b128 v[58:61], v225 offset:272
	ds_write_b128 v226, v[62:65] offset:1072
	v_fma_f64 v[70:71], v[46:47], v[66:67], -v[70:71]
	v_fmac_f64_e32 v[72:73], v[48:49], v[66:67]
	ds_read_b128 v[62:65], v225 offset:288
	ds_write_b128 v226, v[70:73] offset:2144
	v_mul_f64 v[70:71], v[52:53], v[68:69]
	v_mul_f64 v[72:73], v[50:51], v[68:69]
	v_fma_f64 v[70:71], v[50:51], v[66:67], -v[70:71]
	v_fmac_f64_e32 v[72:73], v[52:53], v[66:67]
	ds_read_b128 v[74:77], v225 offset:304
	ds_write_b128 v226, v[70:73] offset:3216
	s_waitcnt lgkmcnt(0)
	s_barrier
	ds_read_b128 v[146:149], v221
	ds_read_b128 v[142:145], v221 offset:16
	ds_read_b128 v[138:141], v221 offset:32
	;; [unrolled: 1-line block ×3, first 2 shown]
	s_waitcnt lgkmcnt(0)
	s_barrier
	s_cbranch_vccnz .LBB189_136
; %bb.129:                              ;   in Loop: Header=BB189_104 Depth=1
	v_mov_b64_e32 v[70:71], 0
	v_cmp_gt_i32_e32 vcc, s26, v231
	v_mov_b64_e32 v[66:67], v[70:71]
	v_mov_b64_e32 v[68:69], v[70:71]
	s_and_saveexec_b64 s[20:21], vcc
	s_cbranch_execz .LBB189_131
; %bb.130:                              ;   in Loop: Header=BB189_104 Depth=1
	flat_load_dwordx4 v[66:69], v[90:91]
.LBB189_131:                            ;   in Loop: Header=BB189_104 Depth=1
	s_or_b64 exec, exec, s[20:21]
	v_cmp_gt_i32_e32 vcc, s26, v232
	v_mov_b64_e32 v[72:73], v[70:71]
	s_and_saveexec_b64 s[20:21], vcc
	s_cbranch_execz .LBB189_133
; %bb.132:                              ;   in Loop: Header=BB189_104 Depth=1
	v_lshl_add_u64 v[70:71], v[210:211], 0, v[174:175]
	flat_load_dwordx4 v[70:73], v[70:71]
.LBB189_133:                            ;   in Loop: Header=BB189_104 Depth=1
	s_or_b64 exec, exec, s[20:21]
	v_mov_b64_e32 v[78:79], 0
	v_cmp_gt_i32_e32 vcc, s26, v233
	s_mov_b64 s[24:25], 0
	v_mov_b64_e32 v[80:81], v[78:79]
	s_and_saveexec_b64 s[20:21], vcc
	s_cbranch_execz .LBB189_135
; %bb.134:                              ;   in Loop: Header=BB189_104 Depth=1
	v_lshl_add_u64 v[78:79], v[202:203], 0, v[174:175]
	flat_load_dwordx4 v[78:81], v[78:79]
.LBB189_135:                            ;   in Loop: Header=BB189_104 Depth=1
	s_or_b64 exec, exec, s[20:21]
	v_cmp_gt_i32_e64 s[20:21], s26, v234
	s_mov_b64 s[22:23], 0
	s_and_b64 vcc, exec, s[24:25]
	s_cbranch_vccnz .LBB189_137
	s_branch .LBB189_138
.LBB189_136:                            ;   in Loop: Header=BB189_104 Depth=1
	s_mov_b64 s[20:21], 0
                                        ; implicit-def: $sgpr22_sgpr23
                                        ; implicit-def: $vgpr80_vgpr81
                                        ; implicit-def: $vgpr72_vgpr73
                                        ; implicit-def: $vgpr68_vgpr69
	s_cbranch_execz .LBB189_138
.LBB189_137:                            ;   in Loop: Header=BB189_104 Depth=1
	s_waitcnt vmcnt(0) lgkmcnt(0)
	v_lshl_add_u64 v[70:71], v[210:211], 0, v[174:175]
	v_lshl_add_u64 v[78:79], v[214:215], 0, v[174:175]
	flat_load_dwordx4 v[66:69], v[90:91]
	s_or_b64 s[20:21], s[20:21], exec
	flat_load_dwordx4 v[70:73], v[70:71]
                                        ; implicit-def: $sgpr22_sgpr23
	s_nop 0
	flat_load_dwordx4 v[78:81], v[78:79]
.LBB189_138:                            ;   in Loop: Header=BB189_104 Depth=1
	v_mov_b64_e32 v[90:91], s[22:23]
	v_mov_b64_e32 v[92:93], s[22:23]
	s_and_saveexec_b64 s[22:23], s[20:21]
	s_cbranch_execz .LBB189_140
; %bb.139:                              ;   in Loop: Header=BB189_104 Depth=1
	v_lshl_add_u64 v[90:91], v[198:199], 0, v[174:175]
	flat_load_dwordx4 v[90:93], v[90:91]
.LBB189_140:                            ;   in Loop: Header=BB189_104 Depth=1
	s_or_b64 exec, exec, s[22:23]
	ds_read_b128 v[114:117], v218
	ds_read_b128 v[102:105], v225 offset:512
	s_and_b64 vcc, exec, s[4:5]
	v_lshl_add_u64 v[130:131], v[186:187], 0, v[174:175]
	s_waitcnt vmcnt(0) lgkmcnt(0)
	v_mul_f64 v[106:107], v[68:69], v[116:117]
	v_mul_f64 v[108:109], v[66:67], v[116:117]
	;; [unrolled: 1-line block ×3, first 2 shown]
	v_fma_f64 v[106:107], v[66:67], v[114:115], -v[106:107]
	v_fmac_f64_e32 v[108:109], v[68:69], v[114:115]
	v_mul_f64 v[112:113], v[70:71], v[116:117]
	ds_write_b128 v226, v[106:109]
	v_fma_f64 v[110:111], v[70:71], v[114:115], -v[110:111]
	v_fmac_f64_e32 v[112:113], v[72:73], v[114:115]
	v_mul_f64 v[118:119], v[80:81], v[116:117]
	v_mul_f64 v[120:121], v[78:79], v[116:117]
	ds_read_b128 v[106:109], v225 offset:528
	ds_write_b128 v226, v[110:113] offset:1072
	v_fma_f64 v[118:119], v[78:79], v[114:115], -v[118:119]
	v_fmac_f64_e32 v[120:121], v[80:81], v[114:115]
	v_mul_f64 v[122:123], v[92:93], v[116:117]
	v_mul_f64 v[124:125], v[90:91], v[116:117]
	ds_read_b128 v[110:113], v225 offset:544
	ds_write_b128 v226, v[118:121] offset:2144
	v_fma_f64 v[122:123], v[90:91], v[114:115], -v[122:123]
	v_fmac_f64_e32 v[124:125], v[92:93], v[114:115]
	ds_read_b128 v[118:121], v225 offset:560
	ds_write_b128 v226, v[122:125] offset:3216
	s_waitcnt lgkmcnt(0)
	s_barrier
	ds_read_b128 v[162:165], v221
	ds_read_b128 v[158:161], v221 offset:16
	ds_read_b128 v[154:157], v221 offset:32
	;; [unrolled: 1-line block ×3, first 2 shown]
	s_waitcnt lgkmcnt(0)
	s_barrier
	s_cbranch_vccnz .LBB189_148
; %bb.141:                              ;   in Loop: Header=BB189_104 Depth=1
	v_mov_b64_e32 v[122:123], 0
	v_cmp_gt_i32_e32 vcc, s26, v235
	v_mov_b64_e32 v[114:115], v[122:123]
	v_mov_b64_e32 v[116:117], v[122:123]
	s_and_saveexec_b64 s[4:5], vcc
	s_cbranch_execz .LBB189_143
; %bb.142:                              ;   in Loop: Header=BB189_104 Depth=1
	flat_load_dwordx4 v[114:117], v[130:131]
.LBB189_143:                            ;   in Loop: Header=BB189_104 Depth=1
	s_or_b64 exec, exec, s[4:5]
	v_cmp_gt_i32_e32 vcc, s26, v236
	v_mov_b64_e32 v[124:125], v[122:123]
	s_and_saveexec_b64 s[4:5], vcc
	s_cbranch_execz .LBB189_145
; %bb.144:                              ;   in Loop: Header=BB189_104 Depth=1
	v_lshl_add_u64 v[122:123], v[190:191], 0, v[174:175]
	flat_load_dwordx4 v[122:125], v[122:123]
.LBB189_145:                            ;   in Loop: Header=BB189_104 Depth=1
	s_or_b64 exec, exec, s[4:5]
	v_mov_b64_e32 v[126:127], 0
	v_cmp_gt_i32_e32 vcc, s26, v237
	s_mov_b64 s[22:23], 0
	v_mov_b64_e32 v[128:129], v[126:127]
	s_and_saveexec_b64 s[4:5], vcc
	s_cbranch_execz .LBB189_147
; %bb.146:                              ;   in Loop: Header=BB189_104 Depth=1
	v_lshl_add_u64 v[126:127], v[182:183], 0, v[174:175]
	flat_load_dwordx4 v[126:129], v[126:127]
.LBB189_147:                            ;   in Loop: Header=BB189_104 Depth=1
	s_or_b64 exec, exec, s[4:5]
	v_cmp_gt_i32_e64 s[4:5], s26, v238
	s_mov_b64 s[20:21], 0
	s_and_b64 vcc, exec, s[22:23]
	s_cbranch_vccnz .LBB189_149
	s_branch .LBB189_150
.LBB189_148:                            ;   in Loop: Header=BB189_104 Depth=1
	s_mov_b64 s[4:5], 0
                                        ; implicit-def: $sgpr20_sgpr21
                                        ; implicit-def: $vgpr128_vgpr129
                                        ; implicit-def: $vgpr124_vgpr125
                                        ; implicit-def: $vgpr116_vgpr117
	s_cbranch_execz .LBB189_150
.LBB189_149:                            ;   in Loop: Header=BB189_104 Depth=1
	s_waitcnt vmcnt(0) lgkmcnt(0)
	v_lshl_add_u64 v[122:123], v[190:191], 0, v[174:175]
	v_lshl_add_u64 v[126:127], v[196:197], 0, v[174:175]
	flat_load_dwordx4 v[114:117], v[130:131]
	s_or_b64 s[4:5], s[4:5], exec
	flat_load_dwordx4 v[122:125], v[122:123]
                                        ; implicit-def: $sgpr20_sgpr21
	s_nop 0
	flat_load_dwordx4 v[126:129], v[126:127]
.LBB189_150:                            ;   in Loop: Header=BB189_104 Depth=1
	v_mov_b64_e32 v[130:131], s[20:21]
	v_mov_b64_e32 v[132:133], s[20:21]
	s_and_saveexec_b64 s[20:21], s[4:5]
	s_cbranch_execz .LBB189_152
; %bb.151:                              ;   in Loop: Header=BB189_104 Depth=1
	v_lshl_add_u64 v[130:131], v[178:179], 0, v[174:175]
	flat_load_dwordx4 v[130:133], v[130:131]
.LBB189_152:                            ;   in Loop: Header=BB189_104 Depth=1
	s_or_b64 exec, exec, s[20:21]
	v_add_f64 v[146:147], v[146:147], 0
	v_add_f64 v[148:149], v[148:149], 0
	;; [unrolled: 1-line block ×6, first 2 shown]
	ds_read_b128 v[142:145], v218
	v_add_f64 v[162:163], v[162:163], 0
	v_add_f64 v[98:99], v[98:99], 0
	;; [unrolled: 1-line block ×11, first 2 shown]
	ds_read_b128 v[86:89], v225 offset:768
	s_waitcnt vmcnt(0) lgkmcnt(0)
	v_mul_f64 v[94:95], v[116:117], v[144:145]
	v_mul_f64 v[96:97], v[114:115], v[144:145]
	v_fma_f64 v[94:95], v[114:115], v[142:143], -v[94:95]
	v_fmac_f64_e32 v[96:97], v[116:117], v[142:143]
	v_mul_f64 v[98:99], v[124:125], v[144:145]
	v_mul_f64 v[100:101], v[122:123], v[144:145]
	v_add_f64 v[138:139], v[138:139], v[134:135]
	v_add_f64 v[140:141], v[140:141], v[136:137]
	ds_write_b128 v226, v[94:97]
	v_fma_f64 v[98:99], v[122:123], v[142:143], -v[98:99]
	v_fmac_f64_e32 v[100:101], v[124:125], v[142:143]
	v_mul_f64 v[134:135], v[128:129], v[144:145]
	v_mul_f64 v[136:137], v[126:127], v[144:145]
	ds_read_b128 v[94:97], v225 offset:784
	ds_write_b128 v226, v[98:101] offset:1072
	v_fma_f64 v[134:135], v[126:127], v[142:143], -v[134:135]
	v_fmac_f64_e32 v[136:137], v[128:129], v[142:143]
	v_mul_f64 v[146:147], v[132:133], v[144:145]
	v_mul_f64 v[148:149], v[130:131], v[144:145]
	ds_read_b128 v[98:101], v225 offset:800
	ds_write_b128 v226, v[134:137] offset:2144
	v_fma_f64 v[146:147], v[130:131], v[142:143], -v[146:147]
	v_fmac_f64_e32 v[148:149], v[132:133], v[142:143]
	v_add_f64 v[164:165], v[164:165], 0
	ds_read_b128 v[134:137], v225 offset:816
	ds_write_b128 v226, v[146:149] offset:3216
	s_waitcnt lgkmcnt(0)
	s_barrier
	ds_read_b128 v[142:145], v221
	v_add_f64 v[160:161], v[164:165], v[160:161]
	v_add_f64 v[156:157], v[160:161], v[156:157]
	;; [unrolled: 1-line block ×4, first 2 shown]
	ds_read_b128 v[146:149], v221 offset:16
	ds_read_b128 v[154:157], v221 offset:32
	;; [unrolled: 1-line block ×3, first 2 shown]
	s_waitcnt lgkmcnt(3)
	v_add_f64 v[142:143], v[142:143], 0
	v_add_f64 v[144:145], v[144:145], 0
	v_cmp_gt_i32_e32 vcc, s26, v168
	s_waitcnt lgkmcnt(2)
	v_add_f64 v[142:143], v[142:143], v[146:147]
	v_add_f64 v[144:145], v[144:145], v[148:149]
	s_or_b64 s[4:5], s[14:15], vcc
	s_waitcnt lgkmcnt(1)
	v_add_f64 v[142:143], v[142:143], v[154:155]
	v_add_f64 v[144:145], v[144:145], v[156:157]
	s_and_b64 s[14:15], s[0:1], s[4:5]
	s_waitcnt lgkmcnt(0)
	v_add_f64 v[142:143], v[142:143], v[158:159]
	v_add_f64 v[144:145], v[144:145], v[160:161]
	s_barrier
	ds_write_b128 v239, v[82:85]
	ds_write_b128 v239, v[138:141] offset:256
	ds_write_b128 v239, v[150:153] offset:512
	;; [unrolled: 1-line block ×3, first 2 shown]
	s_waitcnt lgkmcnt(0)
	s_barrier
	s_and_saveexec_b64 s[4:5], s[14:15]
	s_cbranch_execz .LBB189_154
; %bb.153:                              ;   in Loop: Header=BB189_104 Depth=1
	ds_read_b128 v[82:85], v219
	ds_read_b128 v[138:141], v219 offset:16
	ds_read_b128 v[142:145], v219 offset:32
	ds_read_b128 v[146:149], v219 offset:48
	v_ashrrev_i32_e32 v173, 31, v172
	s_waitcnt lgkmcnt(2)
	v_add_f64 v[82:83], v[138:139], v[82:83]
	v_add_f64 v[138:139], v[140:141], v[84:85]
	s_waitcnt lgkmcnt(1)
	v_add_f64 v[140:141], v[82:83], v[142:143]
	ds_read_b128 v[82:85], v219 offset:64
	v_add_f64 v[142:143], v[138:139], v[144:145]
	s_waitcnt lgkmcnt(1)
	v_add_f64 v[144:145], v[140:141], v[146:147]
	ds_read_b128 v[138:141], v219 offset:80
	;; [unrolled: 4-line block ×9, first 2 shown]
	v_add_f64 v[84:85], v[146:147], v[84:85]
	s_waitcnt lgkmcnt(1)
	v_add_f64 v[138:139], v[82:83], v[138:139]
	v_add_f64 v[146:147], v[84:85], v[140:141]
	ds_read_b128 v[82:85], v219 offset:208
	s_waitcnt lgkmcnt(1)
	v_add_f64 v[148:149], v[138:139], v[142:143]
	ds_read_b128 v[138:141], v219 offset:224
	v_add_f64 v[146:147], v[146:147], v[144:145]
	ds_read_b128 v[142:145], v220
	s_waitcnt lgkmcnt(2)
	v_add_f64 v[82:83], v[148:149], v[82:83]
	v_add_f64 v[84:85], v[146:147], v[84:85]
	s_waitcnt lgkmcnt(1)
	v_add_f64 v[82:83], v[82:83], v[138:139]
	v_add_f64 v[84:85], v[84:85], v[140:141]
	;; [unrolled: 3-line block ×3, first 2 shown]
	v_lshl_add_u64 v[138:139], v[172:173], 4, s[6:7]
	global_store_dwordx4 v[138:139], v[82:85], off
.LBB189_154:                            ;   in Loop: Header=BB189_104 Depth=1
	s_or_b64 exec, exec, s[4:5]
	s_nop 0
	v_mul_f64 v[82:83], v[8:9], v[24:25]
	v_fma_f64 v[82:83], v[6:7], v[22:23], -v[82:83]
	v_mul_f64 v[6:7], v[6:7], v[24:25]
	v_mul_f64 v[24:25], v[12:13], v[28:29]
	v_add_f64 v[0:1], v[0:1], v[82:83]
	v_fma_f64 v[24:25], v[10:11], v[26:27], -v[24:25]
	v_add_f64 v[0:1], v[0:1], v[24:25]
	v_mul_f64 v[24:25], v[16:17], v[32:33]
	v_fma_f64 v[24:25], v[14:15], v[30:31], -v[24:25]
	v_add_f64 v[0:1], v[0:1], v[24:25]
	v_mul_f64 v[24:25], v[20:21], v[40:41]
	v_fmac_f64_e32 v[6:7], v[8:9], v[22:23]
	v_fma_f64 v[24:25], v[18:19], v[38:39], -v[24:25]
	v_add_f64 v[2:3], v[2:3], v[6:7]
	v_mul_f64 v[6:7], v[36:37], v[56:57]
	v_add_f64 v[0:1], v[0:1], v[24:25]
	v_fma_f64 v[6:7], v[34:35], v[54:55], -v[6:7]
	v_add_f64 v[0:1], v[0:1], v[6:7]
	v_mul_f64 v[6:7], v[44:45], v[60:61]
	v_fma_f64 v[6:7], v[42:43], v[58:59], -v[6:7]
	v_add_f64 v[0:1], v[0:1], v[6:7]
	v_mul_f64 v[6:7], v[48:49], v[64:65]
	v_fma_f64 v[6:7], v[46:47], v[62:63], -v[6:7]
	v_add_f64 v[0:1], v[0:1], v[6:7]
	v_mul_f64 v[6:7], v[52:53], v[76:77]
	v_fma_f64 v[6:7], v[50:51], v[74:75], -v[6:7]
	v_mul_f64 v[10:11], v[10:11], v[28:29]
	v_add_f64 v[0:1], v[0:1], v[6:7]
	v_mul_f64 v[6:7], v[68:69], v[104:105]
	v_mul_f64 v[14:15], v[14:15], v[32:33]
	v_fmac_f64_e32 v[10:11], v[12:13], v[26:27]
	v_fma_f64 v[6:7], v[66:67], v[102:103], -v[6:7]
	v_mul_f64 v[18:19], v[18:19], v[40:41]
	v_add_f64 v[2:3], v[2:3], v[10:11]
	v_fmac_f64_e32 v[14:15], v[16:17], v[30:31]
	v_add_f64 v[0:1], v[0:1], v[6:7]
	v_mul_f64 v[6:7], v[72:73], v[108:109]
	v_add_f64 v[2:3], v[2:3], v[14:15]
	v_fmac_f64_e32 v[18:19], v[20:21], v[38:39]
	v_mul_f64 v[8:9], v[34:35], v[56:57]
	v_fma_f64 v[6:7], v[70:71], v[106:107], -v[6:7]
	v_add_f64 v[2:3], v[2:3], v[18:19]
	v_mul_f64 v[10:11], v[42:43], v[60:61]
	v_fmac_f64_e32 v[8:9], v[36:37], v[54:55]
	v_add_f64 v[0:1], v[0:1], v[6:7]
	v_mul_f64 v[6:7], v[80:81], v[112:113]
	v_mul_f64 v[12:13], v[46:47], v[64:65]
	v_add_f64 v[2:3], v[2:3], v[8:9]
	v_fmac_f64_e32 v[10:11], v[44:45], v[58:59]
	v_fma_f64 v[6:7], v[78:79], v[110:111], -v[6:7]
	v_mul_f64 v[14:15], v[50:51], v[76:77]
	v_add_f64 v[2:3], v[2:3], v[10:11]
	v_fmac_f64_e32 v[12:13], v[48:49], v[62:63]
	v_add_f64 v[0:1], v[0:1], v[6:7]
	v_mul_f64 v[6:7], v[92:93], v[120:121]
	v_add_f64 v[2:3], v[2:3], v[12:13]
	v_fmac_f64_e32 v[14:15], v[52:53], v[74:75]
	v_mul_f64 v[8:9], v[66:67], v[104:105]
	v_fma_f64 v[6:7], v[90:91], v[118:119], -v[6:7]
	v_add_f64 v[2:3], v[2:3], v[14:15]
	v_mul_f64 v[10:11], v[70:71], v[108:109]
	v_add_f64 v[0:1], v[0:1], v[6:7]
	v_fmac_f64_e32 v[8:9], v[68:69], v[102:103]
	v_mul_f64 v[6:7], v[116:117], v[88:89]
	v_mul_f64 v[12:13], v[78:79], v[112:113]
	v_add_f64 v[2:3], v[2:3], v[8:9]
	v_fmac_f64_e32 v[10:11], v[72:73], v[106:107]
	v_fma_f64 v[6:7], v[114:115], v[86:87], -v[6:7]
	v_mul_f64 v[14:15], v[90:91], v[120:121]
	v_add_f64 v[2:3], v[2:3], v[10:11]
	v_fmac_f64_e32 v[12:13], v[80:81], v[110:111]
	v_add_f64 v[0:1], v[0:1], v[6:7]
	v_mul_f64 v[6:7], v[124:125], v[96:97]
	v_add_f64 v[2:3], v[2:3], v[12:13]
	v_fmac_f64_e32 v[14:15], v[92:93], v[118:119]
	v_mul_f64 v[8:9], v[114:115], v[88:89]
	v_fma_f64 v[6:7], v[122:123], v[94:95], -v[6:7]
	v_add_f64 v[2:3], v[2:3], v[14:15]
	v_mul_f64 v[10:11], v[122:123], v[96:97]
	v_add_f64 v[0:1], v[0:1], v[6:7]
	v_mul_f64 v[6:7], v[128:129], v[100:101]
	v_fmac_f64_e32 v[8:9], v[116:117], v[86:87]
	v_fma_f64 v[6:7], v[126:127], v[98:99], -v[6:7]
	v_mul_f64 v[12:13], v[126:127], v[100:101]
	v_fmac_f64_e32 v[10:11], v[124:125], v[94:95]
	v_add_f64 v[2:3], v[2:3], v[8:9]
	v_add_f64 v[0:1], v[0:1], v[6:7]
	v_mul_f64 v[6:7], v[132:133], v[136:137]
	v_mul_f64 v[14:15], v[130:131], v[136:137]
	v_fmac_f64_e32 v[12:13], v[128:129], v[98:99]
	v_add_f64 v[2:3], v[2:3], v[10:11]
	v_fma_f64 v[6:7], v[130:131], v[134:135], -v[6:7]
	v_fmac_f64_e32 v[14:15], v[132:133], v[134:135]
	v_add_f64 v[2:3], v[2:3], v[12:13]
	s_add_i32 s4, s2, 1
	s_add_i32 s8, s8, s30
	;; [unrolled: 1-line block ×3, first 2 shown]
	v_add_f64 v[0:1], v[0:1], v[6:7]
	v_add_f64 v[2:3], v[2:3], v[14:15]
	v_add_u32_e32 v172, 64, v172
	v_lshl_add_u64 v[176:177], v[176:177], 0, s[10:11]
	v_lshl_add_u64 v[178:179], v[178:179], 0, s[10:11]
	;; [unrolled: 1-line block ×19, first 2 shown]
	s_cmp_ge_u32 s2, s3
	v_lshl_add_u64 v[214:215], v[214:215], 0, s[10:11]
	s_barrier
	s_cbranch_scc1 .LBB189_156
; %bb.155:                              ;   in Loop: Header=BB189_104 Depth=1
	s_mov_b32 s2, s4
	s_cmp_eq_u32 s17, s2
	s_cselect_b32 s26, s33, 0
	s_and_saveexec_b64 s[4:5], s[12:13]
	s_cbranch_execnz .LBB189_100
	s_branch .LBB189_104
.LBB189_156:
	s_movk_i32 s0, 0x430
	v_cmp_gt_i32_e32 vcc, s16, v168
	v_mad_u32_u24 v4, v167, s0, v169
	s_or_b64 s[0:1], s[18:19], vcc
	s_and_b64 s[0:1], s[12:13], s[0:1]
	ds_write_b128 v4, v[0:3]
	s_waitcnt lgkmcnt(0)
	s_barrier
	s_and_saveexec_b64 s[2:3], s[0:1]
	s_cbranch_execz .LBB189_158
; %bb.157:
	ds_read_b128 v[0:3], v169 offset:1072
	ds_read_b128 v[4:7], v169
	ds_read_b128 v[8:11], v169 offset:2144
	ds_read_b128 v[12:15], v169 offset:3216
	v_ashrrev_i32_e32 v167, 31, v166
	s_waitcnt lgkmcnt(2)
	v_add_f64 v[0:1], v[0:1], v[4:5]
	v_add_f64 v[2:3], v[2:3], v[6:7]
	s_waitcnt lgkmcnt(1)
	v_add_f64 v[0:1], v[0:1], v[8:9]
	v_add_f64 v[2:3], v[2:3], v[10:11]
	;; [unrolled: 3-line block ×3, first 2 shown]
	v_lshl_add_u64 v[4:5], v[166:167], 4, s[6:7]
	global_store_dwordx4 v[4:5], v[0:3], off
.LBB189_158:
	s_endpgm
	.section	.rodata,"a",@progbits
	.p2align	6, 0x0
	.amdhsa_kernel _ZL26rocblas_hemvn_kernel_upperILb0ELi64ELi4ELi33ELi32ELi16EiPK19rocblas_complex_numIdEPKS3_PS1_EviT6_lT7_lT5_lS8_lS9_lS7_lT8_i
		.amdhsa_group_segment_fixed_size 19200
		.amdhsa_private_segment_fixed_size 0
		.amdhsa_kernarg_size 376
		.amdhsa_user_sgpr_count 2
		.amdhsa_user_sgpr_dispatch_ptr 0
		.amdhsa_user_sgpr_queue_ptr 0
		.amdhsa_user_sgpr_kernarg_segment_ptr 1
		.amdhsa_user_sgpr_dispatch_id 0
		.amdhsa_user_sgpr_kernarg_preload_length 0
		.amdhsa_user_sgpr_kernarg_preload_offset 0
		.amdhsa_user_sgpr_private_segment_size 0
		.amdhsa_uses_dynamic_stack 0
		.amdhsa_enable_private_segment 0
		.amdhsa_system_sgpr_workgroup_id_x 1
		.amdhsa_system_sgpr_workgroup_id_y 0
		.amdhsa_system_sgpr_workgroup_id_z 1
		.amdhsa_system_sgpr_workgroup_info 0
		.amdhsa_system_vgpr_workitem_id 1
		.amdhsa_next_free_vgpr 240
		.amdhsa_next_free_sgpr 40
		.amdhsa_accum_offset 240
		.amdhsa_reserve_vcc 1
		.amdhsa_float_round_mode_32 0
		.amdhsa_float_round_mode_16_64 0
		.amdhsa_float_denorm_mode_32 3
		.amdhsa_float_denorm_mode_16_64 3
		.amdhsa_dx10_clamp 1
		.amdhsa_ieee_mode 1
		.amdhsa_fp16_overflow 0
		.amdhsa_tg_split 0
		.amdhsa_exception_fp_ieee_invalid_op 0
		.amdhsa_exception_fp_denorm_src 0
		.amdhsa_exception_fp_ieee_div_zero 0
		.amdhsa_exception_fp_ieee_overflow 0
		.amdhsa_exception_fp_ieee_underflow 0
		.amdhsa_exception_fp_ieee_inexact 0
		.amdhsa_exception_int_div_zero 0
	.end_amdhsa_kernel
	.section	.text._ZL26rocblas_hemvn_kernel_upperILb0ELi64ELi4ELi33ELi32ELi16EiPK19rocblas_complex_numIdEPKS3_PS1_EviT6_lT7_lT5_lS8_lS9_lS7_lT8_i,"axG",@progbits,_ZL26rocblas_hemvn_kernel_upperILb0ELi64ELi4ELi33ELi32ELi16EiPK19rocblas_complex_numIdEPKS3_PS1_EviT6_lT7_lT5_lS8_lS9_lS7_lT8_i,comdat
.Lfunc_end189:
	.size	_ZL26rocblas_hemvn_kernel_upperILb0ELi64ELi4ELi33ELi32ELi16EiPK19rocblas_complex_numIdEPKS3_PS1_EviT6_lT7_lT5_lS8_lS9_lS7_lT8_i, .Lfunc_end189-_ZL26rocblas_hemvn_kernel_upperILb0ELi64ELi4ELi33ELi32ELi16EiPK19rocblas_complex_numIdEPKS3_PS1_EviT6_lT7_lT5_lS8_lS9_lS7_lT8_i
                                        ; -- End function
	.section	.AMDGPU.csdata,"",@progbits
; Kernel info:
; codeLenInByte = 10296
; NumSgprs: 46
; NumVgprs: 240
; NumAgprs: 0
; TotalNumVgprs: 240
; ScratchSize: 0
; MemoryBound: 1
; FloatMode: 240
; IeeeMode: 1
; LDSByteSize: 19200 bytes/workgroup (compile time only)
; SGPRBlocks: 5
; VGPRBlocks: 29
; NumSGPRsForWavesPerEU: 46
; NumVGPRsForWavesPerEU: 240
; AccumOffset: 240
; Occupancy: 2
; WaveLimiterHint : 1
; COMPUTE_PGM_RSRC2:SCRATCH_EN: 0
; COMPUTE_PGM_RSRC2:USER_SGPR: 2
; COMPUTE_PGM_RSRC2:TRAP_HANDLER: 0
; COMPUTE_PGM_RSRC2:TGID_X_EN: 1
; COMPUTE_PGM_RSRC2:TGID_Y_EN: 0
; COMPUTE_PGM_RSRC2:TGID_Z_EN: 1
; COMPUTE_PGM_RSRC2:TIDIG_COMP_CNT: 1
; COMPUTE_PGM_RSRC3_GFX90A:ACCUM_OFFSET: 59
; COMPUTE_PGM_RSRC3_GFX90A:TG_SPLIT: 0
	.section	.text._ZL26rocblas_hemvn_kernel_upperILb0ELi64ELi4ELi33ELi32ELi16El19rocblas_complex_numIdEPKPKS1_PS1_EviT6_lT7_lT5_lS8_lS9_lS7_lT8_i,"axG",@progbits,_ZL26rocblas_hemvn_kernel_upperILb0ELi64ELi4ELi33ELi32ELi16El19rocblas_complex_numIdEPKPKS1_PS1_EviT6_lT7_lT5_lS8_lS9_lS7_lT8_i,comdat
	.globl	_ZL26rocblas_hemvn_kernel_upperILb0ELi64ELi4ELi33ELi32ELi16El19rocblas_complex_numIdEPKPKS1_PS1_EviT6_lT7_lT5_lS8_lS9_lS7_lT8_i ; -- Begin function _ZL26rocblas_hemvn_kernel_upperILb0ELi64ELi4ELi33ELi32ELi16El19rocblas_complex_numIdEPKPKS1_PS1_EviT6_lT7_lT5_lS8_lS9_lS7_lT8_i
	.p2align	8
	.type	_ZL26rocblas_hemvn_kernel_upperILb0ELi64ELi4ELi33ELi32ELi16El19rocblas_complex_numIdEPKPKS1_PS1_EviT6_lT7_lT5_lS8_lS9_lS7_lT8_i,@function
_ZL26rocblas_hemvn_kernel_upperILb0ELi64ELi4ELi33ELi32ELi16El19rocblas_complex_numIdEPKPKS1_PS1_EviT6_lT7_lT5_lS8_lS9_lS7_lT8_i: ; @_ZL26rocblas_hemvn_kernel_upperILb0ELi64ELi4ELi33ELi32ELi16El19rocblas_complex_numIdEPKPKS1_PS1_EviT6_lT7_lT5_lS8_lS9_lS7_lT8_i
; %bb.0:
	s_load_dwordx2 s[4:5], s[0:1], 0x94
	s_add_u32 s14, s0, 0x88
	s_mov_b32 s26, s3
	s_addc_u32 s15, s1, 0
	s_waitcnt lgkmcnt(0)
	s_and_b32 s3, s5, 0xffff
	s_lshr_b32 s5, s4, 16
	s_and_b32 s4, s4, 0xffff
	s_mul_i32 s4, s5, s4
	s_mul_i32 s4, s4, s3
	s_cmpk_lg_i32 s4, 0x100
	s_cbranch_scc1 .LBB190_158
; %bb.1:
	s_load_dwordx4 s[16:19], s[0:1], 0x8
	s_load_dwordx4 s[4:7], s[0:1], 0x20
	s_load_dwordx2 s[24:25], s[0:1], 0x30
	s_mov_b64 s[8:9], 0
	s_waitcnt lgkmcnt(0)
	v_cmp_neq_f64_e64 s[10:11], s[16:17], 0
	v_cmp_neq_f64_e64 s[12:13], s[18:19], 0
	s_or_b64 s[16:17], s[10:11], s[12:13]
	s_and_b64 vcc, exec, s[16:17]
	s_cbranch_vccnz .LBB190_3
; %bb.2:
	s_load_dwordx4 s[8:11], s[0:1], 0x60
	s_mov_b64 s[12:13], 0
	s_waitcnt lgkmcnt(0)
	v_cmp_neq_f64_e64 s[8:9], s[8:9], 1.0
	v_cmp_neq_f64_e64 s[10:11], s[10:11], 0
	s_or_b64 s[8:9], s[8:9], s[10:11]
	s_cbranch_execz .LBB190_4
	s_branch .LBB190_5
.LBB190_3:
	s_mov_b64 s[12:13], -1
.LBB190_4:
	s_mov_b32 s27, 0
	s_lshl_b64 s[8:9], s[26:27], 3
	s_add_u32 s4, s4, s8
	s_addc_u32 s5, s5, s9
	s_load_dwordx2 s[4:5], s[4:5], 0x0
	s_lshl_b64 s[6:7], s[6:7], 4
	s_mov_b64 s[8:9], -1
	s_waitcnt lgkmcnt(0)
	s_add_u32 s12, s4, s6
	s_addc_u32 s13, s5, s7
.LBB190_5:
	s_andn2_b64 vcc, exec, s[8:9]
	s_cbranch_vccnz .LBB190_158
; %bb.6:
	s_load_dwordx4 s[8:11], s[0:1], 0x40
	s_load_dwordx2 s[18:19], s[0:1], 0x50
	v_cndmask_b32_e64 v1, 0, 1, s[16:17]
	v_cmp_ne_u32_e64 s[4:5], 1, v1
	s_andn2_b64 vcc, exec, s[16:17]
	s_mov_b64 s[6:7], 0
	s_cbranch_vccnz .LBB190_8
; %bb.7:
	s_mov_b32 s27, 0
	s_lshl_b64 s[6:7], s[26:27], 3
	s_waitcnt lgkmcnt(0)
	s_add_u32 s6, s8, s6
	s_addc_u32 s7, s9, s7
	s_load_dwordx2 s[6:7], s[6:7], 0x0
	s_lshl_b64 s[8:9], s[10:11], 4
	s_waitcnt lgkmcnt(0)
	s_add_u32 s6, s6, s8
	s_addc_u32 s7, s7, s9
.LBB190_8:
	s_and_b64 vcc, exec, s[4:5]
	s_cbranch_vccnz .LBB190_158
; %bb.9:
	s_load_dword s3, s[14:15], 0x0
	s_load_dword s33, s[0:1], 0x0
	v_and_b32_e32 v204, 0x3ff, v0
	s_lshl_b32 s28, s2, 6
	v_add_u32_e32 v166, s28, v204
	s_waitcnt lgkmcnt(0)
	s_add_i32 s4, s3, -1
	s_ashr_i32 s34, s33, 31
	s_lshr_b32 s5, s34, 26
	s_add_i32 s5, s33, s5
	s_andn2_b32 s5, s5, 63
	s_sub_i32 s27, s33, s5
	v_ashrrev_i32_e32 v167, 31, v166
	v_bfe_u32 v205, v0, 10, 10
	s_cmp_eq_u32 s2, s4
	v_mul_lo_u32 v2, v167, s18
	v_mul_lo_u32 v3, v166, s19
	v_mad_u64_u32 v[0:1], s[4:5], v166, s18, 0
	v_add3_u32 v1, v1, v3, v2
	s_cselect_b32 s20, s27, 0
	v_lshl_add_u64 v[36:37], v[0:1], 4, s[6:7]
	v_cmp_eq_u32_e64 s[4:5], 0, v205
	s_and_saveexec_b64 s[6:7], s[4:5]
	s_cbranch_execz .LBB190_14
; %bb.10:
	s_cmp_lg_u32 s20, 0
	s_cselect_b64 s[8:9], -1, 0
	v_cmp_le_i32_e32 vcc, s20, v204
	v_mov_b32_e32 v0, 0x4700
	s_and_b64 s[8:9], s[8:9], vcc
	v_lshl_add_u32 v0, v204, 4, v0
	s_and_saveexec_b64 s[10:11], s[8:9]
	s_xor_b64 s[8:9], exec, s[10:11]
	s_cbranch_execz .LBB190_12
; %bb.11:
	v_mov_b32_e32 v2, 0
	v_mov_b32_e32 v3, v2
	;; [unrolled: 1-line block ×4, first 2 shown]
	ds_write_b128 v0, v[2:5]
                                        ; implicit-def: $vgpr0
.LBB190_12:
	s_andn2_saveexec_b64 s[8:9], s[8:9]
	s_cbranch_execz .LBB190_14
; %bb.13:
	flat_load_dwordx4 v[2:5], v[36:37]
	s_waitcnt vmcnt(0) lgkmcnt(0)
	ds_write2_b64 v0, v[2:3], v[4:5] offset1:1
.LBB190_14:
	s_or_b64 exec, exec, s[6:7]
	s_ashr_i32 s29, s28, 31
	v_lshl_add_u32 v42, v205, 6, v204
	s_lshl_b64 s[6:7], s[28:29], 4
	v_and_b32_e32 v4, 31, v204
	v_lshrrev_b32_e32 v14, 5, v42
	s_add_u32 s8, s12, s6
	v_mov_b32_e32 v5, 0
	s_addc_u32 s9, s13, s7
	v_mad_u64_u32 v[38:39], s[6:7], v14, s24, v[4:5]
	v_mov_b32_e32 v0, v39
	v_mad_u64_u32 v[0:1], s[6:7], v14, s25, v[0:1]
	s_mul_i32 s6, s28, s25
	s_mul_hi_u32 s7, s28, s24
	s_add_i32 s6, s7, s6
	s_mul_i32 s7, s29, s24
	s_add_i32 s7, s6, s7
	s_mul_i32 s6, s28, s24
	s_lshl_b64 s[6:7], s[6:7], 4
	s_add_u32 s6, s6, s8
	s_addc_u32 s7, s7, s9
	s_cmp_eq_u32 s20, 0
	s_cselect_b64 s[22:23], -1, 0
	s_cmp_lg_u32 s20, 0
	v_mov_b32_e32 v39, v0
	s_cselect_b64 s[30:31], -1, 0
	v_lshl_add_u64 v[0:1], v[38:39], 4, s[6:7]
	s_and_b64 vcc, exec, s[30:31]
	v_cmp_gt_i32_e64 s[6:7], s20, v4
	v_lshlrev_b32_e32 v6, 4, v4
	v_mul_u32_u24_e32 v5, 33, v14
	s_mul_i32 s35, s25, 0x180
	s_cbranch_vccz .LBB190_32
; %bb.15:
	v_sub_co_u32_e32 v2, vcc, v0, v6
	s_ashr_i32 s21, s20, 31
	s_nop 0
	v_subbrev_co_u32_e32 v3, vcc, 0, v1, vcc
	v_lshl_add_u64 v[2:3], s[20:21], 4, v[2:3]
	v_lshl_add_u64 v[2:3], v[2:3], 0, -16
	v_cndmask_b32_e64 v3, v3, v1, s[6:7]
	v_cndmask_b32_e64 v2, v2, v0, s[6:7]
	v_cmp_le_i32_e32 vcc, s20, v14
	v_add_lshl_u32 v7, v5, v4, 4
	s_and_saveexec_b64 s[8:9], vcc
	s_xor_b64 s[8:9], exec, s[8:9]
	s_cbranch_execz .LBB190_17
; %bb.16:
	v_mov_b32_e32 v8, 0
	v_mov_b32_e32 v9, v8
	;; [unrolled: 1-line block ×4, first 2 shown]
	ds_write_b128 v7, v[8:11]
.LBB190_17:
	s_andn2_saveexec_b64 s[8:9], s[8:9]
	s_cbranch_execz .LBB190_19
; %bb.18:
	flat_load_dwordx4 v[8:11], v[2:3]
	s_waitcnt vmcnt(0) lgkmcnt(0)
	ds_write2_b64 v7, v[8:9], v[10:11] offset1:1
.LBB190_19:
	s_or_b64 exec, exec, s[8:9]
	v_add_u32_e32 v8, 8, v14
	v_cmp_le_i32_e32 vcc, s20, v8
	s_and_saveexec_b64 s[8:9], vcc
	s_xor_b64 s[8:9], exec, s[8:9]
	s_cbranch_execz .LBB190_21
; %bb.20:
	v_mul_u32_u24_e32 v8, 33, v8
	v_add_lshl_u32 v12, v8, v4, 4
	v_mov_b32_e32 v8, 0
	v_mov_b32_e32 v9, v8
	;; [unrolled: 1-line block ×4, first 2 shown]
	ds_write_b128 v12, v[8:11]
.LBB190_21:
	s_andn2_saveexec_b64 s[8:9], s[8:9]
	s_cbranch_execz .LBB190_23
; %bb.22:
	s_lshl_b64 s[10:11], s[24:25], 7
	v_lshl_add_u64 v[8:9], v[2:3], 0, s[10:11]
	flat_load_dwordx4 v[8:11], v[8:9]
	v_add_u32_e32 v12, 0x1080, v7
	s_waitcnt vmcnt(0) lgkmcnt(0)
	ds_write2_b64 v12, v[8:9], v[10:11] offset1:1
.LBB190_23:
	s_or_b64 exec, exec, s[8:9]
	v_add_u32_e32 v8, 16, v14
	v_cmp_le_i32_e32 vcc, s20, v8
	s_and_saveexec_b64 s[8:9], vcc
	s_xor_b64 s[8:9], exec, s[8:9]
	s_cbranch_execz .LBB190_25
; %bb.24:
	v_mov_b32_e32 v8, 0
	v_mov_b32_e32 v9, v8
	;; [unrolled: 1-line block ×4, first 2 shown]
	ds_write_b128 v7, v[8:11] offset:8448
.LBB190_25:
	s_andn2_saveexec_b64 s[8:9], s[8:9]
	s_cbranch_execz .LBB190_27
; %bb.26:
	s_lshl_b64 s[10:11], s[24:25], 8
	v_lshl_add_u64 v[8:9], v[2:3], 0, s[10:11]
	flat_load_dwordx4 v[8:11], v[8:9]
	v_add_u32_e32 v12, 0x2100, v7
	s_waitcnt vmcnt(0) lgkmcnt(0)
	ds_write2_b64 v12, v[8:9], v[10:11] offset1:1
.LBB190_27:
	s_or_b64 exec, exec, s[8:9]
	v_add_u32_e32 v8, 24, v14
	v_cmp_le_i32_e32 vcc, s20, v8
	s_and_saveexec_b64 s[8:9], vcc
	s_xor_b64 s[8:9], exec, s[8:9]
	s_cbranch_execz .LBB190_29
; %bb.28:
	v_mov_b32_e32 v8, 0
	v_mov_b32_e32 v9, v8
	;; [unrolled: 1-line block ×4, first 2 shown]
	ds_write_b128 v7, v[8:11] offset:12672
                                        ; implicit-def: $vgpr7
.LBB190_29:
	s_andn2_saveexec_b64 s[8:9], s[8:9]
	s_cbranch_execz .LBB190_31
; %bb.30:
	v_mov_b32_e32 v8, 0x180
	v_mad_u64_u32 v[8:9], s[10:11], s24, v8, v[2:3]
	v_add_u32_e32 v9, s35, v9
	flat_load_dwordx4 v[8:11], v[8:9]
	v_add_u32_e32 v7, 0x3180, v7
	s_waitcnt vmcnt(0) lgkmcnt(0)
	ds_write2_b64 v7, v[8:9], v[10:11] offset1:1
.LBB190_31:
	s_or_b64 exec, exec, s[8:9]
	v_mov_b32_e32 v7, 0
	v_lshl_add_u64 v[2:3], v[2:3], 0, v[6:7]
	s_lshl_b64 s[8:9], s[20:21], 4
	v_mov_b32_e32 v7, s9
	v_subrev_co_u32_e32 v2, vcc, s8, v2
	s_nop 1
	v_subb_co_u32_e32 v3, vcc, v3, v7, vcc
	v_lshl_add_u64 v[2:3], v[2:3], 0, 16
	v_cndmask_b32_e64 v9, v3, v1, s[6:7]
	v_cndmask_b32_e64 v8, v2, v0, s[6:7]
	s_branch .LBB190_34
.LBB190_32:
                                        ; implicit-def: $vgpr8_vgpr9
	s_cbranch_execz .LBB190_34
; %bb.33:
	flat_load_dwordx4 v[8:11], v[0:1]
	v_add_lshl_u32 v7, v5, v4, 4
	s_lshl_b64 s[6:7], s[24:25], 7
	v_lshl_add_u64 v[2:3], v[0:1], 0, s[6:7]
	v_add_u32_e32 v12, 0x1080, v7
	s_waitcnt vmcnt(0) lgkmcnt(0)
	ds_write2_b64 v7, v[8:9], v[10:11] offset1:1
	flat_load_dwordx4 v[8:11], v[2:3]
	v_lshl_add_u64 v[2:3], v[2:3], 0, s[6:7]
	s_waitcnt vmcnt(0) lgkmcnt(0)
	ds_write2_b64 v12, v[8:9], v[10:11] offset1:1
	flat_load_dwordx4 v[8:11], v[2:3]
	v_mov_b32_e32 v2, 0x180
	v_add_u32_e32 v12, 0x2100, v7
	v_mad_u64_u32 v[2:3], s[6:7], s24, v2, v[0:1]
	v_add_u32_e32 v3, s35, v3
	s_waitcnt vmcnt(0) lgkmcnt(0)
	ds_write2_b64 v12, v[8:9], v[10:11] offset1:1
	flat_load_dwordx4 v[8:11], v[2:3]
	v_add_u32_e32 v2, 0x3180, v7
	s_waitcnt vmcnt(0) lgkmcnt(0)
	ds_write2_b64 v2, v[8:9], v[10:11] offset1:1
	v_mov_b64_e32 v[8:9], v[0:1]
.LBB190_34:
	v_lshlrev_b32_e32 v0, 2, v14
	v_mul_u32_u24_e32 v15, 33, v4
	v_cmp_gt_u32_e64 s[6:7], v0, v4
	v_add_lshl_u32 v17, v0, v15, 4
	s_waitcnt lgkmcnt(0)
	s_barrier
	s_and_saveexec_b64 s[8:9], s[6:7]
	s_cbranch_execz .LBB190_36
; %bb.35:
	v_mul_u32_u24_e32 v1, 0x84, v14
	v_add_lshl_u32 v1, v1, v4, 4
	ds_read_b128 v[10:13], v1
	s_waitcnt lgkmcnt(0)
	ds_write_b128 v17, v[10:13]
.LBB190_36:
	s_or_b64 exec, exec, s[8:9]
	v_cmp_ge_u32_e64 s[8:9], v0, v4
	s_and_saveexec_b64 s[10:11], s[8:9]
	s_cbranch_execz .LBB190_38
; %bb.37:
	v_or_b32_e32 v1, 1, v0
	v_mul_u32_u24_e32 v1, 33, v1
	v_add_lshl_u32 v1, v1, v4, 4
	ds_read_b128 v[10:13], v1
	s_waitcnt lgkmcnt(0)
	ds_write_b128 v17, v[10:13] offset:16
.LBB190_38:
	s_or_b64 exec, exec, s[10:11]
	v_or_b32_e32 v1, 2, v0
	v_cmp_gt_u32_e64 s[10:11], v1, v4
	s_and_saveexec_b64 s[12:13], s[10:11]
	s_cbranch_execz .LBB190_40
; %bb.39:
	v_mul_u32_u24_e32 v1, 33, v1
	v_add_lshl_u32 v1, v1, v4, 4
	ds_read_b128 v[10:13], v1
	s_waitcnt lgkmcnt(0)
	ds_write_b128 v17, v[10:13] offset:32
.LBB190_40:
	s_or_b64 exec, exec, s[12:13]
	v_or_b32_e32 v1, 3, v0
	v_cmp_gt_u32_e64 s[12:13], v1, v4
	v_mad_u32_u24 v1, v1, 33, v4
	v_lshlrev_b32_e32 v16, 4, v1
	s_and_saveexec_b64 s[14:15], s[12:13]
	s_cbranch_execz .LBB190_42
; %bb.41:
	ds_read_b128 v[10:13], v16
	s_waitcnt lgkmcnt(0)
	ds_write_b128 v17, v[10:13] offset:48
.LBB190_42:
	s_or_b64 exec, exec, s[14:15]
	v_mul_u32_u24_e32 v1, 0x84, v14
	v_lshlrev_b32_e32 v18, 4, v0
	s_waitcnt lgkmcnt(0)
	s_barrier
	v_add_lshl_u32 v24, v1, v4, 4
	ds_read_b128 v[0:3], v18 offset:18176
	ds_read_b128 v[10:13], v24
	ds_read_b128 v[20:23], v18 offset:18192
	ds_read_b128 v[26:29], v18 offset:18208
	v_add_u32_e32 v25, 0xfffffbe0, v16
	ds_read_b128 v[30:33], v25
	ds_read_b128 v[44:47], v25 offset:528
	s_waitcnt lgkmcnt(4)
	v_mul_f64 v[34:35], v[2:3], v[12:13]
	v_fma_f64 v[34:35], v[0:1], v[10:11], -v[34:35]
	v_mul_f64 v[0:1], v[0:1], v[12:13]
	v_fmac_f64_e32 v[0:1], v[2:3], v[10:11]
	s_waitcnt lgkmcnt(1)
	v_mul_f64 v[12:13], v[20:21], v[32:33]
	v_add_f64 v[0:1], v[0:1], 0
	v_mul_f64 v[10:11], v[22:23], v[32:33]
	v_fmac_f64_e32 v[12:13], v[22:23], v[30:31]
	v_add_f64 v[2:3], v[34:35], 0
	v_fma_f64 v[10:11], v[20:21], v[30:31], -v[10:11]
	v_add_f64 v[22:23], v[0:1], v[12:13]
	s_waitcnt lgkmcnt(0)
	v_mul_f64 v[0:1], v[28:29], v[46:47]
	v_add_f64 v[20:21], v[2:3], v[10:11]
	v_fma_f64 v[30:31], v[26:27], v[44:45], -v[0:1]
	ds_read_b128 v[0:3], v18 offset:18224
	ds_read_b128 v[10:13], v16
	v_mul_f64 v[26:27], v[26:27], v[46:47]
	v_fmac_f64_e32 v[26:27], v[28:29], v[44:45]
	v_add_f64 v[22:23], v[22:23], v[26:27]
	v_add_f64 v[20:21], v[20:21], v[30:31]
	s_waitcnt lgkmcnt(0)
	v_mul_f64 v[26:27], v[2:3], v[12:13]
	v_mul_f64 v[12:13], v[0:1], v[12:13]
	v_fma_f64 v[26:27], v[0:1], v[10:11], -v[26:27]
	v_fmac_f64_e32 v[12:13], v[2:3], v[10:11]
	v_add_f64 v[0:1], v[20:21], v[26:27]
	v_add_f64 v[2:3], v[22:23], v[12:13]
	v_add_lshl_u32 v44, v14, v15, 4
	s_barrier
	ds_write_b128 v44, v[0:3]
	v_mov_b64_e32 v[0:1], 0
	v_cmp_gt_u32_e64 s[14:15], 32, v42
	v_lshlrev_b32_e32 v43, 4, v15
	v_mov_b64_e32 v[2:3], v[0:1]
	s_waitcnt lgkmcnt(0)
	s_barrier
	s_and_saveexec_b64 s[16:17], s[14:15]
	s_cbranch_execz .LBB190_44
; %bb.43:
	ds_read_b128 v[0:3], v43
	ds_read_b128 v[10:13], v43 offset:16
	ds_read_b128 v[20:23], v43 offset:32
	ds_read_b128 v[26:29], v43 offset:48
	s_waitcnt lgkmcnt(2)
	v_add_f64 v[0:1], v[10:11], v[0:1]
	v_add_f64 v[10:11], v[12:13], v[2:3]
	s_waitcnt lgkmcnt(1)
	v_add_f64 v[12:13], v[0:1], v[20:21]
	ds_read_b128 v[0:3], v43 offset:64
	v_add_f64 v[10:11], v[10:11], v[22:23]
	s_waitcnt lgkmcnt(1)
	v_add_f64 v[20:21], v[12:13], v[26:27]
	v_add_f64 v[26:27], v[10:11], v[28:29]
	ds_read_b128 v[10:13], v43 offset:80
	s_waitcnt lgkmcnt(1)
	v_add_f64 v[28:29], v[20:21], v[0:1]
	ds_read_b128 v[20:23], v43 offset:96
	v_add_f64 v[26:27], v[26:27], v[2:3]
	ds_read_b128 v[0:3], v43 offset:112
	s_waitcnt lgkmcnt(2)
	v_add_f64 v[10:11], v[28:29], v[10:11]
	v_add_f64 v[12:13], v[26:27], v[12:13]
	s_waitcnt lgkmcnt(1)
	v_add_f64 v[10:11], v[10:11], v[20:21]
	v_add_f64 v[12:13], v[12:13], v[22:23]
	;; [unrolled: 3-line block ×3, first 2 shown]
.LBB190_44:
	s_or_b64 exec, exec, s[16:17]
	s_lshl_b64 s[16:17], s[24:25], 9
	v_lshl_add_u64 v[12:13], v[8:9], 0, s[16:17]
	s_mov_b64 s[16:17], 0x200
	v_lshl_add_u64 v[10:11], v[12:13], 0, s[16:17]
	s_and_b64 vcc, exec, s[30:31]
	s_barrier
	s_cbranch_vccz .LBB190_62
; %bb.45:
	v_or_b32_e32 v7, 32, v4
	v_lshlrev_b32_e32 v8, 4, v7
	v_sub_co_u32_e32 v8, vcc, v10, v8
	s_ashr_i32 s21, s20, 31
	s_nop 0
	v_subbrev_co_u32_e32 v9, vcc, 0, v11, vcc
	v_lshl_add_u64 v[8:9], s[20:21], 4, v[8:9]
	v_lshl_add_u64 v[8:9], v[8:9], 0, -16
	v_cmp_gt_i32_e32 vcc, s20, v7
	s_sub_i32 s36, s20, 32
	v_cmp_le_i32_e64 s[16:17], s36, v14
	v_cndmask_b32_e32 v9, v9, v11, vcc
	v_cndmask_b32_e32 v8, v8, v10, vcc
	v_add_lshl_u32 v7, v5, v4, 4
	s_and_saveexec_b64 s[38:39], s[16:17]
	s_xor_b64 s[16:17], exec, s[38:39]
	s_cbranch_execz .LBB190_47
; %bb.46:
	v_mov_b32_e32 v20, 0
	v_mov_b32_e32 v21, v20
	v_mov_b32_e32 v22, v20
	v_mov_b32_e32 v23, v20
	ds_write_b128 v7, v[20:23]
.LBB190_47:
	s_andn2_saveexec_b64 s[16:17], s[16:17]
	s_cbranch_execz .LBB190_49
; %bb.48:
	flat_load_dwordx4 v[20:23], v[8:9]
	s_waitcnt vmcnt(0) lgkmcnt(0)
	ds_write2_b64 v7, v[20:21], v[22:23] offset1:1
.LBB190_49:
	s_or_b64 exec, exec, s[16:17]
	v_add_u32_e32 v19, 8, v14
	v_cmp_le_i32_e64 s[16:17], s36, v19
	s_and_saveexec_b64 s[38:39], s[16:17]
	s_xor_b64 s[16:17], exec, s[38:39]
	s_cbranch_execz .LBB190_51
; %bb.50:
	v_mul_u32_u24_e32 v19, 33, v19
	v_mov_b32_e32 v20, 0
	v_add_lshl_u32 v19, v19, v4, 4
	v_mov_b32_e32 v21, v20
	v_mov_b32_e32 v22, v20
	;; [unrolled: 1-line block ×3, first 2 shown]
	ds_write_b128 v19, v[20:23]
.LBB190_51:
	s_andn2_saveexec_b64 s[16:17], s[16:17]
	s_cbranch_execz .LBB190_53
; %bb.52:
	s_lshl_b64 s[38:39], s[24:25], 7
	v_lshl_add_u64 v[20:21], v[8:9], 0, s[38:39]
	flat_load_dwordx4 v[20:23], v[20:21]
	v_add_u32_e32 v19, 0x1080, v7
	s_waitcnt vmcnt(0) lgkmcnt(0)
	ds_write2_b64 v19, v[20:21], v[22:23] offset1:1
.LBB190_53:
	s_or_b64 exec, exec, s[16:17]
	v_add_u32_e32 v19, 16, v14
	v_cmp_le_i32_e64 s[16:17], s36, v19
	s_and_saveexec_b64 s[38:39], s[16:17]
	s_xor_b64 s[16:17], exec, s[38:39]
	s_cbranch_execz .LBB190_55
; %bb.54:
	v_mov_b32_e32 v20, 0
	v_mov_b32_e32 v21, v20
	;; [unrolled: 1-line block ×4, first 2 shown]
	ds_write_b128 v7, v[20:23] offset:8448
.LBB190_55:
	s_andn2_saveexec_b64 s[16:17], s[16:17]
	s_cbranch_execz .LBB190_57
; %bb.56:
	s_lshl_b64 s[38:39], s[24:25], 8
	v_lshl_add_u64 v[20:21], v[8:9], 0, s[38:39]
	flat_load_dwordx4 v[20:23], v[20:21]
	v_add_u32_e32 v19, 0x2100, v7
	s_waitcnt vmcnt(0) lgkmcnt(0)
	ds_write2_b64 v19, v[20:21], v[22:23] offset1:1
.LBB190_57:
	s_or_b64 exec, exec, s[16:17]
	v_add_u32_e32 v19, 24, v14
	v_cmp_le_i32_e64 s[16:17], s36, v19
	s_and_saveexec_b64 s[36:37], s[16:17]
	s_xor_b64 s[16:17], exec, s[36:37]
	s_cbranch_execz .LBB190_59
; %bb.58:
	v_mov_b32_e32 v20, 0
	v_mov_b32_e32 v21, v20
	v_mov_b32_e32 v22, v20
	v_mov_b32_e32 v23, v20
	ds_write_b128 v7, v[20:23] offset:12672
                                        ; implicit-def: $vgpr7
.LBB190_59:
	s_andn2_saveexec_b64 s[16:17], s[16:17]
	s_cbranch_execz .LBB190_61
; %bb.60:
	v_mov_b32_e32 v19, 0x180
	v_mad_u64_u32 v[20:21], s[36:37], s24, v19, v[8:9]
	v_add_u32_e32 v21, s35, v21
	flat_load_dwordx4 v[20:23], v[20:21]
	v_add_u32_e32 v7, 0x3180, v7
	s_waitcnt vmcnt(0) lgkmcnt(0)
	ds_write2_b64 v7, v[20:21], v[22:23] offset1:1
.LBB190_61:
	s_or_b64 exec, exec, s[16:17]
	v_mov_b32_e32 v7, 0
	v_lshl_add_u64 v[8:9], v[8:9], 0, v[6:7]
	s_lshl_b64 s[16:17], s[20:21], 4
	v_mov_b32_e32 v7, s17
	v_subrev_co_u32_e64 v8, s[16:17], s16, v8
	s_nop 1
	v_subb_co_u32_e64 v9, s[16:17], v9, v7, s[16:17]
	s_mov_b64 s[16:17], 0x210
	s_nop 0
	v_lshl_add_u64 v[8:9], v[8:9], 0, s[16:17]
	v_cndmask_b32_e32 v9, v9, v11, vcc
	v_cndmask_b32_e32 v8, v8, v10, vcc
	s_branch .LBB190_64
.LBB190_62:
                                        ; implicit-def: $vgpr8_vgpr9
	s_cbranch_execz .LBB190_64
; %bb.63:
	flat_load_dwordx4 v[20:23], v[10:11]
	v_add_lshl_u32 v7, v5, v4, 4
	s_lshl_b64 s[16:17], s[24:25], 7
	v_lshl_add_u64 v[8:9], v[12:13], 0, s[16:17]
	v_add_u32_e32 v19, 0x1080, v7
	s_waitcnt vmcnt(0) lgkmcnt(0)
	ds_write2_b64 v7, v[20:21], v[22:23] offset1:1
	flat_load_dwordx4 v[20:23], v[8:9] offset:512
	v_lshl_add_u64 v[8:9], v[8:9], 0, s[16:17]
	s_waitcnt vmcnt(0) lgkmcnt(0)
	ds_write2_b64 v19, v[20:21], v[22:23] offset1:1
	flat_load_dwordx4 v[20:23], v[8:9] offset:512
	v_mov_b32_e32 v8, 0x180
	v_add_u32_e32 v19, 0x2100, v7
	v_mad_u64_u32 v[8:9], s[16:17], s24, v8, v[12:13]
	v_add_u32_e32 v9, s35, v9
	v_add_u32_e32 v7, 0x3180, v7
	s_waitcnt vmcnt(0) lgkmcnt(0)
	ds_write2_b64 v19, v[20:21], v[22:23] offset1:1
	flat_load_dwordx4 v[20:23], v[8:9] offset:512
	v_mov_b64_e32 v[8:9], v[10:11]
	s_waitcnt vmcnt(0) lgkmcnt(0)
	ds_write2_b64 v7, v[20:21], v[22:23] offset1:1
.LBB190_64:
	s_waitcnt lgkmcnt(0)
	s_barrier
	s_and_saveexec_b64 s[16:17], s[6:7]
	s_cbranch_execnz .LBB190_89
; %bb.65:
	s_or_b64 exec, exec, s[16:17]
	s_and_saveexec_b64 s[6:7], s[8:9]
	s_cbranch_execnz .LBB190_90
.LBB190_66:
	s_or_b64 exec, exec, s[6:7]
	s_and_saveexec_b64 s[6:7], s[10:11]
	s_cbranch_execnz .LBB190_91
.LBB190_67:
	s_or_b64 exec, exec, s[6:7]
	v_add_u32_e32 v12, 0x4700, v18
	s_and_saveexec_b64 s[6:7], s[12:13]
	s_cbranch_execz .LBB190_69
.LBB190_68:
	ds_read_b128 v[18:21], v16
	s_waitcnt lgkmcnt(0)
	ds_write_b128 v17, v[18:21] offset:48
.LBB190_69:
	s_or_b64 exec, exec, s[6:7]
	s_waitcnt lgkmcnt(0)
	s_barrier
	ds_read_b128 v[18:21], v12 offset:512
	ds_read_b128 v[26:29], v24
	ds_read_b128 v[30:33], v12 offset:528
	ds_read_b128 v[46:49], v12 offset:544
	;; [unrolled: 1-line block ×3, first 2 shown]
	ds_read_b128 v[54:57], v25
	v_cmp_eq_u32_e64 s[6:7], 1, v14
	s_waitcnt lgkmcnt(4)
	v_mul_f64 v[10:11], v[20:21], v[28:29]
	v_fma_f64 v[10:11], v[18:19], v[26:27], -v[10:11]
	v_mul_f64 v[18:19], v[18:19], v[28:29]
	v_fmac_f64_e32 v[18:19], v[20:21], v[26:27]
	v_add_f64 v[22:23], v[18:19], 0
	s_waitcnt lgkmcnt(0)
	v_mul_f64 v[18:19], v[32:33], v[56:57]
	v_fma_f64 v[26:27], v[30:31], v[54:55], -v[18:19]
	v_mul_f64 v[28:29], v[30:31], v[56:57]
	ds_read_b128 v[18:21], v25 offset:528
	v_add_f64 v[10:11], v[10:11], 0
	v_fmac_f64_e32 v[28:29], v[32:33], v[54:55]
	v_add_f64 v[10:11], v[10:11], v[26:27]
	v_add_f64 v[22:23], v[22:23], v[28:29]
	ds_read_b128 v[26:29], v16
	s_waitcnt lgkmcnt(1)
	v_mul_f64 v[30:31], v[48:49], v[20:21]
	v_mul_f64 v[20:21], v[46:47], v[20:21]
	v_fmac_f64_e32 v[20:21], v[48:49], v[18:19]
	v_fma_f64 v[30:31], v[46:47], v[18:19], -v[30:31]
	v_add_f64 v[20:21], v[22:23], v[20:21]
	s_waitcnt lgkmcnt(0)
	v_mul_f64 v[18:19], v[52:53], v[28:29]
	v_mul_f64 v[22:23], v[50:51], v[28:29]
	v_add_f64 v[10:11], v[10:11], v[30:31]
	v_fma_f64 v[18:19], v[50:51], v[26:27], -v[18:19]
	v_fmac_f64_e32 v[22:23], v[52:53], v[26:27]
	v_add_f64 v[18:19], v[10:11], v[18:19]
	v_add_f64 v[20:21], v[20:21], v[22:23]
	s_barrier
	ds_write_b128 v44, v[18:21]
	s_waitcnt lgkmcnt(0)
	s_barrier
	s_and_saveexec_b64 s[8:9], s[6:7]
	s_cbranch_execz .LBB190_71
; %bb.70:
	ds_read_b128 v[0:3], v43
	ds_read_b128 v[18:21], v43 offset:16
	ds_read_b128 v[26:29], v43 offset:32
	;; [unrolled: 1-line block ×3, first 2 shown]
	s_waitcnt lgkmcnt(2)
	v_add_f64 v[0:1], v[18:19], v[0:1]
	v_add_f64 v[10:11], v[20:21], v[2:3]
	s_waitcnt lgkmcnt(1)
	v_add_f64 v[18:19], v[0:1], v[26:27]
	ds_read_b128 v[0:3], v43 offset:64
	v_add_f64 v[10:11], v[10:11], v[28:29]
	s_waitcnt lgkmcnt(1)
	v_add_f64 v[22:23], v[18:19], v[30:31]
	ds_read_b128 v[18:21], v43 offset:80
	v_add_f64 v[10:11], v[10:11], v[32:33]
	ds_read_b128 v[26:29], v43 offset:96
	s_waitcnt lgkmcnt(2)
	v_add_f64 v[22:23], v[22:23], v[0:1]
	v_add_f64 v[10:11], v[10:11], v[2:3]
	ds_read_b128 v[0:3], v43 offset:112
	s_waitcnt lgkmcnt(2)
	v_add_f64 v[18:19], v[22:23], v[18:19]
	v_add_f64 v[10:11], v[10:11], v[20:21]
	s_waitcnt lgkmcnt(1)
	v_add_f64 v[18:19], v[18:19], v[26:27]
	v_add_f64 v[10:11], v[10:11], v[28:29]
	s_waitcnt lgkmcnt(0)
	v_add_f64 v[0:1], v[18:19], v[0:1]
	v_add_f64 v[2:3], v[10:11], v[2:3]
.LBB190_71:
	s_or_b64 exec, exec, s[8:9]
	s_movk_i32 s8, 0xfe00
	s_mov_b32 s9, -1
	v_lshl_add_u64 v[8:9], v[8:9], 0, s[8:9]
	s_and_b64 vcc, exec, s[30:31]
	s_barrier
	s_cbranch_vccz .LBB190_92
; %bb.72:
	v_sub_co_u32_e32 v10, vcc, v8, v6
	s_ashr_i32 s21, s20, 31
	s_nop 0
	v_subbrev_co_u32_e32 v11, vcc, 0, v9, vcc
	v_lshl_add_u64 v[10:11], s[20:21], 4, v[10:11]
	v_lshl_add_u64 v[10:11], v[10:11], 0, -16
	v_cmp_gt_i32_e32 vcc, s20, v4
	s_sub_i32 s10, s20, 32
	v_cmp_le_i32_e64 s[8:9], s10, v14
	v_cndmask_b32_e32 v11, v11, v9, vcc
	v_cndmask_b32_e32 v10, v10, v8, vcc
	v_add_lshl_u32 v7, v5, v4, 4
	s_and_saveexec_b64 s[12:13], s[8:9]
	s_xor_b64 s[8:9], exec, s[12:13]
	s_cbranch_execz .LBB190_74
; %bb.73:
	v_mov_b32_e32 v18, 0
	v_mov_b32_e32 v19, v18
	;; [unrolled: 1-line block ×4, first 2 shown]
	ds_write_b128 v7, v[18:21]
.LBB190_74:
	s_andn2_saveexec_b64 s[8:9], s[8:9]
	s_cbranch_execz .LBB190_76
; %bb.75:
	flat_load_dwordx4 v[18:21], v[10:11]
	s_waitcnt vmcnt(0) lgkmcnt(0)
	ds_write2_b64 v7, v[18:19], v[20:21] offset1:1
.LBB190_76:
	s_or_b64 exec, exec, s[8:9]
	v_add_u32_e32 v13, 8, v14
	v_cmp_le_i32_e64 s[8:9], s10, v13
	s_and_saveexec_b64 s[12:13], s[8:9]
	s_xor_b64 s[8:9], exec, s[12:13]
	s_cbranch_execz .LBB190_78
; %bb.77:
	v_mul_u32_u24_e32 v17, 33, v13
	v_mov_b32_e32 v18, 0
	v_add_lshl_u32 v17, v17, v4, 4
	v_mov_b32_e32 v19, v18
	v_mov_b32_e32 v20, v18
	;; [unrolled: 1-line block ×3, first 2 shown]
	ds_write_b128 v17, v[18:21]
.LBB190_78:
	s_andn2_saveexec_b64 s[8:9], s[8:9]
	s_cbranch_execz .LBB190_80
; %bb.79:
	s_lshl_b64 s[12:13], s[24:25], 7
	v_lshl_add_u64 v[18:19], v[10:11], 0, s[12:13]
	flat_load_dwordx4 v[18:21], v[18:19]
	v_add_u32_e32 v17, 0x1080, v7
	s_waitcnt vmcnt(0) lgkmcnt(0)
	ds_write2_b64 v17, v[18:19], v[20:21] offset1:1
.LBB190_80:
	s_or_b64 exec, exec, s[8:9]
	v_add_u32_e32 v17, 16, v14
	v_cmp_le_i32_e64 s[8:9], s10, v17
	s_and_saveexec_b64 s[12:13], s[8:9]
	s_xor_b64 s[8:9], exec, s[12:13]
	s_cbranch_execz .LBB190_82
; %bb.81:
	v_mov_b32_e32 v18, 0
	v_mov_b32_e32 v19, v18
	;; [unrolled: 1-line block ×4, first 2 shown]
	ds_write_b128 v7, v[18:21] offset:8448
.LBB190_82:
	s_andn2_saveexec_b64 s[8:9], s[8:9]
	s_cbranch_execz .LBB190_84
; %bb.83:
	s_lshl_b64 s[12:13], s[24:25], 8
	v_lshl_add_u64 v[18:19], v[10:11], 0, s[12:13]
	flat_load_dwordx4 v[18:21], v[18:19]
	v_add_u32_e32 v22, 0x2100, v7
	s_waitcnt vmcnt(0) lgkmcnt(0)
	ds_write2_b64 v22, v[18:19], v[20:21] offset1:1
.LBB190_84:
	s_or_b64 exec, exec, s[8:9]
	v_add_u32_e32 v18, 24, v14
	v_cmp_le_i32_e64 s[8:9], s10, v18
	s_and_saveexec_b64 s[10:11], s[8:9]
	s_xor_b64 s[8:9], exec, s[10:11]
	s_cbranch_execz .LBB190_86
; %bb.85:
	v_mov_b32_e32 v20, 0
	v_mov_b32_e32 v21, v20
	;; [unrolled: 1-line block ×4, first 2 shown]
	ds_write_b128 v7, v[20:23] offset:12672
                                        ; implicit-def: $vgpr7
.LBB190_86:
	s_andn2_saveexec_b64 s[8:9], s[8:9]
	s_cbranch_execz .LBB190_88
; %bb.87:
	v_mov_b32_e32 v19, 0x180
	v_mad_u64_u32 v[20:21], s[10:11], s24, v19, v[10:11]
	v_add_u32_e32 v21, s35, v21
	flat_load_dwordx4 v[20:23], v[20:21]
	v_add_u32_e32 v7, 0x3180, v7
	s_waitcnt vmcnt(0) lgkmcnt(0)
	ds_write2_b64 v7, v[20:21], v[22:23] offset1:1
.LBB190_88:
	s_or_b64 exec, exec, s[8:9]
	v_mov_b32_e32 v7, 0
	v_lshl_add_u64 v[6:7], v[10:11], 0, v[6:7]
	s_lshl_b64 s[8:9], s[20:21], 4
	v_mov_b32_e32 v10, s9
	v_subrev_co_u32_e64 v6, s[8:9], s8, v6
	s_nop 1
	v_subb_co_u32_e64 v7, s[8:9], v7, v10, s[8:9]
	v_lshl_add_u64 v[6:7], v[6:7], 0, 16
	v_cndmask_b32_e32 v41, v7, v9, vcc
	v_cndmask_b32_e32 v40, v6, v8, vcc
	s_branch .LBB190_94
.LBB190_89:
	ds_read_b128 v[10:13], v24
	s_waitcnt lgkmcnt(0)
	ds_write_b128 v17, v[10:13]
	s_or_b64 exec, exec, s[16:17]
	s_and_saveexec_b64 s[6:7], s[8:9]
	s_cbranch_execz .LBB190_66
.LBB190_90:
	ds_read_b128 v[10:13], v25
	s_waitcnt lgkmcnt(0)
	ds_write_b128 v17, v[10:13] offset:16
	s_or_b64 exec, exec, s[6:7]
	s_and_saveexec_b64 s[6:7], s[10:11]
	s_cbranch_execz .LBB190_67
.LBB190_91:
	v_add_u32_e32 v7, 0x210, v25
	ds_read_b128 v[10:13], v7
	s_waitcnt lgkmcnt(0)
	ds_write_b128 v17, v[10:13] offset:32
	s_or_b64 exec, exec, s[6:7]
	v_add_u32_e32 v12, 0x4700, v18
	s_and_saveexec_b64 s[6:7], s[12:13]
	s_cbranch_execnz .LBB190_68
	s_branch .LBB190_69
.LBB190_92:
                                        ; implicit-def: $vgpr40_vgpr41
                                        ; implicit-def: $vgpr13
                                        ; implicit-def: $vgpr17
                                        ; implicit-def: $vgpr18
	s_cbranch_execz .LBB190_94
; %bb.93:
	flat_load_dwordx4 v[18:21], v[8:9]
	v_add_lshl_u32 v22, v5, v4, 4
	s_lshl_b64 s[8:9], s[24:25], 7
	v_lshl_add_u64 v[10:11], v[8:9], 0, s[8:9]
	v_add_u32_e32 v13, 0x1080, v22
	v_add_u32_e32 v17, 16, v14
	v_mov_b64_e32 v[40:41], v[8:9]
	s_waitcnt vmcnt(0) lgkmcnt(0)
	ds_write2_b64 v22, v[18:19], v[20:21] offset1:1
	flat_load_dwordx4 v[4:7], v[10:11]
	v_lshl_add_u64 v[10:11], v[10:11], 0, s[8:9]
	v_add_u32_e32 v18, 24, v14
	s_waitcnt vmcnt(0) lgkmcnt(0)
	ds_write2_b64 v13, v[4:5], v[6:7] offset1:1
	flat_load_dwordx4 v[4:7], v[10:11]
	v_mov_b32_e32 v10, 0x180
	v_add_u32_e32 v13, 0x2100, v22
	v_mad_u64_u32 v[10:11], s[8:9], s24, v10, v[8:9]
	v_add_u32_e32 v11, s35, v11
	s_waitcnt vmcnt(0) lgkmcnt(0)
	ds_write2_b64 v13, v[4:5], v[6:7] offset1:1
	flat_load_dwordx4 v[4:7], v[10:11]
	v_add_u32_e32 v13, 8, v14
	v_add_u32_e32 v10, 0x3180, v22
	s_waitcnt vmcnt(0) lgkmcnt(0)
	ds_write2_b64 v10, v[4:5], v[6:7] offset1:1
.LBB190_94:
	v_lshlrev_b32_e32 v4, 4, v14
	s_waitcnt lgkmcnt(0)
	s_barrier
	ds_read_b128 v[46:49], v44
	ds_read_b128 v[50:53], v4 offset:18176
	v_add_lshl_u32 v4, v13, v15, 4
	v_lshlrev_b32_e32 v10, 4, v13
	ds_read_b128 v[54:57], v4
	ds_read_b128 v[4:7], v25 offset:528
	ds_read_b128 v[58:61], v10 offset:18176
	s_waitcnt lgkmcnt(3)
	v_mul_f64 v[8:9], v[48:49], v[52:53]
	v_add_lshl_u32 v10, v17, v15, 4
	v_lshlrev_b32_e32 v13, 4, v17
	v_fma_f64 v[8:9], v[46:47], v[50:51], -v[8:9]
	ds_read_b128 v[62:65], v10
	ds_read_b128 v[66:69], v13 offset:18176
	s_waitcnt lgkmcnt(2)
	v_mul_f64 v[10:11], v[56:57], v[60:61]
	v_add_f64 v[8:9], v[8:9], 0
	v_fma_f64 v[10:11], v[54:55], v[58:59], -v[10:11]
	v_add_f64 v[8:9], v[8:9], v[10:11]
	v_add_lshl_u32 v10, v18, v15, 4
	v_lshlrev_b32_e32 v13, 4, v18
	v_mul_f64 v[74:75], v[46:47], v[52:53]
	v_mul_f64 v[60:61], v[54:55], v[60:61]
	ds_read_b128 v[52:55], v10
	ds_read_b128 v[70:73], v13 offset:18176
	s_waitcnt lgkmcnt(2)
	v_mul_f64 v[10:11], v[64:65], v[68:69]
	v_fma_f64 v[10:11], v[62:63], v[66:67], -v[10:11]
	v_add_f64 v[14:15], v[8:9], v[10:11]
	ds_read_b128 v[8:11], v16
	s_waitcnt lgkmcnt(1)
	v_mul_f64 v[16:17], v[54:55], v[72:73]
	v_fma_f64 v[16:17], v[52:53], v[70:71], -v[16:17]
	v_add_f64 v[46:47], v[14:15], v[16:17]
	ds_read_b128 v[20:23], v12 offset:528
	ds_read_b128 v[16:19], v12 offset:544
	;; [unrolled: 1-line block ×3, first 2 shown]
	ds_read_b128 v[32:35], v24
	ds_read_b128 v[12:15], v12 offset:560
	ds_read_b128 v[24:27], v25
	v_fmac_f64_e32 v[74:75], v[48:49], v[50:51]
	v_mul_f64 v[62:63], v[62:63], v[68:69]
	v_add_f64 v[48:49], v[74:75], 0
	v_fmac_f64_e32 v[60:61], v[56:57], v[58:59]
	v_mul_f64 v[52:53], v[52:53], v[72:73]
	v_add_f64 v[48:49], v[48:49], v[60:61]
	v_fmac_f64_e32 v[62:63], v[64:65], v[66:67]
	v_add_f64 v[48:49], v[48:49], v[62:63]
	v_fmac_f64_e32 v[52:53], v[54:55], v[70:71]
	v_add_f64 v[48:49], v[48:49], v[52:53]
	s_waitcnt lgkmcnt(0)
	s_barrier
	ds_write_b128 v44, v[46:49]
	s_waitcnt lgkmcnt(0)
	s_barrier
	s_and_saveexec_b64 s[8:9], s[6:7]
	s_cbranch_execz .LBB190_96
; %bb.95:
	ds_read_b128 v[46:49], v43
	ds_read_b128 v[50:53], v43 offset:16
	ds_read_b128 v[54:57], v43 offset:32
	ds_read_b128 v[58:61], v43 offset:48
	s_waitcnt lgkmcnt(3)
	v_add_f64 v[0:1], v[0:1], v[46:47]
	v_add_f64 v[2:3], v[2:3], v[48:49]
	s_waitcnt lgkmcnt(2)
	v_add_f64 v[0:1], v[0:1], v[50:51]
	v_add_f64 v[46:47], v[2:3], v[52:53]
	s_waitcnt lgkmcnt(1)
	v_add_f64 v[48:49], v[0:1], v[54:55]
	ds_read_b128 v[0:3], v43 offset:64
	v_add_f64 v[46:47], v[46:47], v[56:57]
	s_waitcnt lgkmcnt(1)
	v_add_f64 v[50:51], v[48:49], v[58:59]
	v_add_f64 v[54:55], v[46:47], v[60:61]
	ds_read_b128 v[46:49], v43 offset:80
	s_waitcnt lgkmcnt(1)
	v_add_f64 v[56:57], v[50:51], v[0:1]
	ds_read_b128 v[50:53], v43 offset:96
	v_add_f64 v[54:55], v[54:55], v[2:3]
	ds_read_b128 v[0:3], v43 offset:112
	s_waitcnt lgkmcnt(2)
	v_add_f64 v[46:47], v[56:57], v[46:47]
	v_add_f64 v[48:49], v[54:55], v[48:49]
	s_waitcnt lgkmcnt(1)
	v_add_f64 v[46:47], v[46:47], v[50:51]
	v_add_f64 v[48:49], v[48:49], v[52:53]
	;; [unrolled: 3-line block ×3, first 2 shown]
.LBB190_96:
	s_or_b64 exec, exec, s[8:9]
	v_mul_f64 v[46:47], v[30:31], v[34:35]
	v_fma_f64 v[46:47], v[28:29], v[32:33], -v[46:47]
	v_mul_f64 v[28:29], v[28:29], v[34:35]
	v_fmac_f64_e32 v[28:29], v[30:31], v[32:33]
	v_mul_f64 v[32:33], v[22:23], v[26:27]
	v_fma_f64 v[32:33], v[20:21], v[24:25], -v[32:33]
	v_mul_f64 v[20:21], v[20:21], v[26:27]
	v_add_f64 v[30:31], v[46:47], 0
	v_add_f64 v[28:29], v[28:29], 0
	v_fmac_f64_e32 v[20:21], v[22:23], v[24:25]
	v_mul_f64 v[24:25], v[18:19], v[6:7]
	v_mul_f64 v[6:7], v[16:17], v[6:7]
	v_add_f64 v[22:23], v[30:31], v[32:33]
	v_add_f64 v[20:21], v[28:29], v[20:21]
	v_fma_f64 v[24:25], v[16:17], v[4:5], -v[24:25]
	v_fmac_f64_e32 v[6:7], v[18:19], v[4:5]
	v_mul_f64 v[16:17], v[14:15], v[10:11]
	v_mul_f64 v[10:11], v[12:13], v[10:11]
	v_add_f64 v[4:5], v[22:23], v[24:25]
	v_add_f64 v[6:7], v[20:21], v[6:7]
	v_fma_f64 v[16:17], v[12:13], v[8:9], -v[16:17]
	v_fmac_f64_e32 v[10:11], v[14:15], v[8:9]
	v_add_f64 v[4:5], v[4:5], v[16:17]
	v_add_f64 v[6:7], v[6:7], v[10:11]
	s_barrier
	ds_write_b128 v44, v[4:7]
	s_waitcnt lgkmcnt(0)
	s_barrier
	s_and_saveexec_b64 s[6:7], s[14:15]
	s_cbranch_execz .LBB190_98
; %bb.97:
	ds_read_b128 v[4:7], v43
	ds_read_b128 v[8:11], v43 offset:16
	ds_read_b128 v[12:15], v43 offset:32
	;; [unrolled: 1-line block ×3, first 2 shown]
	s_waitcnt lgkmcnt(3)
	v_add_f64 v[0:1], v[0:1], v[4:5]
	v_add_f64 v[2:3], v[2:3], v[6:7]
	s_waitcnt lgkmcnt(2)
	v_add_f64 v[0:1], v[0:1], v[8:9]
	v_add_f64 v[4:5], v[2:3], v[10:11]
	s_waitcnt lgkmcnt(1)
	v_add_f64 v[6:7], v[0:1], v[12:13]
	ds_read_b128 v[0:3], v43 offset:64
	v_add_f64 v[4:5], v[4:5], v[14:15]
	s_waitcnt lgkmcnt(1)
	v_add_f64 v[8:9], v[6:7], v[16:17]
	v_add_f64 v[12:13], v[4:5], v[18:19]
	ds_read_b128 v[4:7], v43 offset:80
	s_waitcnt lgkmcnt(1)
	v_add_f64 v[14:15], v[8:9], v[0:1]
	ds_read_b128 v[8:11], v43 offset:96
	v_add_f64 v[12:13], v[12:13], v[2:3]
	ds_read_b128 v[0:3], v43 offset:112
	s_waitcnt lgkmcnt(2)
	v_add_f64 v[4:5], v[14:15], v[4:5]
	v_add_f64 v[6:7], v[12:13], v[6:7]
	s_waitcnt lgkmcnt(1)
	v_add_f64 v[4:5], v[4:5], v[8:9]
	v_add_f64 v[6:7], v[6:7], v[10:11]
	;; [unrolled: 3-line block ×3, first 2 shown]
.LBB190_98:
	s_or_b64 exec, exec, s[6:7]
	s_load_dwordx2 s[0:1], s[0:1], 0x78
	s_mul_hi_u32 s6, s33, s26
	s_mul_i32 s34, s34, s26
	s_add_i32 s6, s6, s34
	s_mul_i32 s8, s33, s26
	s_mul_i32 s6, s6, s3
	s_mul_hi_u32 s7, s8, s3
	s_add_i32 s7, s7, s6
	s_mul_i32 s6, s8, s3
	s_lshl_b64 s[6:7], s[6:7], 4
	s_waitcnt lgkmcnt(0)
	s_add_u32 s6, s0, s6
	s_addc_u32 s7, s1, s7
	s_mul_hi_i32 s1, s33, s2
	s_mul_i32 s0, s33, s2
	s_lshl_b64 s[0:1], s[0:1], 4
	s_add_u32 s8, s6, s0
	s_addc_u32 s9, s7, s1
	s_add_i32 s0, s2, 1
	s_cmp_ge_u32 s0, s3
	v_lshlrev_b32_e32 v168, 4, v204
	s_barrier
	s_cbranch_scc1 .LBB190_156
; %bb.99:
	s_mul_i32 s0, s28, s19
	s_mul_hi_u32 s1, s28, s18
	s_add_i32 s0, s1, s0
	s_mul_i32 s1, s29, s18
	s_add_i32 s1, s0, s1
	s_mul_i32 s0, s28, s18
	s_lshl_b64 s[0:1], s[0:1], 4
	v_mov_b32_e32 v4, s1
	v_subrev_co_u32_e32 v170, vcc, s0, v36
	v_and_b32_e32 v6, 48, v204
	s_nop 0
	v_subb_co_u32_e32 v171, vcc, v37, v4, vcc
	v_and_b32_e32 v4, 15, v204
	v_lshlrev_b32_e32 v7, 4, v6
	s_movk_i32 s0, 0x430
	v_lshrrev_b32_e32 v5, 4, v42
	v_mad_u32_u24 v209, v4, s0, v7
	v_or_b32_e32 v7, 0xf0, v168
	v_mad_u32_u24 v210, v4, s0, v7
	v_lshlrev_b32_e32 v7, 6, v5
	v_lshlrev_b32_e32 v12, 6, v205
	v_mad_u32_u24 v211, v4, s0, v7
	s_movk_i32 s0, 0x10c0
	v_mul_i32_i24_e32 v13, 0xffffffd0, v5
	v_add_u32_e32 v5, 0x220, v12
	v_mad_u32_u24 v216, v205, s0, v168
	v_or_b32_e32 v229, v6, v4
	v_mad_u64_u32 v[6:7], s[0:1], s24, v5, 0
	v_mov_b32_e32 v8, v7
	v_mad_u64_u32 v[8:9], s[0:1], s25, v5, v[8:9]
	v_mov_b32_e32 v5, v8
	v_lshlrev_b64 v[8:9], 4, v[38:39]
	v_sub_co_u32_e32 v6, vcc, v6, v8
	v_lshlrev_b32_e32 v206, 2, v205
	s_nop 0
	v_subb_co_u32_e32 v7, vcc, v5, v9, vcc
	v_add_u32_e32 v5, 0x530, v12
	v_lshl_add_u64 v[172:173], v[40:41], 0, v[6:7]
	v_mad_u64_u32 v[6:7], s[0:1], s24, v5, 0
	v_mov_b32_e32 v10, v7
	v_mad_u64_u32 v[10:11], s[0:1], s25, v5, v[10:11]
	v_mov_b32_e32 v5, v10
	v_sub_co_u32_e32 v6, vcc, v6, v8
	v_mov_b32_e32 v4, 0
	s_nop 0
	v_subb_co_u32_e32 v7, vcc, v5, v9, vcc
	v_add_u32_e32 v5, 0x210, v12
	v_lshl_add_u64 v[174:175], v[40:41], 0, v[6:7]
	v_mad_u64_u32 v[6:7], s[0:1], s24, v5, 0
	v_mov_b32_e32 v10, v7
	v_mad_u64_u32 v[10:11], s[0:1], s25, v5, v[10:11]
	v_mov_b32_e32 v5, v10
	v_sub_co_u32_e32 v6, vcc, v6, v8
	s_add_i32 s21, s3, -2
	s_nop 0
	v_subb_co_u32_e32 v7, vcc, v5, v9, vcc
	v_add_u32_e32 v5, 0x500, v12
	v_lshl_add_u64 v[176:177], v[40:41], 0, v[6:7]
	v_mad_u64_u32 v[6:7], s[0:1], s24, v5, 0
	v_mov_b32_e32 v10, v7
	v_mad_u64_u32 v[10:11], s[0:1], s25, v5, v[10:11]
	v_mov_b32_e32 v5, v10
	v_sub_co_u32_e32 v6, vcc, v6, v8
	v_add_u32_e32 v207, 0x4300, v168
	s_nop 0
	v_subb_co_u32_e32 v7, vcc, v5, v9, vcc
	v_add_u32_e32 v5, 0x200, v12
	v_lshl_add_u64 v[178:179], v[40:41], 0, v[6:7]
	v_mad_u64_u32 v[6:7], s[0:1], s24, v5, 0
	v_mov_b32_e32 v10, v7
	v_mad_u64_u32 v[10:11], s[0:1], s25, v5, v[10:11]
	v_mov_b32_e32 v5, v10
	v_sub_co_u32_e32 v6, vcc, v6, v8
	v_add_u32_e32 v208, 0x4700, v168
	s_nop 0
	v_subb_co_u32_e32 v7, vcc, v5, v9, vcc
	v_add_u32_e32 v5, 0x510, v12
	v_lshl_add_u64 v[180:181], v[40:41], 0, v[6:7]
	v_mad_u64_u32 v[6:7], s[0:1], s24, v5, 0
	v_mov_b32_e32 v10, v7
	v_mad_u64_u32 v[10:11], s[0:1], s25, v5, v[10:11]
	v_mov_b32_e32 v5, v10
	v_sub_co_u32_e32 v6, vcc, v6, v8
	v_cmp_gt_u32_e64 s[6:7], 64, v42
	s_nop 0
	v_subb_co_u32_e32 v7, vcc, v5, v9, vcc
	v_add_u32_e32 v5, 0x230, v12
	v_lshl_add_u64 v[182:183], v[40:41], 0, v[6:7]
	v_mad_u64_u32 v[6:7], s[0:1], s24, v5, 0
	v_mov_b32_e32 v10, v7
	v_mad_u64_u32 v[10:11], s[0:1], s25, v5, v[10:11]
	v_mov_b32_e32 v5, v10
	v_sub_co_u32_e32 v6, vcc, v6, v8
	v_or_b32_e32 v212, 1, v206
	s_nop 0
	v_subb_co_u32_e32 v7, vcc, v5, v9, vcc
	v_add_u32_e32 v5, 0x320, v12
	v_lshl_add_u64 v[184:185], v[40:41], 0, v[6:7]
	v_mad_u64_u32 v[6:7], s[0:1], s24, v5, 0
	v_mov_b32_e32 v10, v7
	v_mad_u64_u32 v[10:11], s[0:1], s25, v5, v[10:11]
	v_mov_b32_e32 v5, v10
	v_sub_co_u32_e32 v6, vcc, v6, v8
	v_or_b32_e32 v213, 2, v206
	;; [unrolled: 10-line block ×3, first 2 shown]
	s_nop 0
	v_subb_co_u32_e32 v7, vcc, v5, v9, vcc
	v_add_u32_e32 v5, 0x430, v12
	v_lshl_add_u64 v[188:189], v[40:41], 0, v[6:7]
	v_mad_u64_u32 v[6:7], s[0:1], s24, v5, 0
	v_mov_b32_e32 v10, v7
	v_mad_u64_u32 v[10:11], s[0:1], s25, v5, v[10:11]
	v_mov_b32_e32 v5, v10
	v_sub_co_u32_e32 v6, vcc, v6, v8
	v_add_u32_e32 v215, 0x4300, v12
	s_nop 0
	v_subb_co_u32_e32 v7, vcc, v5, v9, vcc
	v_add_u32_e32 v5, 0x310, v12
	v_lshl_add_u64 v[190:191], v[40:41], 0, v[6:7]
	v_mad_u64_u32 v[6:7], s[0:1], s24, v5, 0
	v_mov_b32_e32 v10, v7
	v_mad_u64_u32 v[10:11], s[0:1], s25, v5, v[10:11]
	v_mov_b32_e32 v5, v10
	v_sub_co_u32_e32 v6, vcc, v6, v8
	v_add_u32_e32 v217, 16, v206
	;; [unrolled: 10-line block ×7, first 2 shown]
	s_nop 0
	v_subb_co_u32_e32 v7, vcc, v5, v9, vcc
	v_add_u32_e32 v223, 34, v206
	v_add_u32_e32 v224, 35, v206
	;; [unrolled: 1-line block ×6, first 2 shown]
	s_add_i32 s26, s28, 64
	v_mov_b32_e32 v169, v4
	s_lshl_b64 s[10:11], s[24:25], 10
	v_lshl_add_u64 v[202:203], v[40:41], 0, v[6:7]
	v_add_u32_e32 v230, v211, v13
	s_cmp_eq_u32 s21, s2
	s_cselect_b32 s28, s27, 0
	s_and_saveexec_b64 s[0:1], s[4:5]
	s_cbranch_execz .LBB190_104
.LBB190_100:
	s_cmp_lg_u32 s28, 0
	s_cselect_b64 s[12:13], -1, 0
	v_cmp_le_i32_e32 vcc, s28, v204
	s_and_b64 s[12:13], s[12:13], vcc
	s_and_saveexec_b64 s[14:15], s[12:13]
	s_xor_b64 s[12:13], exec, s[14:15]
	s_cbranch_execz .LBB190_102
; %bb.101:
	v_mov_b32_e32 v5, v4
	v_mov_b32_e32 v6, v4
	;; [unrolled: 1-line block ×3, first 2 shown]
	ds_write_b128 v207, v[4:7]
.LBB190_102:
	s_andn2_saveexec_b64 s[12:13], s[12:13]
	s_cbranch_execz .LBB190_104
; %bb.103:
	s_ashr_i32 s12, s26, 31
	s_mul_i32 s13, s26, s19
	s_mul_hi_u32 s14, s26, s18
	s_add_i32 s13, s14, s13
	s_mul_i32 s12, s12, s18
	s_add_i32 s13, s13, s12
	s_mul_i32 s12, s26, s18
	v_lshl_add_u64 v[6:7], s[12:13], 4, v[170:171]
	flat_load_dwordx4 v[6:9], v[6:7]
	s_waitcnt vmcnt(0) lgkmcnt(0)
	ds_write2_b64 v207, v[6:7], v[8:9] offset1:1
.LBB190_104:                            ; =>This Inner Loop Header: Depth=1
	s_or_b64 exec, exec, s[0:1]
	s_cmp_eq_u32 s28, 0
	s_cselect_b64 s[12:13], -1, 0
	s_cmp_lg_u32 s28, 0
	s_cselect_b64 s[14:15], -1, 0
	v_lshl_add_u64 v[18:19], v[180:181], 0, v[168:169]
	s_and_b64 vcc, exec, s[14:15]
	s_waitcnt lgkmcnt(0)
	s_barrier
	s_cbranch_vccz .LBB190_112
; %bb.105:                              ;   in Loop: Header=BB190_104 Depth=1
	v_mov_b64_e32 v[10:11], 0
	v_cmp_gt_i32_e32 vcc, s28, v206
	v_mov_b64_e32 v[6:7], v[10:11]
	v_mov_b64_e32 v[8:9], v[10:11]
	s_and_saveexec_b64 s[0:1], vcc
	s_cbranch_execz .LBB190_107
; %bb.106:                              ;   in Loop: Header=BB190_104 Depth=1
	flat_load_dwordx4 v[6:9], v[18:19]
.LBB190_107:                            ;   in Loop: Header=BB190_104 Depth=1
	s_or_b64 exec, exec, s[0:1]
	v_cmp_gt_i32_e32 vcc, s28, v212
	v_mov_b64_e32 v[12:13], v[10:11]
	s_and_saveexec_b64 s[0:1], vcc
	s_cbranch_execz .LBB190_109
; %bb.108:                              ;   in Loop: Header=BB190_104 Depth=1
	v_lshl_add_u64 v[10:11], v[176:177], 0, v[168:169]
	flat_load_dwordx4 v[10:13], v[10:11]
.LBB190_109:                            ;   in Loop: Header=BB190_104 Depth=1
	s_or_b64 exec, exec, s[0:1]
	v_mov_b64_e32 v[14:15], 0
	v_cmp_gt_i32_e32 vcc, s28, v213
	s_mov_b64 s[24:25], 0
	v_mov_b64_e32 v[16:17], v[14:15]
	s_and_saveexec_b64 s[0:1], vcc
	s_cbranch_execz .LBB190_111
; %bb.110:                              ;   in Loop: Header=BB190_104 Depth=1
	v_lshl_add_u64 v[14:15], v[172:173], 0, v[168:169]
	flat_load_dwordx4 v[14:17], v[14:15]
.LBB190_111:                            ;   in Loop: Header=BB190_104 Depth=1
	s_or_b64 exec, exec, s[0:1]
	v_cmp_gt_i32_e64 s[0:1], s28, v214
	s_mov_b64 s[16:17], 0
	s_and_b64 vcc, exec, s[24:25]
	s_cbranch_vccnz .LBB190_113
	s_branch .LBB190_114
.LBB190_112:                            ;   in Loop: Header=BB190_104 Depth=1
	s_mov_b64 s[0:1], 0
                                        ; implicit-def: $sgpr16_sgpr17
                                        ; implicit-def: $vgpr16_vgpr17
                                        ; implicit-def: $vgpr12_vgpr13
                                        ; implicit-def: $vgpr8_vgpr9
	s_cbranch_execz .LBB190_114
.LBB190_113:                            ;   in Loop: Header=BB190_104 Depth=1
	s_waitcnt vmcnt(0) lgkmcnt(0)
	v_lshl_add_u64 v[10:11], v[176:177], 0, v[168:169]
	v_lshl_add_u64 v[14:15], v[172:173], 0, v[168:169]
	flat_load_dwordx4 v[6:9], v[18:19]
	s_or_b64 s[0:1], s[0:1], exec
	flat_load_dwordx4 v[10:13], v[10:11]
                                        ; implicit-def: $sgpr16_sgpr17
	s_nop 0
	flat_load_dwordx4 v[14:17], v[14:15]
.LBB190_114:                            ;   in Loop: Header=BB190_104 Depth=1
	v_mov_b64_e32 v[18:19], s[16:17]
	v_mov_b64_e32 v[20:21], s[16:17]
	s_and_saveexec_b64 s[16:17], s[0:1]
	s_cbranch_execz .LBB190_116
; %bb.115:                              ;   in Loop: Header=BB190_104 Depth=1
	v_lshl_add_u64 v[18:19], v[184:185], 0, v[168:169]
	flat_load_dwordx4 v[18:21], v[18:19]
.LBB190_116:                            ;   in Loop: Header=BB190_104 Depth=1
	s_or_b64 exec, exec, s[16:17]
	ds_read_b128 v[34:37], v208
	ds_read_b128 v[22:25], v215
	v_cndmask_b32_e64 v5, 0, 1, s[14:15]
	v_cmp_ne_u32_e64 s[0:1], 1, v5
	s_andn2_b64 vcc, exec, s[14:15]
	s_waitcnt vmcnt(0) lgkmcnt(0)
	v_mul_f64 v[26:27], v[8:9], v[36:37]
	v_mul_f64 v[28:29], v[6:7], v[36:37]
	;; [unrolled: 1-line block ×3, first 2 shown]
	v_fma_f64 v[26:27], v[6:7], v[34:35], -v[26:27]
	v_fmac_f64_e32 v[28:29], v[8:9], v[34:35]
	v_mul_f64 v[32:33], v[10:11], v[36:37]
	ds_write_b128 v216, v[26:29]
	v_fma_f64 v[30:31], v[10:11], v[34:35], -v[30:31]
	v_fmac_f64_e32 v[32:33], v[12:13], v[34:35]
	v_mul_f64 v[38:39], v[16:17], v[36:37]
	v_mul_f64 v[40:41], v[14:15], v[36:37]
	ds_read_b128 v[26:29], v215 offset:16
	ds_write_b128 v216, v[30:33] offset:1072
	v_fma_f64 v[38:39], v[14:15], v[34:35], -v[38:39]
	v_fmac_f64_e32 v[40:41], v[16:17], v[34:35]
	v_mul_f64 v[42:43], v[20:21], v[36:37]
	v_mul_f64 v[44:45], v[18:19], v[36:37]
	ds_read_b128 v[30:33], v215 offset:32
	ds_write_b128 v216, v[38:41] offset:2144
	v_fma_f64 v[42:43], v[18:19], v[34:35], -v[42:43]
	v_fmac_f64_e32 v[44:45], v[20:21], v[34:35]
	ds_read_b128 v[38:41], v215 offset:48
	ds_write_b128 v216, v[42:45] offset:3216
	s_waitcnt lgkmcnt(0)
	s_barrier
	ds_read_b128 v[98:101], v211
	ds_read_b128 v[94:97], v211 offset:16
	ds_read_b128 v[86:89], v211 offset:32
	;; [unrolled: 1-line block ×3, first 2 shown]
	v_lshl_add_u64 v[50:51], v[196:197], 0, v[168:169]
	s_waitcnt lgkmcnt(0)
	s_barrier
	s_cbranch_vccnz .LBB190_124
; %bb.117:                              ;   in Loop: Header=BB190_104 Depth=1
	v_mov_b64_e32 v[42:43], 0
	v_cmp_gt_i32_e32 vcc, s28, v217
	v_mov_b64_e32 v[34:35], v[42:43]
	v_mov_b64_e32 v[36:37], v[42:43]
	s_and_saveexec_b64 s[14:15], vcc
	s_cbranch_execz .LBB190_119
; %bb.118:                              ;   in Loop: Header=BB190_104 Depth=1
	flat_load_dwordx4 v[34:37], v[50:51]
.LBB190_119:                            ;   in Loop: Header=BB190_104 Depth=1
	s_or_b64 exec, exec, s[14:15]
	v_cmp_gt_i32_e32 vcc, s28, v218
	v_mov_b64_e32 v[44:45], v[42:43]
	s_and_saveexec_b64 s[14:15], vcc
	s_cbranch_execz .LBB190_121
; %bb.120:                              ;   in Loop: Header=BB190_104 Depth=1
	v_lshl_add_u64 v[42:43], v[192:193], 0, v[168:169]
	flat_load_dwordx4 v[42:45], v[42:43]
.LBB190_121:                            ;   in Loop: Header=BB190_104 Depth=1
	s_or_b64 exec, exec, s[14:15]
	v_mov_b64_e32 v[46:47], 0
	v_cmp_gt_i32_e32 vcc, s28, v219
	s_mov_b64 s[24:25], 0
	v_mov_b64_e32 v[48:49], v[46:47]
	s_and_saveexec_b64 s[14:15], vcc
	s_cbranch_execz .LBB190_123
; %bb.122:                              ;   in Loop: Header=BB190_104 Depth=1
	v_lshl_add_u64 v[46:47], v[186:187], 0, v[168:169]
	flat_load_dwordx4 v[46:49], v[46:47]
.LBB190_123:                            ;   in Loop: Header=BB190_104 Depth=1
	s_or_b64 exec, exec, s[14:15]
	v_cmp_gt_i32_e64 s[14:15], s28, v220
	s_mov_b64 s[16:17], 0
	s_and_b64 vcc, exec, s[24:25]
	s_cbranch_vccnz .LBB190_125
	s_branch .LBB190_126
.LBB190_124:                            ;   in Loop: Header=BB190_104 Depth=1
	s_mov_b64 s[14:15], 0
                                        ; implicit-def: $sgpr16_sgpr17
                                        ; implicit-def: $vgpr48_vgpr49
                                        ; implicit-def: $vgpr44_vgpr45
                                        ; implicit-def: $vgpr36_vgpr37
	s_cbranch_execz .LBB190_126
.LBB190_125:                            ;   in Loop: Header=BB190_104 Depth=1
	s_waitcnt vmcnt(0) lgkmcnt(0)
	v_lshl_add_u64 v[42:43], v[192:193], 0, v[168:169]
	v_lshl_add_u64 v[46:47], v[186:187], 0, v[168:169]
	flat_load_dwordx4 v[34:37], v[50:51]
	s_or_b64 s[14:15], s[14:15], exec
	flat_load_dwordx4 v[42:45], v[42:43]
                                        ; implicit-def: $sgpr16_sgpr17
	s_nop 0
	flat_load_dwordx4 v[46:49], v[46:47]
.LBB190_126:                            ;   in Loop: Header=BB190_104 Depth=1
	v_mov_b64_e32 v[50:51], s[16:17]
	v_mov_b64_e32 v[52:53], s[16:17]
	s_and_saveexec_b64 s[16:17], s[14:15]
	s_cbranch_execz .LBB190_128
; %bb.127:                              ;   in Loop: Header=BB190_104 Depth=1
	v_lshl_add_u64 v[50:51], v[200:201], 0, v[168:169]
	flat_load_dwordx4 v[50:53], v[50:51]
.LBB190_128:                            ;   in Loop: Header=BB190_104 Depth=1
	s_or_b64 exec, exec, s[16:17]
	ds_read_b128 v[66:69], v208
	ds_read_b128 v[54:57], v215 offset:256
	s_and_b64 vcc, exec, s[0:1]
	v_lshl_add_u64 v[90:91], v[194:195], 0, v[168:169]
	s_waitcnt vmcnt(0) lgkmcnt(0)
	v_mul_f64 v[58:59], v[36:37], v[68:69]
	v_mul_f64 v[60:61], v[34:35], v[68:69]
	;; [unrolled: 1-line block ×3, first 2 shown]
	v_fma_f64 v[58:59], v[34:35], v[66:67], -v[58:59]
	v_fmac_f64_e32 v[60:61], v[36:37], v[66:67]
	v_mul_f64 v[64:65], v[42:43], v[68:69]
	ds_write_b128 v216, v[58:61]
	v_fma_f64 v[62:63], v[42:43], v[66:67], -v[62:63]
	v_fmac_f64_e32 v[64:65], v[44:45], v[66:67]
	v_mul_f64 v[70:71], v[48:49], v[68:69]
	v_mul_f64 v[72:73], v[46:47], v[68:69]
	ds_read_b128 v[58:61], v215 offset:272
	ds_write_b128 v216, v[62:65] offset:1072
	v_fma_f64 v[70:71], v[46:47], v[66:67], -v[70:71]
	v_fmac_f64_e32 v[72:73], v[48:49], v[66:67]
	ds_read_b128 v[62:65], v215 offset:288
	ds_write_b128 v216, v[70:73] offset:2144
	v_mul_f64 v[70:71], v[52:53], v[68:69]
	v_mul_f64 v[72:73], v[50:51], v[68:69]
	v_fma_f64 v[70:71], v[50:51], v[66:67], -v[70:71]
	v_fmac_f64_e32 v[72:73], v[52:53], v[66:67]
	ds_read_b128 v[74:77], v215 offset:304
	ds_write_b128 v216, v[70:73] offset:3216
	s_waitcnt lgkmcnt(0)
	s_barrier
	ds_read_b128 v[146:149], v211
	ds_read_b128 v[142:145], v211 offset:16
	ds_read_b128 v[138:141], v211 offset:32
	ds_read_b128 v[134:137], v211 offset:48
	s_waitcnt lgkmcnt(0)
	s_barrier
	s_cbranch_vccnz .LBB190_136
; %bb.129:                              ;   in Loop: Header=BB190_104 Depth=1
	v_mov_b64_e32 v[70:71], 0
	v_cmp_gt_i32_e32 vcc, s28, v221
	v_mov_b64_e32 v[66:67], v[70:71]
	v_mov_b64_e32 v[68:69], v[70:71]
	s_and_saveexec_b64 s[14:15], vcc
	s_cbranch_execz .LBB190_131
; %bb.130:                              ;   in Loop: Header=BB190_104 Depth=1
	flat_load_dwordx4 v[66:69], v[90:91]
.LBB190_131:                            ;   in Loop: Header=BB190_104 Depth=1
	s_or_b64 exec, exec, s[14:15]
	v_cmp_gt_i32_e32 vcc, s28, v222
	v_mov_b64_e32 v[72:73], v[70:71]
	s_and_saveexec_b64 s[14:15], vcc
	s_cbranch_execz .LBB190_133
; %bb.132:                              ;   in Loop: Header=BB190_104 Depth=1
	v_lshl_add_u64 v[70:71], v[198:199], 0, v[168:169]
	flat_load_dwordx4 v[70:73], v[70:71]
.LBB190_133:                            ;   in Loop: Header=BB190_104 Depth=1
	s_or_b64 exec, exec, s[14:15]
	v_mov_b64_e32 v[78:79], 0
	v_cmp_gt_i32_e32 vcc, s28, v223
	s_mov_b64 s[24:25], 0
	v_mov_b64_e32 v[80:81], v[78:79]
	s_and_saveexec_b64 s[14:15], vcc
	s_cbranch_execz .LBB190_135
; %bb.134:                              ;   in Loop: Header=BB190_104 Depth=1
	v_lshl_add_u64 v[78:79], v[202:203], 0, v[168:169]
	flat_load_dwordx4 v[78:81], v[78:79]
.LBB190_135:                            ;   in Loop: Header=BB190_104 Depth=1
	s_or_b64 exec, exec, s[14:15]
	v_cmp_gt_i32_e64 s[14:15], s28, v224
	s_mov_b64 s[16:17], 0
	s_and_b64 vcc, exec, s[24:25]
	s_cbranch_vccnz .LBB190_137
	s_branch .LBB190_138
.LBB190_136:                            ;   in Loop: Header=BB190_104 Depth=1
	s_mov_b64 s[14:15], 0
                                        ; implicit-def: $sgpr16_sgpr17
                                        ; implicit-def: $vgpr80_vgpr81
                                        ; implicit-def: $vgpr72_vgpr73
                                        ; implicit-def: $vgpr68_vgpr69
	s_cbranch_execz .LBB190_138
.LBB190_137:                            ;   in Loop: Header=BB190_104 Depth=1
	s_waitcnt vmcnt(0) lgkmcnt(0)
	v_lshl_add_u64 v[70:71], v[198:199], 0, v[168:169]
	v_lshl_add_u64 v[78:79], v[202:203], 0, v[168:169]
	flat_load_dwordx4 v[66:69], v[90:91]
	s_or_b64 s[14:15], s[14:15], exec
	flat_load_dwordx4 v[70:73], v[70:71]
                                        ; implicit-def: $sgpr16_sgpr17
	s_nop 0
	flat_load_dwordx4 v[78:81], v[78:79]
.LBB190_138:                            ;   in Loop: Header=BB190_104 Depth=1
	v_mov_b64_e32 v[90:91], s[16:17]
	v_mov_b64_e32 v[92:93], s[16:17]
	s_and_saveexec_b64 s[16:17], s[14:15]
	s_cbranch_execz .LBB190_140
; %bb.139:                              ;   in Loop: Header=BB190_104 Depth=1
	v_lshl_add_u64 v[90:91], v[190:191], 0, v[168:169]
	flat_load_dwordx4 v[90:93], v[90:91]
.LBB190_140:                            ;   in Loop: Header=BB190_104 Depth=1
	s_or_b64 exec, exec, s[16:17]
	ds_read_b128 v[114:117], v208
	ds_read_b128 v[102:105], v215 offset:512
	s_and_b64 vcc, exec, s[0:1]
	v_lshl_add_u64 v[130:131], v[178:179], 0, v[168:169]
	s_waitcnt vmcnt(0) lgkmcnt(0)
	v_mul_f64 v[106:107], v[68:69], v[116:117]
	v_mul_f64 v[108:109], v[66:67], v[116:117]
	v_mul_f64 v[110:111], v[72:73], v[116:117]
	v_fma_f64 v[106:107], v[66:67], v[114:115], -v[106:107]
	v_fmac_f64_e32 v[108:109], v[68:69], v[114:115]
	v_mul_f64 v[112:113], v[70:71], v[116:117]
	ds_write_b128 v216, v[106:109]
	v_fma_f64 v[110:111], v[70:71], v[114:115], -v[110:111]
	v_fmac_f64_e32 v[112:113], v[72:73], v[114:115]
	v_mul_f64 v[118:119], v[80:81], v[116:117]
	v_mul_f64 v[120:121], v[78:79], v[116:117]
	ds_read_b128 v[106:109], v215 offset:528
	ds_write_b128 v216, v[110:113] offset:1072
	v_fma_f64 v[118:119], v[78:79], v[114:115], -v[118:119]
	v_fmac_f64_e32 v[120:121], v[80:81], v[114:115]
	v_mul_f64 v[122:123], v[92:93], v[116:117]
	v_mul_f64 v[124:125], v[90:91], v[116:117]
	ds_read_b128 v[110:113], v215 offset:544
	ds_write_b128 v216, v[118:121] offset:2144
	v_fma_f64 v[122:123], v[90:91], v[114:115], -v[122:123]
	v_fmac_f64_e32 v[124:125], v[92:93], v[114:115]
	ds_read_b128 v[118:121], v215 offset:560
	ds_write_b128 v216, v[122:125] offset:3216
	s_waitcnt lgkmcnt(0)
	s_barrier
	ds_read_b128 v[162:165], v211
	ds_read_b128 v[158:161], v211 offset:16
	ds_read_b128 v[154:157], v211 offset:32
	;; [unrolled: 1-line block ×3, first 2 shown]
	s_waitcnt lgkmcnt(0)
	s_barrier
	s_cbranch_vccnz .LBB190_148
; %bb.141:                              ;   in Loop: Header=BB190_104 Depth=1
	v_mov_b64_e32 v[122:123], 0
	v_cmp_gt_i32_e32 vcc, s28, v225
	v_mov_b64_e32 v[114:115], v[122:123]
	v_mov_b64_e32 v[116:117], v[122:123]
	s_and_saveexec_b64 s[0:1], vcc
	s_cbranch_execz .LBB190_143
; %bb.142:                              ;   in Loop: Header=BB190_104 Depth=1
	flat_load_dwordx4 v[114:117], v[130:131]
.LBB190_143:                            ;   in Loop: Header=BB190_104 Depth=1
	s_or_b64 exec, exec, s[0:1]
	v_cmp_gt_i32_e32 vcc, s28, v226
	v_mov_b64_e32 v[124:125], v[122:123]
	s_and_saveexec_b64 s[0:1], vcc
	s_cbranch_execz .LBB190_145
; %bb.144:                              ;   in Loop: Header=BB190_104 Depth=1
	v_lshl_add_u64 v[122:123], v[182:183], 0, v[168:169]
	flat_load_dwordx4 v[122:125], v[122:123]
.LBB190_145:                            ;   in Loop: Header=BB190_104 Depth=1
	s_or_b64 exec, exec, s[0:1]
	v_mov_b64_e32 v[126:127], 0
	v_cmp_gt_i32_e32 vcc, s28, v227
	s_mov_b64 s[16:17], 0
	v_mov_b64_e32 v[128:129], v[126:127]
	s_and_saveexec_b64 s[0:1], vcc
	s_cbranch_execz .LBB190_147
; %bb.146:                              ;   in Loop: Header=BB190_104 Depth=1
	v_lshl_add_u64 v[126:127], v[188:189], 0, v[168:169]
	flat_load_dwordx4 v[126:129], v[126:127]
.LBB190_147:                            ;   in Loop: Header=BB190_104 Depth=1
	s_or_b64 exec, exec, s[0:1]
	v_cmp_gt_i32_e64 s[0:1], s28, v228
	s_mov_b64 s[14:15], 0
	s_and_b64 vcc, exec, s[16:17]
	s_cbranch_vccnz .LBB190_149
	s_branch .LBB190_150
.LBB190_148:                            ;   in Loop: Header=BB190_104 Depth=1
	s_mov_b64 s[0:1], 0
                                        ; implicit-def: $sgpr14_sgpr15
                                        ; implicit-def: $vgpr128_vgpr129
                                        ; implicit-def: $vgpr124_vgpr125
                                        ; implicit-def: $vgpr116_vgpr117
	s_cbranch_execz .LBB190_150
.LBB190_149:                            ;   in Loop: Header=BB190_104 Depth=1
	s_waitcnt vmcnt(0) lgkmcnt(0)
	v_lshl_add_u64 v[122:123], v[182:183], 0, v[168:169]
	v_lshl_add_u64 v[126:127], v[188:189], 0, v[168:169]
	flat_load_dwordx4 v[114:117], v[130:131]
	s_or_b64 s[0:1], s[0:1], exec
	flat_load_dwordx4 v[122:125], v[122:123]
                                        ; implicit-def: $sgpr14_sgpr15
	s_nop 0
	flat_load_dwordx4 v[126:129], v[126:127]
.LBB190_150:                            ;   in Loop: Header=BB190_104 Depth=1
	v_mov_b64_e32 v[130:131], s[14:15]
	v_mov_b64_e32 v[132:133], s[14:15]
	s_and_saveexec_b64 s[14:15], s[0:1]
	s_cbranch_execz .LBB190_152
; %bb.151:                              ;   in Loop: Header=BB190_104 Depth=1
	v_lshl_add_u64 v[130:131], v[174:175], 0, v[168:169]
	flat_load_dwordx4 v[130:133], v[130:131]
.LBB190_152:                            ;   in Loop: Header=BB190_104 Depth=1
	s_or_b64 exec, exec, s[14:15]
	v_add_f64 v[146:147], v[146:147], 0
	v_add_f64 v[148:149], v[148:149], 0
	;; [unrolled: 1-line block ×6, first 2 shown]
	ds_read_b128 v[142:145], v208
	v_add_f64 v[162:163], v[162:163], 0
	v_add_f64 v[98:99], v[98:99], 0
	;; [unrolled: 1-line block ×11, first 2 shown]
	ds_read_b128 v[86:89], v215 offset:768
	s_waitcnt vmcnt(0) lgkmcnt(0)
	v_mul_f64 v[94:95], v[116:117], v[144:145]
	v_mul_f64 v[96:97], v[114:115], v[144:145]
	v_fma_f64 v[94:95], v[114:115], v[142:143], -v[94:95]
	v_fmac_f64_e32 v[96:97], v[116:117], v[142:143]
	v_mul_f64 v[98:99], v[124:125], v[144:145]
	v_mul_f64 v[100:101], v[122:123], v[144:145]
	v_add_f64 v[138:139], v[138:139], v[134:135]
	v_add_f64 v[140:141], v[140:141], v[136:137]
	ds_write_b128 v216, v[94:97]
	v_fma_f64 v[98:99], v[122:123], v[142:143], -v[98:99]
	v_fmac_f64_e32 v[100:101], v[124:125], v[142:143]
	v_mul_f64 v[134:135], v[128:129], v[144:145]
	v_mul_f64 v[136:137], v[126:127], v[144:145]
	ds_read_b128 v[94:97], v215 offset:784
	ds_write_b128 v216, v[98:101] offset:1072
	v_fma_f64 v[134:135], v[126:127], v[142:143], -v[134:135]
	v_fmac_f64_e32 v[136:137], v[128:129], v[142:143]
	v_mul_f64 v[146:147], v[132:133], v[144:145]
	v_mul_f64 v[148:149], v[130:131], v[144:145]
	ds_read_b128 v[98:101], v215 offset:800
	ds_write_b128 v216, v[134:137] offset:2144
	v_fma_f64 v[146:147], v[130:131], v[142:143], -v[146:147]
	v_fmac_f64_e32 v[148:149], v[132:133], v[142:143]
	v_add_f64 v[164:165], v[164:165], 0
	ds_read_b128 v[134:137], v215 offset:816
	ds_write_b128 v216, v[146:149] offset:3216
	s_waitcnt lgkmcnt(0)
	s_barrier
	ds_read_b128 v[142:145], v211
	v_add_f64 v[160:161], v[164:165], v[160:161]
	v_add_f64 v[156:157], v[160:161], v[156:157]
	;; [unrolled: 1-line block ×4, first 2 shown]
	ds_read_b128 v[146:149], v211 offset:16
	ds_read_b128 v[154:157], v211 offset:32
	ds_read_b128 v[158:161], v211 offset:48
	s_waitcnt lgkmcnt(3)
	v_add_f64 v[142:143], v[142:143], 0
	v_add_f64 v[144:145], v[144:145], 0
	v_cmp_gt_i32_e32 vcc, s28, v204
	s_waitcnt lgkmcnt(2)
	v_add_f64 v[142:143], v[142:143], v[146:147]
	v_add_f64 v[144:145], v[144:145], v[148:149]
	s_or_b64 s[0:1], s[12:13], vcc
	s_waitcnt lgkmcnt(1)
	v_add_f64 v[142:143], v[142:143], v[154:155]
	v_add_f64 v[144:145], v[144:145], v[156:157]
	s_and_b64 s[12:13], s[6:7], s[0:1]
	s_waitcnt lgkmcnt(0)
	v_add_f64 v[142:143], v[142:143], v[158:159]
	v_add_f64 v[144:145], v[144:145], v[160:161]
	s_barrier
	ds_write_b128 v230, v[82:85]
	ds_write_b128 v230, v[138:141] offset:256
	ds_write_b128 v230, v[150:153] offset:512
	;; [unrolled: 1-line block ×3, first 2 shown]
	s_waitcnt lgkmcnt(0)
	s_barrier
	s_and_saveexec_b64 s[0:1], s[12:13]
	s_cbranch_execz .LBB190_154
; %bb.153:                              ;   in Loop: Header=BB190_104 Depth=1
	ds_read_b128 v[82:85], v209
	ds_read_b128 v[138:141], v209 offset:16
	ds_read_b128 v[142:145], v209 offset:32
	;; [unrolled: 1-line block ×3, first 2 shown]
	s_waitcnt lgkmcnt(2)
	v_add_f64 v[82:83], v[138:139], v[82:83]
	v_add_f64 v[138:139], v[140:141], v[84:85]
	s_waitcnt lgkmcnt(1)
	v_add_f64 v[140:141], v[82:83], v[142:143]
	ds_read_b128 v[82:85], v209 offset:64
	v_add_f64 v[142:143], v[138:139], v[144:145]
	s_waitcnt lgkmcnt(1)
	v_add_f64 v[144:145], v[140:141], v[146:147]
	ds_read_b128 v[138:141], v209 offset:80
	;; [unrolled: 4-line block ×9, first 2 shown]
	v_add_f64 v[84:85], v[146:147], v[84:85]
	s_waitcnt lgkmcnt(1)
	v_add_f64 v[138:139], v[82:83], v[138:139]
	v_add_f64 v[146:147], v[84:85], v[140:141]
	ds_read_b128 v[82:85], v209 offset:208
	s_waitcnt lgkmcnt(1)
	v_add_f64 v[148:149], v[138:139], v[142:143]
	ds_read_b128 v[138:141], v209 offset:224
	v_add_f64 v[146:147], v[146:147], v[144:145]
	ds_read_b128 v[142:145], v210
	s_waitcnt lgkmcnt(2)
	v_add_f64 v[82:83], v[148:149], v[82:83]
	v_add_f64 v[84:85], v[146:147], v[84:85]
	s_waitcnt lgkmcnt(1)
	v_add_f64 v[82:83], v[82:83], v[138:139]
	v_add_u32_e32 v138, s26, v229
	v_add_f64 v[84:85], v[84:85], v[140:141]
	v_ashrrev_i32_e32 v139, 31, v138
	s_waitcnt lgkmcnt(0)
	v_add_f64 v[82:83], v[82:83], v[142:143]
	v_add_f64 v[84:85], v[84:85], v[144:145]
	v_lshl_add_u64 v[138:139], v[138:139], 4, s[8:9]
	global_store_dwordx4 v[138:139], v[82:85], off
.LBB190_154:                            ;   in Loop: Header=BB190_104 Depth=1
	s_or_b64 exec, exec, s[0:1]
	s_nop 0
	v_mul_f64 v[82:83], v[8:9], v[24:25]
	v_fma_f64 v[82:83], v[6:7], v[22:23], -v[82:83]
	v_mul_f64 v[6:7], v[6:7], v[24:25]
	v_mul_f64 v[24:25], v[12:13], v[28:29]
	v_add_f64 v[0:1], v[0:1], v[82:83]
	v_fma_f64 v[24:25], v[10:11], v[26:27], -v[24:25]
	v_add_f64 v[0:1], v[0:1], v[24:25]
	v_mul_f64 v[24:25], v[16:17], v[32:33]
	v_fma_f64 v[24:25], v[14:15], v[30:31], -v[24:25]
	v_add_f64 v[0:1], v[0:1], v[24:25]
	v_mul_f64 v[24:25], v[20:21], v[40:41]
	v_fmac_f64_e32 v[6:7], v[8:9], v[22:23]
	v_fma_f64 v[24:25], v[18:19], v[38:39], -v[24:25]
	v_add_f64 v[2:3], v[2:3], v[6:7]
	v_mul_f64 v[6:7], v[36:37], v[56:57]
	v_add_f64 v[0:1], v[0:1], v[24:25]
	v_fma_f64 v[6:7], v[34:35], v[54:55], -v[6:7]
	v_add_f64 v[0:1], v[0:1], v[6:7]
	v_mul_f64 v[6:7], v[44:45], v[60:61]
	v_fma_f64 v[6:7], v[42:43], v[58:59], -v[6:7]
	v_add_f64 v[0:1], v[0:1], v[6:7]
	v_mul_f64 v[6:7], v[48:49], v[64:65]
	;; [unrolled: 3-line block ×3, first 2 shown]
	v_fma_f64 v[6:7], v[50:51], v[74:75], -v[6:7]
	v_mul_f64 v[10:11], v[10:11], v[28:29]
	v_add_f64 v[0:1], v[0:1], v[6:7]
	v_mul_f64 v[6:7], v[68:69], v[104:105]
	v_mul_f64 v[14:15], v[14:15], v[32:33]
	v_fmac_f64_e32 v[10:11], v[12:13], v[26:27]
	v_fma_f64 v[6:7], v[66:67], v[102:103], -v[6:7]
	v_mul_f64 v[18:19], v[18:19], v[40:41]
	v_add_f64 v[2:3], v[2:3], v[10:11]
	v_fmac_f64_e32 v[14:15], v[16:17], v[30:31]
	v_add_f64 v[0:1], v[0:1], v[6:7]
	v_mul_f64 v[6:7], v[72:73], v[108:109]
	v_add_f64 v[2:3], v[2:3], v[14:15]
	v_fmac_f64_e32 v[18:19], v[20:21], v[38:39]
	v_mul_f64 v[8:9], v[34:35], v[56:57]
	v_fma_f64 v[6:7], v[70:71], v[106:107], -v[6:7]
	v_add_f64 v[2:3], v[2:3], v[18:19]
	v_mul_f64 v[10:11], v[42:43], v[60:61]
	v_fmac_f64_e32 v[8:9], v[36:37], v[54:55]
	v_add_f64 v[0:1], v[0:1], v[6:7]
	v_mul_f64 v[6:7], v[80:81], v[112:113]
	v_mul_f64 v[12:13], v[46:47], v[64:65]
	v_add_f64 v[2:3], v[2:3], v[8:9]
	v_fmac_f64_e32 v[10:11], v[44:45], v[58:59]
	v_fma_f64 v[6:7], v[78:79], v[110:111], -v[6:7]
	v_mul_f64 v[14:15], v[50:51], v[76:77]
	v_add_f64 v[2:3], v[2:3], v[10:11]
	v_fmac_f64_e32 v[12:13], v[48:49], v[62:63]
	v_add_f64 v[0:1], v[0:1], v[6:7]
	v_mul_f64 v[6:7], v[92:93], v[120:121]
	v_add_f64 v[2:3], v[2:3], v[12:13]
	v_fmac_f64_e32 v[14:15], v[52:53], v[74:75]
	v_mul_f64 v[8:9], v[66:67], v[104:105]
	v_fma_f64 v[6:7], v[90:91], v[118:119], -v[6:7]
	v_add_f64 v[2:3], v[2:3], v[14:15]
	v_mul_f64 v[10:11], v[70:71], v[108:109]
	v_add_f64 v[0:1], v[0:1], v[6:7]
	v_fmac_f64_e32 v[8:9], v[68:69], v[102:103]
	v_mul_f64 v[6:7], v[116:117], v[88:89]
	v_mul_f64 v[12:13], v[78:79], v[112:113]
	v_add_f64 v[2:3], v[2:3], v[8:9]
	v_fmac_f64_e32 v[10:11], v[72:73], v[106:107]
	v_fma_f64 v[6:7], v[114:115], v[86:87], -v[6:7]
	v_mul_f64 v[14:15], v[90:91], v[120:121]
	v_add_f64 v[2:3], v[2:3], v[10:11]
	v_fmac_f64_e32 v[12:13], v[80:81], v[110:111]
	v_add_f64 v[0:1], v[0:1], v[6:7]
	v_mul_f64 v[6:7], v[124:125], v[96:97]
	v_add_f64 v[2:3], v[2:3], v[12:13]
	v_fmac_f64_e32 v[14:15], v[92:93], v[118:119]
	v_mul_f64 v[8:9], v[114:115], v[88:89]
	v_fma_f64 v[6:7], v[122:123], v[94:95], -v[6:7]
	v_add_f64 v[2:3], v[2:3], v[14:15]
	v_mul_f64 v[10:11], v[122:123], v[96:97]
	v_add_f64 v[0:1], v[0:1], v[6:7]
	v_mul_f64 v[6:7], v[128:129], v[100:101]
	v_fmac_f64_e32 v[8:9], v[116:117], v[86:87]
	v_fma_f64 v[6:7], v[126:127], v[98:99], -v[6:7]
	v_mul_f64 v[12:13], v[126:127], v[100:101]
	v_fmac_f64_e32 v[10:11], v[124:125], v[94:95]
	v_add_f64 v[2:3], v[2:3], v[8:9]
	v_add_f64 v[0:1], v[0:1], v[6:7]
	v_mul_f64 v[6:7], v[132:133], v[136:137]
	v_mul_f64 v[14:15], v[130:131], v[136:137]
	v_fmac_f64_e32 v[12:13], v[128:129], v[98:99]
	v_add_f64 v[2:3], v[2:3], v[10:11]
	v_fma_f64 v[6:7], v[130:131], v[134:135], -v[6:7]
	v_fmac_f64_e32 v[14:15], v[132:133], v[134:135]
	v_add_f64 v[2:3], v[2:3], v[12:13]
	s_add_i32 s0, s2, 1
	s_add_i32 s26, s26, 64
	;; [unrolled: 1-line block ×3, first 2 shown]
	v_add_f64 v[0:1], v[0:1], v[6:7]
	v_add_f64 v[2:3], v[2:3], v[14:15]
	v_lshl_add_u64 v[172:173], v[172:173], 0, s[10:11]
	v_lshl_add_u64 v[174:175], v[174:175], 0, s[10:11]
	;; [unrolled: 1-line block ×15, first 2 shown]
	s_cmp_ge_u32 s1, s3
	v_lshl_add_u64 v[202:203], v[202:203], 0, s[10:11]
	s_barrier
	s_cbranch_scc1 .LBB190_156
; %bb.155:                              ;   in Loop: Header=BB190_104 Depth=1
	s_mov_b32 s2, s0
	s_cmp_eq_u32 s21, s2
	s_cselect_b32 s28, s27, 0
	s_and_saveexec_b64 s[0:1], s[4:5]
	s_cbranch_execnz .LBB190_100
	s_branch .LBB190_104
.LBB190_156:
	s_movk_i32 s0, 0x430
	v_cmp_gt_i32_e32 vcc, s20, v204
	v_mad_u32_u24 v4, v205, s0, v168
	s_or_b64 s[0:1], s[22:23], vcc
	s_and_b64 s[0:1], s[4:5], s[0:1]
	ds_write_b128 v4, v[0:3]
	s_waitcnt lgkmcnt(0)
	s_barrier
	s_and_saveexec_b64 s[2:3], s[0:1]
	s_cbranch_execz .LBB190_158
; %bb.157:
	ds_read_b128 v[0:3], v168 offset:1072
	ds_read_b128 v[4:7], v168
	ds_read_b128 v[8:11], v168 offset:2144
	ds_read_b128 v[12:15], v168 offset:3216
	s_waitcnt lgkmcnt(2)
	v_add_f64 v[0:1], v[0:1], v[4:5]
	v_add_f64 v[2:3], v[2:3], v[6:7]
	s_waitcnt lgkmcnt(1)
	v_add_f64 v[0:1], v[0:1], v[8:9]
	v_add_f64 v[2:3], v[2:3], v[10:11]
	;; [unrolled: 3-line block ×3, first 2 shown]
	v_lshl_add_u64 v[4:5], v[166:167], 4, s[8:9]
	global_store_dwordx4 v[4:5], v[0:3], off
.LBB190_158:
	s_endpgm
	.section	.rodata,"a",@progbits
	.p2align	6, 0x0
	.amdhsa_kernel _ZL26rocblas_hemvn_kernel_upperILb0ELi64ELi4ELi33ELi32ELi16El19rocblas_complex_numIdEPKPKS1_PS1_EviT6_lT7_lT5_lS8_lS9_lS7_lT8_i
		.amdhsa_group_segment_fixed_size 19200
		.amdhsa_private_segment_fixed_size 0
		.amdhsa_kernarg_size 392
		.amdhsa_user_sgpr_count 2
		.amdhsa_user_sgpr_dispatch_ptr 0
		.amdhsa_user_sgpr_queue_ptr 0
		.amdhsa_user_sgpr_kernarg_segment_ptr 1
		.amdhsa_user_sgpr_dispatch_id 0
		.amdhsa_user_sgpr_kernarg_preload_length 0
		.amdhsa_user_sgpr_kernarg_preload_offset 0
		.amdhsa_user_sgpr_private_segment_size 0
		.amdhsa_uses_dynamic_stack 0
		.amdhsa_enable_private_segment 0
		.amdhsa_system_sgpr_workgroup_id_x 1
		.amdhsa_system_sgpr_workgroup_id_y 0
		.amdhsa_system_sgpr_workgroup_id_z 1
		.amdhsa_system_sgpr_workgroup_info 0
		.amdhsa_system_vgpr_workitem_id 1
		.amdhsa_next_free_vgpr 231
		.amdhsa_next_free_sgpr 40
		.amdhsa_accum_offset 232
		.amdhsa_reserve_vcc 1
		.amdhsa_float_round_mode_32 0
		.amdhsa_float_round_mode_16_64 0
		.amdhsa_float_denorm_mode_32 3
		.amdhsa_float_denorm_mode_16_64 3
		.amdhsa_dx10_clamp 1
		.amdhsa_ieee_mode 1
		.amdhsa_fp16_overflow 0
		.amdhsa_tg_split 0
		.amdhsa_exception_fp_ieee_invalid_op 0
		.amdhsa_exception_fp_denorm_src 0
		.amdhsa_exception_fp_ieee_div_zero 0
		.amdhsa_exception_fp_ieee_overflow 0
		.amdhsa_exception_fp_ieee_underflow 0
		.amdhsa_exception_fp_ieee_inexact 0
		.amdhsa_exception_int_div_zero 0
	.end_amdhsa_kernel
	.section	.text._ZL26rocblas_hemvn_kernel_upperILb0ELi64ELi4ELi33ELi32ELi16El19rocblas_complex_numIdEPKPKS1_PS1_EviT6_lT7_lT5_lS8_lS9_lS7_lT8_i,"axG",@progbits,_ZL26rocblas_hemvn_kernel_upperILb0ELi64ELi4ELi33ELi32ELi16El19rocblas_complex_numIdEPKPKS1_PS1_EviT6_lT7_lT5_lS8_lS9_lS7_lT8_i,comdat
.Lfunc_end190:
	.size	_ZL26rocblas_hemvn_kernel_upperILb0ELi64ELi4ELi33ELi32ELi16El19rocblas_complex_numIdEPKPKS1_PS1_EviT6_lT7_lT5_lS8_lS9_lS7_lT8_i, .Lfunc_end190-_ZL26rocblas_hemvn_kernel_upperILb0ELi64ELi4ELi33ELi32ELi16El19rocblas_complex_numIdEPKPKS1_PS1_EviT6_lT7_lT5_lS8_lS9_lS7_lT8_i
                                        ; -- End function
	.section	.AMDGPU.csdata,"",@progbits
; Kernel info:
; codeLenInByte = 10516
; NumSgprs: 46
; NumVgprs: 231
; NumAgprs: 0
; TotalNumVgprs: 231
; ScratchSize: 0
; MemoryBound: 1
; FloatMode: 240
; IeeeMode: 1
; LDSByteSize: 19200 bytes/workgroup (compile time only)
; SGPRBlocks: 5
; VGPRBlocks: 28
; NumSGPRsForWavesPerEU: 46
; NumVGPRsForWavesPerEU: 231
; AccumOffset: 232
; Occupancy: 2
; WaveLimiterHint : 0
; COMPUTE_PGM_RSRC2:SCRATCH_EN: 0
; COMPUTE_PGM_RSRC2:USER_SGPR: 2
; COMPUTE_PGM_RSRC2:TRAP_HANDLER: 0
; COMPUTE_PGM_RSRC2:TGID_X_EN: 1
; COMPUTE_PGM_RSRC2:TGID_Y_EN: 0
; COMPUTE_PGM_RSRC2:TGID_Z_EN: 1
; COMPUTE_PGM_RSRC2:TIDIG_COMP_CNT: 1
; COMPUTE_PGM_RSRC3_GFX90A:ACCUM_OFFSET: 57
; COMPUTE_PGM_RSRC3_GFX90A:TG_SPLIT: 0
	.section	.text._ZL26rocblas_hemvn_kernel_upperILb0ELi64ELi4ELi33ELi32ELi16Ei19rocblas_complex_numIdEPKPKS1_PS1_EviT6_lT7_lT5_lS8_lS9_lS7_lT8_i,"axG",@progbits,_ZL26rocblas_hemvn_kernel_upperILb0ELi64ELi4ELi33ELi32ELi16Ei19rocblas_complex_numIdEPKPKS1_PS1_EviT6_lT7_lT5_lS8_lS9_lS7_lT8_i,comdat
	.globl	_ZL26rocblas_hemvn_kernel_upperILb0ELi64ELi4ELi33ELi32ELi16Ei19rocblas_complex_numIdEPKPKS1_PS1_EviT6_lT7_lT5_lS8_lS9_lS7_lT8_i ; -- Begin function _ZL26rocblas_hemvn_kernel_upperILb0ELi64ELi4ELi33ELi32ELi16Ei19rocblas_complex_numIdEPKPKS1_PS1_EviT6_lT7_lT5_lS8_lS9_lS7_lT8_i
	.p2align	8
	.type	_ZL26rocblas_hemvn_kernel_upperILb0ELi64ELi4ELi33ELi32ELi16Ei19rocblas_complex_numIdEPKPKS1_PS1_EviT6_lT7_lT5_lS8_lS9_lS7_lT8_i,@function
_ZL26rocblas_hemvn_kernel_upperILb0ELi64ELi4ELi33ELi32ELi16Ei19rocblas_complex_numIdEPKPKS1_PS1_EviT6_lT7_lT5_lS8_lS9_lS7_lT8_i: ; @_ZL26rocblas_hemvn_kernel_upperILb0ELi64ELi4ELi33ELi32ELi16Ei19rocblas_complex_numIdEPKPKS1_PS1_EviT6_lT7_lT5_lS8_lS9_lS7_lT8_i
; %bb.0:
	s_load_dwordx2 s[4:5], s[0:1], 0x94
	s_add_u32 s8, s0, 0x88
	s_mov_b32 s22, s3
	s_addc_u32 s9, s1, 0
	s_waitcnt lgkmcnt(0)
	s_and_b32 s3, s5, 0xffff
	s_lshr_b32 s5, s4, 16
	s_and_b32 s4, s4, 0xffff
	s_mul_i32 s4, s5, s4
	s_mul_i32 s4, s4, s3
	s_cmpk_lg_i32 s4, 0x100
	s_cbranch_scc1 .LBB191_158
; %bb.1:
	s_load_dwordx4 s[12:15], s[0:1], 0x8
	s_mov_b64 s[4:5], 0
	s_waitcnt lgkmcnt(0)
	v_cmp_neq_f64_e64 s[6:7], s[12:13], 0
	v_cmp_neq_f64_e64 s[10:11], s[14:15], 0
	s_or_b64 s[10:11], s[6:7], s[10:11]
	s_and_b64 vcc, exec, s[10:11]
	s_cbranch_vccnz .LBB191_3
; %bb.2:
	s_load_dwordx4 s[12:15], s[0:1], 0x60
	s_mov_b64 s[6:7], 0
	s_waitcnt lgkmcnt(0)
	v_cmp_neq_f64_e64 s[4:5], s[12:13], 1.0
	v_cmp_neq_f64_e64 s[12:13], s[14:15], 0
	s_or_b64 s[4:5], s[4:5], s[12:13]
	s_cbranch_execz .LBB191_4
	s_branch .LBB191_5
.LBB191_3:
	s_mov_b64 s[6:7], -1
.LBB191_4:
	s_load_dwordx4 s[4:7], s[0:1], 0x20
	s_mov_b32 s23, 0
	s_lshl_b64 s[12:13], s[22:23], 3
	s_waitcnt lgkmcnt(0)
	s_add_u32 s4, s4, s12
	s_addc_u32 s5, s5, s13
	s_load_dwordx2 s[4:5], s[4:5], 0x0
	s_lshl_b64 s[6:7], s[6:7], 4
	s_waitcnt lgkmcnt(0)
	s_add_u32 s6, s4, s6
	s_addc_u32 s7, s5, s7
	s_mov_b64 s[4:5], -1
.LBB191_5:
	s_andn2_b64 vcc, exec, s[4:5]
	s_cbranch_vccnz .LBB191_158
; %bb.6:
	v_cndmask_b32_e64 v1, 0, 1, s[10:11]
	v_cmp_ne_u32_e64 s[4:5], 1, v1
	s_andn2_b64 vcc, exec, s[10:11]
	s_mov_b64 s[10:11], 0
	s_cbranch_vccnz .LBB191_8
; %bb.7:
	s_load_dwordx4 s[12:15], s[0:1], 0x40
	s_mov_b32 s23, 0
	s_lshl_b64 s[10:11], s[22:23], 3
	s_waitcnt lgkmcnt(0)
	s_add_u32 s10, s12, s10
	s_addc_u32 s11, s13, s11
	s_load_dwordx2 s[10:11], s[10:11], 0x0
	s_lshl_b64 s[12:13], s[14:15], 4
	s_waitcnt lgkmcnt(0)
	s_add_u32 s10, s10, s12
	s_addc_u32 s11, s11, s13
.LBB191_8:
	s_and_b64 vcc, exec, s[4:5]
	s_cbranch_vccnz .LBB191_158
; %bb.9:
	s_load_dword s3, s[8:9], 0x0
	s_load_dword s34, s[0:1], 0x0
	;; [unrolled: 1-line block ×3, first 2 shown]
	v_and_b32_e32 v168, 0x3ff, v0
	s_lshl_b32 s24, s2, 6
	v_add_u32_e32 v166, s24, v168
	s_waitcnt lgkmcnt(0)
	s_ashr_i32 s35, s34, 31
	s_lshr_b32 s5, s35, 26
	s_add_i32 s5, s34, s5
	s_andn2_b32 s5, s5, 63
	v_bfe_u32 v167, v0, 10, 10
	s_add_i32 s4, s3, -1
	s_sub_i32 s33, s34, s5
	v_mul_lo_u32 v0, v166, s23
	s_cmp_eq_u32 s2, s4
	v_ashrrev_i32_e32 v1, 31, v0
	s_cselect_b32 s18, s33, 0
	v_lshl_add_u64 v[38:39], v[0:1], 4, s[10:11]
	v_cmp_eq_u32_e64 s[4:5], 0, v167
	s_and_saveexec_b64 s[8:9], s[4:5]
	s_cbranch_execz .LBB191_14
; %bb.10:
	s_cmp_lg_u32 s18, 0
	s_cselect_b64 s[10:11], -1, 0
	v_cmp_le_i32_e32 vcc, s18, v168
	v_mov_b32_e32 v0, 0x4700
	s_and_b64 s[10:11], s[10:11], vcc
	v_lshl_add_u32 v0, v168, 4, v0
	s_and_saveexec_b64 s[12:13], s[10:11]
	s_xor_b64 s[10:11], exec, s[12:13]
	s_cbranch_execz .LBB191_12
; %bb.11:
	v_mov_b32_e32 v2, 0
	v_mov_b32_e32 v3, v2
	;; [unrolled: 1-line block ×4, first 2 shown]
	ds_write_b128 v0, v[2:5]
                                        ; implicit-def: $vgpr0
.LBB191_12:
	s_andn2_saveexec_b64 s[10:11], s[10:11]
	s_cbranch_execz .LBB191_14
; %bb.13:
	flat_load_dwordx4 v[2:5], v[38:39]
	s_waitcnt vmcnt(0) lgkmcnt(0)
	ds_write2_b64 v0, v[2:3], v[4:5] offset1:1
.LBB191_14:
	s_or_b64 exec, exec, s[8:9]
	s_load_dword s26, s[0:1], 0x30
	s_ashr_i32 s25, s24, 31
	v_lshl_add_u32 v42, v167, 6, v168
	s_lshl_b64 s[8:9], s[24:25], 4
	v_and_b32_e32 v4, 31, v168
	v_lshrrev_b32_e32 v5, 5, v42
	s_add_u32 s8, s6, s8
	s_addc_u32 s9, s7, s9
	s_waitcnt lgkmcnt(0)
	v_mad_u64_u32 v[36:37], s[6:7], v5, s26, v[4:5]
	s_mul_i32 s6, s24, s26
	s_ashr_i32 s7, s6, 31
	s_lshl_b64 s[6:7], s[6:7], 4
	s_add_u32 s6, s6, s8
	s_addc_u32 s7, s7, s9
	s_cmp_eq_u32 s18, 0
	s_cselect_b64 s[20:21], -1, 0
	s_cmp_lg_u32 s18, 0
	v_ashrrev_i32_e32 v37, 31, v36
	s_cselect_b64 s[30:31], -1, 0
	v_lshl_add_u64 v[0:1], v[36:37], 4, s[6:7]
	s_and_b64 vcc, exec, s[30:31]
	v_cmp_gt_i32_e64 s[6:7], s18, v4
	v_lshlrev_b32_e32 v6, 4, v4
	v_mul_u32_u24_e32 v14, 33, v5
	s_cbranch_vccz .LBB191_32
; %bb.15:
	v_sub_co_u32_e32 v2, vcc, v0, v6
	s_ashr_i32 s19, s18, 31
	s_nop 0
	v_subbrev_co_u32_e32 v3, vcc, 0, v1, vcc
	v_lshl_add_u64 v[2:3], s[18:19], 4, v[2:3]
	v_lshl_add_u64 v[2:3], v[2:3], 0, -16
	v_cndmask_b32_e64 v3, v3, v1, s[6:7]
	v_cndmask_b32_e64 v2, v2, v0, s[6:7]
	v_cmp_le_i32_e32 vcc, s18, v5
	v_add_lshl_u32 v7, v14, v4, 4
	s_and_saveexec_b64 s[8:9], vcc
	s_xor_b64 s[8:9], exec, s[8:9]
	s_cbranch_execz .LBB191_17
; %bb.16:
	v_mov_b32_e32 v8, 0
	v_mov_b32_e32 v9, v8
	;; [unrolled: 1-line block ×4, first 2 shown]
	ds_write_b128 v7, v[8:11]
.LBB191_17:
	s_andn2_saveexec_b64 s[8:9], s[8:9]
	s_cbranch_execz .LBB191_19
; %bb.18:
	flat_load_dwordx4 v[8:11], v[2:3]
	s_waitcnt vmcnt(0) lgkmcnt(0)
	ds_write2_b64 v7, v[8:9], v[10:11] offset1:1
.LBB191_19:
	s_or_b64 exec, exec, s[8:9]
	v_add_u32_e32 v8, 8, v5
	v_cmp_le_i32_e32 vcc, s18, v8
	s_and_saveexec_b64 s[8:9], vcc
	s_xor_b64 s[8:9], exec, s[8:9]
	s_cbranch_execz .LBB191_21
; %bb.20:
	v_mul_u32_u24_e32 v8, 33, v8
	v_add_lshl_u32 v12, v8, v4, 4
	v_mov_b32_e32 v8, 0
	v_mov_b32_e32 v9, v8
	;; [unrolled: 1-line block ×4, first 2 shown]
	ds_write_b128 v12, v[8:11]
.LBB191_21:
	s_andn2_saveexec_b64 s[8:9], s[8:9]
	s_cbranch_execz .LBB191_23
; %bb.22:
	s_lshl_b32 s10, s26, 3
	s_ashr_i32 s11, s10, 31
	v_lshl_add_u64 v[8:9], s[10:11], 4, v[2:3]
	flat_load_dwordx4 v[8:11], v[8:9]
	v_add_u32_e32 v12, 0x1080, v7
	s_waitcnt vmcnt(0) lgkmcnt(0)
	ds_write2_b64 v12, v[8:9], v[10:11] offset1:1
.LBB191_23:
	s_or_b64 exec, exec, s[8:9]
	v_add_u32_e32 v8, 16, v5
	v_cmp_le_i32_e32 vcc, s18, v8
	s_and_saveexec_b64 s[8:9], vcc
	s_xor_b64 s[8:9], exec, s[8:9]
	s_cbranch_execz .LBB191_25
; %bb.24:
	v_mul_u32_u24_e32 v8, 33, v8
	v_add_lshl_u32 v12, v8, v4, 4
	v_mov_b32_e32 v8, 0
	v_mov_b32_e32 v9, v8
	;; [unrolled: 1-line block ×4, first 2 shown]
	ds_write_b128 v12, v[8:11]
.LBB191_25:
	s_andn2_saveexec_b64 s[8:9], s[8:9]
	s_cbranch_execz .LBB191_27
; %bb.26:
	s_lshl_b32 s10, s26, 4
	s_ashr_i32 s11, s10, 31
	v_lshl_add_u64 v[8:9], s[10:11], 4, v[2:3]
	flat_load_dwordx4 v[8:11], v[8:9]
	v_add_u32_e32 v12, 0x2100, v7
	s_waitcnt vmcnt(0) lgkmcnt(0)
	ds_write2_b64 v12, v[8:9], v[10:11] offset1:1
.LBB191_27:
	s_or_b64 exec, exec, s[8:9]
	v_add_u32_e32 v8, 24, v5
	v_cmp_le_i32_e32 vcc, s18, v8
	s_and_saveexec_b64 s[8:9], vcc
	s_xor_b64 s[8:9], exec, s[8:9]
	s_cbranch_execz .LBB191_29
; %bb.28:
	v_mov_b32_e32 v8, 0
	v_mov_b32_e32 v9, v8
	;; [unrolled: 1-line block ×4, first 2 shown]
	ds_write_b128 v7, v[8:11] offset:12672
                                        ; implicit-def: $vgpr7
.LBB191_29:
	s_andn2_saveexec_b64 s[8:9], s[8:9]
	s_cbranch_execz .LBB191_31
; %bb.30:
	s_mul_i32 s10, s26, 24
	s_ashr_i32 s11, s10, 31
	v_lshl_add_u64 v[8:9], s[10:11], 4, v[2:3]
	flat_load_dwordx4 v[8:11], v[8:9]
	v_add_u32_e32 v7, 0x3180, v7
	s_waitcnt vmcnt(0) lgkmcnt(0)
	ds_write2_b64 v7, v[8:9], v[10:11] offset1:1
.LBB191_31:
	s_or_b64 exec, exec, s[8:9]
	v_mov_b32_e32 v7, 0
	v_lshl_add_u64 v[2:3], v[2:3], 0, v[6:7]
	s_lshl_b64 s[8:9], s[18:19], 4
	v_mov_b32_e32 v7, s9
	v_subrev_co_u32_e32 v2, vcc, s8, v2
	s_nop 1
	v_subb_co_u32_e32 v3, vcc, v3, v7, vcc
	v_lshl_add_u64 v[2:3], v[2:3], 0, 16
	v_cndmask_b32_e64 v9, v3, v1, s[6:7]
	v_cndmask_b32_e64 v8, v2, v0, s[6:7]
	s_branch .LBB191_34
.LBB191_32:
                                        ; implicit-def: $vgpr8_vgpr9
	s_cbranch_execz .LBB191_34
; %bb.33:
	flat_load_dwordx4 v[8:11], v[0:1]
	s_lshl_b32 s6, s26, 3
	v_add_lshl_u32 v7, v14, v4, 4
	s_ashr_i32 s7, s6, 31
	v_lshl_add_u64 v[2:3], s[6:7], 4, v[0:1]
	s_ashr_i32 s27, s26, 31
	v_add_u32_e32 v12, 0x1080, v7
	s_lshl_b64 s[6:7], s[26:27], 7
	s_waitcnt vmcnt(0) lgkmcnt(0)
	ds_write2_b64 v7, v[8:9], v[10:11] offset1:1
	flat_load_dwordx4 v[8:11], v[2:3]
	v_lshl_add_u64 v[2:3], v[2:3], 0, s[6:7]
	s_waitcnt vmcnt(0) lgkmcnt(0)
	ds_write2_b64 v12, v[8:9], v[10:11] offset1:1
	flat_load_dwordx4 v[8:11], v[2:3]
	v_add_u32_e32 v12, 0x2100, v7
	v_lshl_add_u64 v[2:3], v[2:3], 0, s[6:7]
	s_waitcnt vmcnt(0) lgkmcnt(0)
	ds_write2_b64 v12, v[8:9], v[10:11] offset1:1
	flat_load_dwordx4 v[8:11], v[2:3]
	v_add_u32_e32 v2, 0x3180, v7
	s_waitcnt vmcnt(0) lgkmcnt(0)
	ds_write2_b64 v2, v[8:9], v[10:11] offset1:1
	v_mov_b64_e32 v[8:9], v[0:1]
.LBB191_34:
	v_lshlrev_b32_e32 v0, 2, v5
	v_mul_u32_u24_e32 v15, 33, v4
	v_cmp_gt_u32_e64 s[6:7], v0, v4
	v_add_lshl_u32 v17, v0, v15, 4
	s_waitcnt lgkmcnt(0)
	s_barrier
	s_and_saveexec_b64 s[8:9], s[6:7]
	s_cbranch_execz .LBB191_36
; %bb.35:
	v_mul_u32_u24_e32 v1, 0x84, v5
	v_add_lshl_u32 v1, v1, v4, 4
	ds_read_b128 v[10:13], v1
	s_waitcnt lgkmcnt(0)
	ds_write_b128 v17, v[10:13]
.LBB191_36:
	s_or_b64 exec, exec, s[8:9]
	v_cmp_ge_u32_e64 s[8:9], v0, v4
	s_and_saveexec_b64 s[10:11], s[8:9]
	s_cbranch_execz .LBB191_38
; %bb.37:
	v_or_b32_e32 v1, 1, v0
	v_mul_u32_u24_e32 v1, 33, v1
	v_add_lshl_u32 v1, v1, v4, 4
	ds_read_b128 v[10:13], v1
	s_waitcnt lgkmcnt(0)
	ds_write_b128 v17, v[10:13] offset:16
.LBB191_38:
	s_or_b64 exec, exec, s[10:11]
	v_or_b32_e32 v1, 2, v0
	v_cmp_gt_u32_e64 s[10:11], v1, v4
	s_and_saveexec_b64 s[12:13], s[10:11]
	s_cbranch_execz .LBB191_40
; %bb.39:
	v_mul_u32_u24_e32 v1, 33, v1
	v_add_lshl_u32 v1, v1, v4, 4
	ds_read_b128 v[10:13], v1
	s_waitcnt lgkmcnt(0)
	ds_write_b128 v17, v[10:13] offset:32
.LBB191_40:
	s_or_b64 exec, exec, s[12:13]
	v_or_b32_e32 v1, 3, v0
	v_cmp_gt_u32_e64 s[12:13], v1, v4
	v_mad_u32_u24 v1, v1, 33, v4
	v_lshlrev_b32_e32 v16, 4, v1
	s_and_saveexec_b64 s[14:15], s[12:13]
	s_cbranch_execz .LBB191_42
; %bb.41:
	ds_read_b128 v[10:13], v16
	s_waitcnt lgkmcnt(0)
	ds_write_b128 v17, v[10:13] offset:48
.LBB191_42:
	s_or_b64 exec, exec, s[14:15]
	v_mul_u32_u24_e32 v1, 0x84, v5
	v_lshlrev_b32_e32 v18, 4, v0
	s_waitcnt lgkmcnt(0)
	s_barrier
	v_add_lshl_u32 v24, v1, v4, 4
	ds_read_b128 v[0:3], v18 offset:18176
	ds_read_b128 v[10:13], v24
	ds_read_b128 v[20:23], v18 offset:18192
	ds_read_b128 v[26:29], v18 offset:18208
	v_add_u32_e32 v25, 0xfffffbe0, v16
	ds_read_b128 v[30:33], v25
	ds_read_b128 v[44:47], v25 offset:528
	s_waitcnt lgkmcnt(4)
	v_mul_f64 v[34:35], v[2:3], v[12:13]
	v_fma_f64 v[34:35], v[0:1], v[10:11], -v[34:35]
	v_mul_f64 v[0:1], v[0:1], v[12:13]
	v_fmac_f64_e32 v[0:1], v[2:3], v[10:11]
	s_waitcnt lgkmcnt(1)
	v_mul_f64 v[12:13], v[20:21], v[32:33]
	v_add_f64 v[0:1], v[0:1], 0
	v_mul_f64 v[10:11], v[22:23], v[32:33]
	v_fmac_f64_e32 v[12:13], v[22:23], v[30:31]
	v_add_f64 v[2:3], v[34:35], 0
	v_fma_f64 v[10:11], v[20:21], v[30:31], -v[10:11]
	v_add_f64 v[22:23], v[0:1], v[12:13]
	s_waitcnt lgkmcnt(0)
	v_mul_f64 v[0:1], v[28:29], v[46:47]
	v_add_f64 v[20:21], v[2:3], v[10:11]
	v_fma_f64 v[30:31], v[26:27], v[44:45], -v[0:1]
	ds_read_b128 v[0:3], v18 offset:18224
	ds_read_b128 v[10:13], v16
	v_mul_f64 v[26:27], v[26:27], v[46:47]
	v_fmac_f64_e32 v[26:27], v[28:29], v[44:45]
	v_add_f64 v[22:23], v[22:23], v[26:27]
	v_add_f64 v[20:21], v[20:21], v[30:31]
	s_waitcnt lgkmcnt(0)
	v_mul_f64 v[26:27], v[2:3], v[12:13]
	v_mul_f64 v[12:13], v[0:1], v[12:13]
	v_fma_f64 v[26:27], v[0:1], v[10:11], -v[26:27]
	v_fmac_f64_e32 v[12:13], v[2:3], v[10:11]
	v_add_f64 v[0:1], v[20:21], v[26:27]
	v_add_f64 v[2:3], v[22:23], v[12:13]
	v_add_lshl_u32 v44, v5, v15, 4
	s_barrier
	ds_write_b128 v44, v[0:3]
	v_mov_b64_e32 v[0:1], 0
	v_cmp_gt_u32_e64 s[14:15], 32, v42
	v_lshlrev_b32_e32 v43, 4, v15
	v_mov_b64_e32 v[2:3], v[0:1]
	s_waitcnt lgkmcnt(0)
	s_barrier
	s_and_saveexec_b64 s[16:17], s[14:15]
	s_cbranch_execz .LBB191_44
; %bb.43:
	ds_read_b128 v[0:3], v43
	ds_read_b128 v[10:13], v43 offset:16
	ds_read_b128 v[20:23], v43 offset:32
	;; [unrolled: 1-line block ×3, first 2 shown]
	s_waitcnt lgkmcnt(2)
	v_add_f64 v[0:1], v[10:11], v[0:1]
	v_add_f64 v[10:11], v[12:13], v[2:3]
	s_waitcnt lgkmcnt(1)
	v_add_f64 v[12:13], v[0:1], v[20:21]
	ds_read_b128 v[0:3], v43 offset:64
	v_add_f64 v[10:11], v[10:11], v[22:23]
	s_waitcnt lgkmcnt(1)
	v_add_f64 v[20:21], v[12:13], v[26:27]
	v_add_f64 v[26:27], v[10:11], v[28:29]
	ds_read_b128 v[10:13], v43 offset:80
	s_waitcnt lgkmcnt(1)
	v_add_f64 v[28:29], v[20:21], v[0:1]
	ds_read_b128 v[20:23], v43 offset:96
	v_add_f64 v[26:27], v[26:27], v[2:3]
	ds_read_b128 v[0:3], v43 offset:112
	s_waitcnt lgkmcnt(2)
	v_add_f64 v[10:11], v[28:29], v[10:11]
	v_add_f64 v[12:13], v[26:27], v[12:13]
	s_waitcnt lgkmcnt(1)
	v_add_f64 v[10:11], v[10:11], v[20:21]
	v_add_f64 v[12:13], v[12:13], v[22:23]
	;; [unrolled: 3-line block ×3, first 2 shown]
.LBB191_44:
	s_or_b64 exec, exec, s[16:17]
	s_lshl_b32 s28, s26, 5
	s_ashr_i32 s29, s28, 31
	v_lshl_add_u64 v[12:13], s[28:29], 4, v[8:9]
	s_mov_b64 s[16:17], 0x200
	v_lshl_add_u64 v[10:11], v[12:13], 0, s[16:17]
	s_and_b64 vcc, exec, s[30:31]
	s_barrier
	s_cbranch_vccz .LBB191_62
; %bb.45:
	v_or_b32_e32 v7, 32, v4
	v_lshlrev_b32_e32 v8, 4, v7
	v_sub_co_u32_e32 v8, vcc, v10, v8
	s_ashr_i32 s19, s18, 31
	s_nop 0
	v_subbrev_co_u32_e32 v9, vcc, 0, v11, vcc
	v_lshl_add_u64 v[8:9], s[18:19], 4, v[8:9]
	v_lshl_add_u64 v[8:9], v[8:9], 0, -16
	v_cmp_gt_i32_e32 vcc, s18, v7
	s_sub_i32 s25, s18, 32
	v_cmp_le_i32_e64 s[16:17], s25, v5
	v_cndmask_b32_e32 v9, v9, v11, vcc
	v_cndmask_b32_e32 v8, v8, v10, vcc
	v_add_lshl_u32 v7, v14, v4, 4
	s_and_saveexec_b64 s[36:37], s[16:17]
	s_xor_b64 s[16:17], exec, s[36:37]
	s_cbranch_execz .LBB191_47
; %bb.46:
	v_mov_b32_e32 v20, 0
	v_mov_b32_e32 v21, v20
	;; [unrolled: 1-line block ×4, first 2 shown]
	ds_write_b128 v7, v[20:23]
.LBB191_47:
	s_andn2_saveexec_b64 s[16:17], s[16:17]
	s_cbranch_execz .LBB191_49
; %bb.48:
	flat_load_dwordx4 v[20:23], v[8:9]
	s_waitcnt vmcnt(0) lgkmcnt(0)
	ds_write2_b64 v7, v[20:21], v[22:23] offset1:1
.LBB191_49:
	s_or_b64 exec, exec, s[16:17]
	v_add_u32_e32 v19, 8, v5
	v_cmp_le_i32_e64 s[16:17], s25, v19
	s_and_saveexec_b64 s[36:37], s[16:17]
	s_xor_b64 s[16:17], exec, s[36:37]
	s_cbranch_execz .LBB191_51
; %bb.50:
	v_mul_u32_u24_e32 v19, 33, v19
	v_mov_b32_e32 v20, 0
	v_add_lshl_u32 v19, v19, v4, 4
	v_mov_b32_e32 v21, v20
	v_mov_b32_e32 v22, v20
	;; [unrolled: 1-line block ×3, first 2 shown]
	ds_write_b128 v19, v[20:23]
.LBB191_51:
	s_andn2_saveexec_b64 s[16:17], s[16:17]
	s_cbranch_execz .LBB191_53
; %bb.52:
	s_lshl_b32 s36, s26, 3
	s_ashr_i32 s37, s36, 31
	v_lshl_add_u64 v[20:21], s[36:37], 4, v[8:9]
	flat_load_dwordx4 v[20:23], v[20:21]
	v_add_u32_e32 v19, 0x1080, v7
	s_waitcnt vmcnt(0) lgkmcnt(0)
	ds_write2_b64 v19, v[20:21], v[22:23] offset1:1
.LBB191_53:
	s_or_b64 exec, exec, s[16:17]
	v_add_u32_e32 v19, 16, v5
	v_cmp_le_i32_e64 s[16:17], s25, v19
	s_and_saveexec_b64 s[36:37], s[16:17]
	s_xor_b64 s[16:17], exec, s[36:37]
	s_cbranch_execz .LBB191_55
; %bb.54:
	v_mul_u32_u24_e32 v19, 33, v19
	v_mov_b32_e32 v20, 0
	v_add_lshl_u32 v19, v19, v4, 4
	v_mov_b32_e32 v21, v20
	v_mov_b32_e32 v22, v20
	;; [unrolled: 1-line block ×3, first 2 shown]
	ds_write_b128 v19, v[20:23]
.LBB191_55:
	s_andn2_saveexec_b64 s[16:17], s[16:17]
	s_cbranch_execz .LBB191_57
; %bb.56:
	s_lshl_b32 s36, s26, 4
	s_ashr_i32 s37, s36, 31
	v_lshl_add_u64 v[20:21], s[36:37], 4, v[8:9]
	flat_load_dwordx4 v[20:23], v[20:21]
	v_add_u32_e32 v19, 0x2100, v7
	s_waitcnt vmcnt(0) lgkmcnt(0)
	ds_write2_b64 v19, v[20:21], v[22:23] offset1:1
.LBB191_57:
	s_or_b64 exec, exec, s[16:17]
	v_add_u32_e32 v19, 24, v5
	v_cmp_le_i32_e64 s[16:17], s25, v19
	s_and_saveexec_b64 s[36:37], s[16:17]
	s_xor_b64 s[16:17], exec, s[36:37]
	s_cbranch_execz .LBB191_59
; %bb.58:
	v_mov_b32_e32 v20, 0
	v_mov_b32_e32 v21, v20
	;; [unrolled: 1-line block ×4, first 2 shown]
	ds_write_b128 v7, v[20:23] offset:12672
                                        ; implicit-def: $vgpr7
.LBB191_59:
	s_andn2_saveexec_b64 s[16:17], s[16:17]
	s_cbranch_execz .LBB191_61
; %bb.60:
	s_mul_i32 s36, s26, 24
	s_ashr_i32 s37, s36, 31
	v_lshl_add_u64 v[20:21], s[36:37], 4, v[8:9]
	flat_load_dwordx4 v[20:23], v[20:21]
	v_add_u32_e32 v7, 0x3180, v7
	s_waitcnt vmcnt(0) lgkmcnt(0)
	ds_write2_b64 v7, v[20:21], v[22:23] offset1:1
.LBB191_61:
	s_or_b64 exec, exec, s[16:17]
	v_mov_b32_e32 v7, 0
	v_lshl_add_u64 v[8:9], v[8:9], 0, v[6:7]
	s_lshl_b64 s[16:17], s[18:19], 4
	v_mov_b32_e32 v7, s17
	v_subrev_co_u32_e64 v8, s[16:17], s16, v8
	s_nop 1
	v_subb_co_u32_e64 v9, s[16:17], v9, v7, s[16:17]
	s_mov_b64 s[16:17], 0x210
	s_nop 0
	v_lshl_add_u64 v[8:9], v[8:9], 0, s[16:17]
	v_cndmask_b32_e32 v9, v9, v11, vcc
	v_cndmask_b32_e32 v8, v8, v10, vcc
	s_branch .LBB191_64
.LBB191_62:
                                        ; implicit-def: $vgpr8_vgpr9
	s_cbranch_execz .LBB191_64
; %bb.63:
	flat_load_dwordx4 v[20:23], v[10:11]
	s_lshl_b32 s16, s26, 3
	v_add_lshl_u32 v7, v14, v4, 4
	s_ashr_i32 s17, s16, 31
	v_lshl_add_u64 v[8:9], s[16:17], 4, v[12:13]
	s_ashr_i32 s27, s26, 31
	v_add_u32_e32 v12, 0x1080, v7
	s_lshl_b64 s[16:17], s[26:27], 7
	s_waitcnt vmcnt(0) lgkmcnt(0)
	ds_write2_b64 v7, v[20:21], v[22:23] offset1:1
	flat_load_dwordx4 v[20:23], v[8:9] offset:512
	v_lshl_add_u64 v[8:9], v[8:9], 0, s[16:17]
	s_waitcnt vmcnt(0) lgkmcnt(0)
	ds_write2_b64 v12, v[20:21], v[22:23] offset1:1
	flat_load_dwordx4 v[20:23], v[8:9] offset:512
	v_add_u32_e32 v12, 0x2100, v7
	v_lshl_add_u64 v[8:9], v[8:9], 0, s[16:17]
	v_add_u32_e32 v7, 0x3180, v7
	s_waitcnt vmcnt(0) lgkmcnt(0)
	ds_write2_b64 v12, v[20:21], v[22:23] offset1:1
	flat_load_dwordx4 v[20:23], v[8:9] offset:512
	v_mov_b64_e32 v[8:9], v[10:11]
	s_waitcnt vmcnt(0) lgkmcnt(0)
	ds_write2_b64 v7, v[20:21], v[22:23] offset1:1
.LBB191_64:
	s_waitcnt lgkmcnt(0)
	s_barrier
	s_and_saveexec_b64 s[16:17], s[6:7]
	s_cbranch_execnz .LBB191_89
; %bb.65:
	s_or_b64 exec, exec, s[16:17]
	s_and_saveexec_b64 s[6:7], s[8:9]
	s_cbranch_execnz .LBB191_90
.LBB191_66:
	s_or_b64 exec, exec, s[6:7]
	s_and_saveexec_b64 s[6:7], s[10:11]
	s_cbranch_execnz .LBB191_91
.LBB191_67:
	s_or_b64 exec, exec, s[6:7]
	v_add_u32_e32 v12, 0x4700, v18
	s_and_saveexec_b64 s[6:7], s[12:13]
	s_cbranch_execz .LBB191_69
.LBB191_68:
	ds_read_b128 v[18:21], v16
	s_waitcnt lgkmcnt(0)
	ds_write_b128 v17, v[18:21] offset:48
.LBB191_69:
	s_or_b64 exec, exec, s[6:7]
	s_waitcnt lgkmcnt(0)
	s_barrier
	ds_read_b128 v[18:21], v12 offset:512
	ds_read_b128 v[26:29], v24
	ds_read_b128 v[30:33], v12 offset:528
	ds_read_b128 v[46:49], v12 offset:544
	;; [unrolled: 1-line block ×3, first 2 shown]
	ds_read_b128 v[54:57], v25
	v_cmp_eq_u32_e64 s[6:7], 1, v5
	s_waitcnt lgkmcnt(4)
	v_mul_f64 v[10:11], v[20:21], v[28:29]
	v_fma_f64 v[10:11], v[18:19], v[26:27], -v[10:11]
	v_mul_f64 v[18:19], v[18:19], v[28:29]
	v_fmac_f64_e32 v[18:19], v[20:21], v[26:27]
	v_add_f64 v[22:23], v[18:19], 0
	s_waitcnt lgkmcnt(0)
	v_mul_f64 v[18:19], v[32:33], v[56:57]
	v_fma_f64 v[26:27], v[30:31], v[54:55], -v[18:19]
	v_mul_f64 v[28:29], v[30:31], v[56:57]
	ds_read_b128 v[18:21], v25 offset:528
	v_add_f64 v[10:11], v[10:11], 0
	v_fmac_f64_e32 v[28:29], v[32:33], v[54:55]
	v_add_f64 v[10:11], v[10:11], v[26:27]
	v_add_f64 v[22:23], v[22:23], v[28:29]
	ds_read_b128 v[26:29], v16
	s_waitcnt lgkmcnt(1)
	v_mul_f64 v[30:31], v[48:49], v[20:21]
	v_mul_f64 v[20:21], v[46:47], v[20:21]
	v_fmac_f64_e32 v[20:21], v[48:49], v[18:19]
	v_fma_f64 v[30:31], v[46:47], v[18:19], -v[30:31]
	v_add_f64 v[20:21], v[22:23], v[20:21]
	s_waitcnt lgkmcnt(0)
	v_mul_f64 v[18:19], v[52:53], v[28:29]
	v_mul_f64 v[22:23], v[50:51], v[28:29]
	v_add_f64 v[10:11], v[10:11], v[30:31]
	v_fma_f64 v[18:19], v[50:51], v[26:27], -v[18:19]
	v_fmac_f64_e32 v[22:23], v[52:53], v[26:27]
	v_add_f64 v[18:19], v[10:11], v[18:19]
	v_add_f64 v[20:21], v[20:21], v[22:23]
	s_barrier
	ds_write_b128 v44, v[18:21]
	s_waitcnt lgkmcnt(0)
	s_barrier
	s_and_saveexec_b64 s[8:9], s[6:7]
	s_cbranch_execz .LBB191_71
; %bb.70:
	ds_read_b128 v[0:3], v43
	ds_read_b128 v[18:21], v43 offset:16
	ds_read_b128 v[26:29], v43 offset:32
	;; [unrolled: 1-line block ×3, first 2 shown]
	s_waitcnt lgkmcnt(2)
	v_add_f64 v[0:1], v[18:19], v[0:1]
	v_add_f64 v[10:11], v[20:21], v[2:3]
	s_waitcnt lgkmcnt(1)
	v_add_f64 v[18:19], v[0:1], v[26:27]
	ds_read_b128 v[0:3], v43 offset:64
	v_add_f64 v[10:11], v[10:11], v[28:29]
	s_waitcnt lgkmcnt(1)
	v_add_f64 v[22:23], v[18:19], v[30:31]
	ds_read_b128 v[18:21], v43 offset:80
	v_add_f64 v[10:11], v[10:11], v[32:33]
	ds_read_b128 v[26:29], v43 offset:96
	s_waitcnt lgkmcnt(2)
	v_add_f64 v[22:23], v[22:23], v[0:1]
	v_add_f64 v[10:11], v[10:11], v[2:3]
	ds_read_b128 v[0:3], v43 offset:112
	s_waitcnt lgkmcnt(2)
	v_add_f64 v[18:19], v[22:23], v[18:19]
	v_add_f64 v[10:11], v[10:11], v[20:21]
	s_waitcnt lgkmcnt(1)
	v_add_f64 v[18:19], v[18:19], v[26:27]
	v_add_f64 v[10:11], v[10:11], v[28:29]
	;; [unrolled: 3-line block ×3, first 2 shown]
.LBB191_71:
	s_or_b64 exec, exec, s[8:9]
	s_movk_i32 s8, 0xfe00
	s_mov_b32 s9, -1
	v_lshl_add_u64 v[8:9], v[8:9], 0, s[8:9]
	s_and_b64 vcc, exec, s[30:31]
	s_barrier
	s_cbranch_vccz .LBB191_92
; %bb.72:
	v_sub_co_u32_e32 v10, vcc, v8, v6
	s_ashr_i32 s19, s18, 31
	s_nop 0
	v_subbrev_co_u32_e32 v11, vcc, 0, v9, vcc
	v_lshl_add_u64 v[10:11], s[18:19], 4, v[10:11]
	v_lshl_add_u64 v[10:11], v[10:11], 0, -16
	v_cmp_gt_i32_e32 vcc, s18, v4
	s_sub_i32 s10, s18, 32
	v_cmp_le_i32_e64 s[8:9], s10, v5
	v_cndmask_b32_e32 v11, v11, v9, vcc
	v_cndmask_b32_e32 v10, v10, v8, vcc
	v_add_lshl_u32 v7, v14, v4, 4
	s_and_saveexec_b64 s[12:13], s[8:9]
	s_xor_b64 s[8:9], exec, s[12:13]
	s_cbranch_execz .LBB191_74
; %bb.73:
	v_mov_b32_e32 v18, 0
	v_mov_b32_e32 v19, v18
	;; [unrolled: 1-line block ×4, first 2 shown]
	ds_write_b128 v7, v[18:21]
.LBB191_74:
	s_andn2_saveexec_b64 s[8:9], s[8:9]
	s_cbranch_execz .LBB191_76
; %bb.75:
	flat_load_dwordx4 v[18:21], v[10:11]
	s_waitcnt vmcnt(0) lgkmcnt(0)
	ds_write2_b64 v7, v[18:19], v[20:21] offset1:1
.LBB191_76:
	s_or_b64 exec, exec, s[8:9]
	v_add_u32_e32 v13, 8, v5
	v_cmp_le_i32_e64 s[8:9], s10, v13
	s_and_saveexec_b64 s[12:13], s[8:9]
	s_xor_b64 s[8:9], exec, s[12:13]
	s_cbranch_execz .LBB191_78
; %bb.77:
	v_mul_u32_u24_e32 v17, 33, v13
	v_mov_b32_e32 v18, 0
	v_add_lshl_u32 v17, v17, v4, 4
	v_mov_b32_e32 v19, v18
	v_mov_b32_e32 v20, v18
	;; [unrolled: 1-line block ×3, first 2 shown]
	ds_write_b128 v17, v[18:21]
.LBB191_78:
	s_andn2_saveexec_b64 s[8:9], s[8:9]
	s_cbranch_execz .LBB191_80
; %bb.79:
	s_lshl_b32 s12, s26, 3
	s_ashr_i32 s13, s12, 31
	v_lshl_add_u64 v[18:19], s[12:13], 4, v[10:11]
	flat_load_dwordx4 v[18:21], v[18:19]
	v_add_u32_e32 v17, 0x1080, v7
	s_waitcnt vmcnt(0) lgkmcnt(0)
	ds_write2_b64 v17, v[18:19], v[20:21] offset1:1
.LBB191_80:
	s_or_b64 exec, exec, s[8:9]
	v_add_u32_e32 v17, 16, v5
	v_cmp_le_i32_e64 s[8:9], s10, v17
	s_and_saveexec_b64 s[12:13], s[8:9]
	s_xor_b64 s[8:9], exec, s[12:13]
	s_cbranch_execz .LBB191_82
; %bb.81:
	v_mul_u32_u24_e32 v18, 33, v17
	v_add_lshl_u32 v22, v18, v4, 4
	v_mov_b32_e32 v18, 0
	v_mov_b32_e32 v19, v18
	;; [unrolled: 1-line block ×4, first 2 shown]
	ds_write_b128 v22, v[18:21]
.LBB191_82:
	s_andn2_saveexec_b64 s[8:9], s[8:9]
	s_cbranch_execz .LBB191_84
; %bb.83:
	s_lshl_b32 s12, s26, 4
	s_ashr_i32 s13, s12, 31
	v_lshl_add_u64 v[18:19], s[12:13], 4, v[10:11]
	flat_load_dwordx4 v[18:21], v[18:19]
	v_add_u32_e32 v22, 0x2100, v7
	s_waitcnt vmcnt(0) lgkmcnt(0)
	ds_write2_b64 v22, v[18:19], v[20:21] offset1:1
.LBB191_84:
	s_or_b64 exec, exec, s[8:9]
	v_add_u32_e32 v18, 24, v5
	v_cmp_le_i32_e64 s[8:9], s10, v18
	s_and_saveexec_b64 s[10:11], s[8:9]
	s_xor_b64 s[8:9], exec, s[10:11]
	s_cbranch_execz .LBB191_86
; %bb.85:
	v_mov_b32_e32 v20, 0
	v_mov_b32_e32 v21, v20
	;; [unrolled: 1-line block ×4, first 2 shown]
	ds_write_b128 v7, v[20:23] offset:12672
                                        ; implicit-def: $vgpr7
.LBB191_86:
	s_andn2_saveexec_b64 s[8:9], s[8:9]
	s_cbranch_execz .LBB191_88
; %bb.87:
	s_mul_i32 s10, s26, 24
	s_ashr_i32 s11, s10, 31
	v_lshl_add_u64 v[20:21], s[10:11], 4, v[10:11]
	flat_load_dwordx4 v[20:23], v[20:21]
	v_add_u32_e32 v7, 0x3180, v7
	s_waitcnt vmcnt(0) lgkmcnt(0)
	ds_write2_b64 v7, v[20:21], v[22:23] offset1:1
.LBB191_88:
	s_or_b64 exec, exec, s[8:9]
	v_mov_b32_e32 v7, 0
	v_lshl_add_u64 v[6:7], v[10:11], 0, v[6:7]
	s_lshl_b64 s[8:9], s[18:19], 4
	v_mov_b32_e32 v10, s9
	v_subrev_co_u32_e64 v6, s[8:9], s8, v6
	s_nop 1
	v_subb_co_u32_e64 v7, s[8:9], v7, v10, s[8:9]
	v_lshl_add_u64 v[6:7], v[6:7], 0, 16
	v_cndmask_b32_e32 v41, v7, v9, vcc
	v_cndmask_b32_e32 v40, v6, v8, vcc
	s_branch .LBB191_94
.LBB191_89:
	ds_read_b128 v[10:13], v24
	s_waitcnt lgkmcnt(0)
	ds_write_b128 v17, v[10:13]
	s_or_b64 exec, exec, s[16:17]
	s_and_saveexec_b64 s[6:7], s[8:9]
	s_cbranch_execz .LBB191_66
.LBB191_90:
	ds_read_b128 v[10:13], v25
	s_waitcnt lgkmcnt(0)
	ds_write_b128 v17, v[10:13] offset:16
	s_or_b64 exec, exec, s[6:7]
	s_and_saveexec_b64 s[6:7], s[10:11]
	s_cbranch_execz .LBB191_67
.LBB191_91:
	v_add_u32_e32 v7, 0x210, v25
	ds_read_b128 v[10:13], v7
	s_waitcnt lgkmcnt(0)
	ds_write_b128 v17, v[10:13] offset:32
	s_or_b64 exec, exec, s[6:7]
	v_add_u32_e32 v12, 0x4700, v18
	s_and_saveexec_b64 s[6:7], s[12:13]
	s_cbranch_execnz .LBB191_68
	s_branch .LBB191_69
.LBB191_92:
                                        ; implicit-def: $vgpr40_vgpr41
                                        ; implicit-def: $vgpr13
                                        ; implicit-def: $vgpr17
                                        ; implicit-def: $vgpr18
	s_cbranch_execz .LBB191_94
; %bb.93:
	flat_load_dwordx4 v[18:21], v[8:9]
	s_lshl_b32 s8, s26, 3
	v_add_lshl_u32 v4, v14, v4, 4
	s_ashr_i32 s9, s8, 31
	v_lshl_add_u64 v[6:7], s[8:9], 4, v[8:9]
	s_ashr_i32 s27, s26, 31
	v_add_u32_e32 v10, 0x1080, v4
	s_lshl_b64 s[8:9], s[26:27], 7
	v_add_u32_e32 v13, 8, v5
	v_add_u32_e32 v17, 16, v5
	v_mov_b64_e32 v[40:41], v[8:9]
	s_waitcnt vmcnt(0) lgkmcnt(0)
	ds_write2_b64 v4, v[18:19], v[20:21] offset1:1
	flat_load_dwordx4 v[18:21], v[6:7]
	v_lshl_add_u64 v[6:7], v[6:7], 0, s[8:9]
	s_waitcnt vmcnt(0) lgkmcnt(0)
	ds_write2_b64 v10, v[18:19], v[20:21] offset1:1
	flat_load_dwordx4 v[18:21], v[6:7]
	v_add_u32_e32 v10, 0x2100, v4
	v_lshl_add_u64 v[6:7], v[6:7], 0, s[8:9]
	v_add_u32_e32 v4, 0x3180, v4
	s_waitcnt vmcnt(0) lgkmcnt(0)
	ds_write2_b64 v10, v[18:19], v[20:21] offset1:1
	flat_load_dwordx4 v[20:23], v[6:7]
	v_add_u32_e32 v18, 24, v5
	s_waitcnt vmcnt(0) lgkmcnt(0)
	ds_write2_b64 v4, v[20:21], v[22:23] offset1:1
.LBB191_94:
	v_lshlrev_b32_e32 v4, 4, v5
	s_waitcnt lgkmcnt(0)
	s_barrier
	ds_read_b128 v[46:49], v44
	ds_read_b128 v[50:53], v4 offset:18176
	v_add_lshl_u32 v4, v13, v15, 4
	v_lshlrev_b32_e32 v10, 4, v13
	ds_read_b128 v[54:57], v4
	ds_read_b128 v[4:7], v25 offset:528
	ds_read_b128 v[58:61], v10 offset:18176
	s_waitcnt lgkmcnt(3)
	v_mul_f64 v[8:9], v[48:49], v[52:53]
	v_add_lshl_u32 v10, v17, v15, 4
	v_lshlrev_b32_e32 v13, 4, v17
	v_fma_f64 v[8:9], v[46:47], v[50:51], -v[8:9]
	ds_read_b128 v[62:65], v10
	ds_read_b128 v[66:69], v13 offset:18176
	s_waitcnt lgkmcnt(2)
	v_mul_f64 v[10:11], v[56:57], v[60:61]
	v_add_f64 v[8:9], v[8:9], 0
	v_fma_f64 v[10:11], v[54:55], v[58:59], -v[10:11]
	v_add_f64 v[8:9], v[8:9], v[10:11]
	v_add_lshl_u32 v10, v18, v15, 4
	v_lshlrev_b32_e32 v13, 4, v18
	v_mul_f64 v[74:75], v[46:47], v[52:53]
	v_mul_f64 v[60:61], v[54:55], v[60:61]
	ds_read_b128 v[52:55], v10
	ds_read_b128 v[70:73], v13 offset:18176
	s_waitcnt lgkmcnt(2)
	v_mul_f64 v[10:11], v[64:65], v[68:69]
	v_fma_f64 v[10:11], v[62:63], v[66:67], -v[10:11]
	v_add_f64 v[14:15], v[8:9], v[10:11]
	ds_read_b128 v[8:11], v16
	s_waitcnt lgkmcnt(1)
	v_mul_f64 v[16:17], v[54:55], v[72:73]
	v_fma_f64 v[16:17], v[52:53], v[70:71], -v[16:17]
	v_add_f64 v[46:47], v[14:15], v[16:17]
	ds_read_b128 v[20:23], v12 offset:528
	ds_read_b128 v[16:19], v12 offset:544
	ds_read_b128 v[28:31], v12 offset:512
	ds_read_b128 v[32:35], v24
	ds_read_b128 v[12:15], v12 offset:560
	ds_read_b128 v[24:27], v25
	v_fmac_f64_e32 v[74:75], v[48:49], v[50:51]
	v_mul_f64 v[62:63], v[62:63], v[68:69]
	v_add_f64 v[48:49], v[74:75], 0
	v_fmac_f64_e32 v[60:61], v[56:57], v[58:59]
	v_mul_f64 v[52:53], v[52:53], v[72:73]
	v_add_f64 v[48:49], v[48:49], v[60:61]
	v_fmac_f64_e32 v[62:63], v[64:65], v[66:67]
	v_add_f64 v[48:49], v[48:49], v[62:63]
	v_fmac_f64_e32 v[52:53], v[54:55], v[70:71]
	v_add_f64 v[48:49], v[48:49], v[52:53]
	s_waitcnt lgkmcnt(0)
	s_barrier
	ds_write_b128 v44, v[46:49]
	s_waitcnt lgkmcnt(0)
	s_barrier
	s_and_saveexec_b64 s[8:9], s[6:7]
	s_cbranch_execz .LBB191_96
; %bb.95:
	ds_read_b128 v[46:49], v43
	ds_read_b128 v[50:53], v43 offset:16
	ds_read_b128 v[54:57], v43 offset:32
	;; [unrolled: 1-line block ×3, first 2 shown]
	s_waitcnt lgkmcnt(3)
	v_add_f64 v[0:1], v[0:1], v[46:47]
	v_add_f64 v[2:3], v[2:3], v[48:49]
	s_waitcnt lgkmcnt(2)
	v_add_f64 v[0:1], v[0:1], v[50:51]
	v_add_f64 v[46:47], v[2:3], v[52:53]
	s_waitcnt lgkmcnt(1)
	v_add_f64 v[48:49], v[0:1], v[54:55]
	ds_read_b128 v[0:3], v43 offset:64
	v_add_f64 v[46:47], v[46:47], v[56:57]
	s_waitcnt lgkmcnt(1)
	v_add_f64 v[50:51], v[48:49], v[58:59]
	v_add_f64 v[54:55], v[46:47], v[60:61]
	ds_read_b128 v[46:49], v43 offset:80
	s_waitcnt lgkmcnt(1)
	v_add_f64 v[56:57], v[50:51], v[0:1]
	ds_read_b128 v[50:53], v43 offset:96
	v_add_f64 v[54:55], v[54:55], v[2:3]
	ds_read_b128 v[0:3], v43 offset:112
	s_waitcnt lgkmcnt(2)
	v_add_f64 v[46:47], v[56:57], v[46:47]
	v_add_f64 v[48:49], v[54:55], v[48:49]
	s_waitcnt lgkmcnt(1)
	v_add_f64 v[46:47], v[46:47], v[50:51]
	v_add_f64 v[48:49], v[48:49], v[52:53]
	s_waitcnt lgkmcnt(0)
	v_add_f64 v[0:1], v[46:47], v[0:1]
	v_add_f64 v[2:3], v[48:49], v[2:3]
.LBB191_96:
	s_or_b64 exec, exec, s[8:9]
	v_mul_f64 v[46:47], v[30:31], v[34:35]
	v_fma_f64 v[46:47], v[28:29], v[32:33], -v[46:47]
	v_mul_f64 v[28:29], v[28:29], v[34:35]
	v_fmac_f64_e32 v[28:29], v[30:31], v[32:33]
	v_mul_f64 v[32:33], v[22:23], v[26:27]
	v_fma_f64 v[32:33], v[20:21], v[24:25], -v[32:33]
	v_mul_f64 v[20:21], v[20:21], v[26:27]
	v_add_f64 v[30:31], v[46:47], 0
	v_add_f64 v[28:29], v[28:29], 0
	v_fmac_f64_e32 v[20:21], v[22:23], v[24:25]
	v_mul_f64 v[24:25], v[18:19], v[6:7]
	v_mul_f64 v[6:7], v[16:17], v[6:7]
	v_add_f64 v[22:23], v[30:31], v[32:33]
	v_add_f64 v[20:21], v[28:29], v[20:21]
	v_fma_f64 v[24:25], v[16:17], v[4:5], -v[24:25]
	v_fmac_f64_e32 v[6:7], v[18:19], v[4:5]
	v_mul_f64 v[16:17], v[14:15], v[10:11]
	v_mul_f64 v[10:11], v[12:13], v[10:11]
	v_add_f64 v[4:5], v[22:23], v[24:25]
	v_add_f64 v[6:7], v[20:21], v[6:7]
	v_fma_f64 v[16:17], v[12:13], v[8:9], -v[16:17]
	v_fmac_f64_e32 v[10:11], v[14:15], v[8:9]
	v_add_f64 v[4:5], v[4:5], v[16:17]
	v_add_f64 v[6:7], v[6:7], v[10:11]
	s_barrier
	ds_write_b128 v44, v[4:7]
	s_waitcnt lgkmcnt(0)
	s_barrier
	s_and_saveexec_b64 s[6:7], s[14:15]
	s_cbranch_execz .LBB191_98
; %bb.97:
	ds_read_b128 v[4:7], v43
	ds_read_b128 v[8:11], v43 offset:16
	ds_read_b128 v[12:15], v43 offset:32
	;; [unrolled: 1-line block ×3, first 2 shown]
	s_waitcnt lgkmcnt(3)
	v_add_f64 v[0:1], v[0:1], v[4:5]
	v_add_f64 v[2:3], v[2:3], v[6:7]
	s_waitcnt lgkmcnt(2)
	v_add_f64 v[0:1], v[0:1], v[8:9]
	v_add_f64 v[4:5], v[2:3], v[10:11]
	s_waitcnt lgkmcnt(1)
	v_add_f64 v[6:7], v[0:1], v[12:13]
	ds_read_b128 v[0:3], v43 offset:64
	v_add_f64 v[4:5], v[4:5], v[14:15]
	s_waitcnt lgkmcnt(1)
	v_add_f64 v[8:9], v[6:7], v[16:17]
	v_add_f64 v[12:13], v[4:5], v[18:19]
	ds_read_b128 v[4:7], v43 offset:80
	s_waitcnt lgkmcnt(1)
	v_add_f64 v[14:15], v[8:9], v[0:1]
	ds_read_b128 v[8:11], v43 offset:96
	v_add_f64 v[12:13], v[12:13], v[2:3]
	ds_read_b128 v[0:3], v43 offset:112
	s_waitcnt lgkmcnt(2)
	v_add_f64 v[4:5], v[14:15], v[4:5]
	v_add_f64 v[6:7], v[12:13], v[6:7]
	s_waitcnt lgkmcnt(1)
	v_add_f64 v[4:5], v[4:5], v[8:9]
	v_add_f64 v[6:7], v[6:7], v[10:11]
	;; [unrolled: 3-line block ×3, first 2 shown]
.LBB191_98:
	s_or_b64 exec, exec, s[6:7]
	s_load_dwordx2 s[0:1], s[0:1], 0x78
	s_mul_hi_u32 s6, s34, s22
	s_mul_i32 s35, s35, s22
	s_add_i32 s6, s6, s35
	s_mul_i32 s8, s34, s22
	s_mul_i32 s6, s6, s3
	s_mul_hi_u32 s7, s8, s3
	s_add_i32 s7, s7, s6
	s_mul_i32 s6, s8, s3
	s_lshl_b64 s[6:7], s[6:7], 4
	s_waitcnt lgkmcnt(0)
	s_add_u32 s6, s0, s6
	s_addc_u32 s7, s1, s7
	s_mul_hi_i32 s1, s34, s2
	s_mul_i32 s0, s34, s2
	s_lshl_b64 s[0:1], s[0:1], 4
	s_add_u32 s8, s6, s0
	s_addc_u32 s9, s7, s1
	s_add_i32 s10, s2, 1
	s_cmp_ge_u32 s10, s3
	v_lshlrev_b32_e32 v169, 4, v168
	s_barrier
	s_cbranch_scc1 .LBB191_156
; %bb.99:
	s_mul_i32 s0, s24, s23
	s_ashr_i32 s1, s0, 31
	s_lshl_b64 s[0:1], s[0:1], 4
	v_and_b32_e32 v8, 48, v168
	v_lshlrev_b32_e32 v216, 2, v167
	v_mov_b32_e32 v4, s1
	v_subrev_co_u32_e32 v170, vcc, s0, v38
	v_and_b32_e32 v6, 15, v168
	v_lshlrev_b32_e32 v9, 4, v8
	s_movk_i32 s11, 0x430
	v_subb_co_u32_e32 v171, vcc, v39, v4, vcc
	v_lshrrev_b32_e32 v7, 4, v42
	v_mad_u64_u32 v[4:5], s[0:1], v216, s26, v[168:169]
	v_mad_u32_u24 v219, v6, s11, v9
	v_or_b32_e32 v9, 0xf0, v169
	s_lshl_b32 s30, s23, 6
	s_lshl_b32 s0, s26, 4
	v_mad_u32_u24 v220, v6, s11, v9
	v_lshlrev_b32_e32 v9, 6, v7
	s_ashr_i32 s27, s26, 31
	s_lshl_b32 s34, s26, 1
	v_mul_i32_i24_e32 v12, 0xffffffd0, v7
	s_mul_i32 s36, s26, 3
	s_mul_i32 s23, s23, s10
	v_add_u32_e32 v7, s24, v8
	s_add_i32 s19, s3, -2
	s_ashr_i32 s1, s0, 31
	v_mad_u32_u24 v221, v6, s11, v9
	s_ashr_i32 s35, s34, 31
	s_ashr_i32 s37, s36, 31
	s_lshl_b64 s[14:15], s[26:27], 4
	s_lshl_b32 s10, s23, 6
	v_add3_u32 v172, v7, v6, 64
	v_lshlrev_b64 v[6:7], 4, v[36:37]
	s_lshl_b64 s[22:23], s[26:27], 5
	s_lshl_b64 s[24:25], s[28:29], 4
	v_ashrrev_i32_e32 v5, 31, v4
	v_sub_co_u32_e32 v174, vcc, 0, v6
	s_add_u32 s16, s22, s24
	v_mov_b32_e32 v9, 0x4300
	v_subb_co_u32_e32 v175, vcc, 0, v7, vcc
	s_addc_u32 s17, s23, s25
	v_lshlrev_b64 v[6:7], 4, v[4:5]
	v_lshl_add_u64 v[4:5], s[28:29], 0, v[4:5]
	v_lshl_add_u32 v225, v167, 6, v9
	s_movk_i32 s11, 0x10c0
	v_lshl_add_u64 v[8:9], s[16:17], 0, v[6:7]
	v_lshlrev_b64 v[4:5], 4, v[4:5]
	v_mad_u32_u24 v226, v167, s11, v169
	v_lshl_add_u64 v[176:177], v[40:41], 0, v[8:9]
	s_mul_i32 s11, s26, 0x300
	v_mad_i64_i32 v[8:9], s[26:27], s0, 48, v[4:5]
	s_lshl_b64 s[12:13], s[0:1], 6
	s_lshl_b64 s[26:27], s[36:37], 4
	s_add_u32 s28, s14, s24
	v_lshl_add_u64 v[10:11], v[8:9], 0, s[26:27]
	s_addc_u32 s29, s15, s25
	v_lshl_add_u64 v[178:179], v[40:41], 0, v[10:11]
	v_lshl_add_u64 v[10:11], s[28:29], 0, v[6:7]
	s_lshl_b64 s[34:35], s[34:35], 4
	v_lshl_add_u64 v[180:181], v[40:41], 0, v[10:11]
	v_lshl_add_u64 v[10:11], v[8:9], 0, s[34:35]
	s_add_u32 s36, s24, s34
	v_lshl_add_u64 v[182:183], v[40:41], 0, v[10:11]
	v_lshl_add_u64 v[10:11], s[24:25], 0, v[6:7]
	s_addc_u32 s37, s25, s35
	v_lshl_add_u64 v[184:185], v[40:41], 0, v[10:11]
	v_lshl_add_u64 v[10:11], s[36:37], 0, v[6:7]
	s_add_u32 s36, s24, s26
	v_lshl_add_u64 v[186:187], v[40:41], 0, v[8:9]
	v_lshl_add_u64 v[8:9], v[8:9], 0, s[14:15]
	s_addc_u32 s37, s25, s27
	v_lshl_add_u64 v[190:191], v[40:41], 0, v[8:9]
	v_lshl_add_u64 v[8:9], s[36:37], 0, v[6:7]
	s_lshl_b64 s[36:37], s[0:1], 4
	s_add_u32 s38, s16, s36
	s_addc_u32 s39, s17, s37
	s_mul_hi_i32 s31, s0, 48
	s_add_u32 s22, s11, s22
	s_addc_u32 s23, s31, s23
	s_lshl_b64 s[0:1], s[0:1], 5
	v_lshl_add_u64 v[4:5], s[22:23], 0, v[4:5]
	s_add_u32 s22, s0, s24
	s_addc_u32 s23, s1, s25
	v_lshl_add_u64 v[192:193], v[40:41], 0, v[8:9]
	v_lshl_add_u64 v[8:9], s[38:39], 0, v[6:7]
	s_add_u32 s38, s22, s26
	s_addc_u32 s39, s23, s27
	s_add_u32 s28, s28, s36
	v_lshl_add_u64 v[196:197], v[40:41], 0, v[4:5]
	v_lshl_add_u64 v[4:5], s[38:39], 0, v[6:7]
	s_addc_u32 s29, s29, s37
	v_lshl_add_u64 v[198:199], v[40:41], 0, v[4:5]
	v_lshl_add_u64 v[4:5], s[28:29], 0, v[6:7]
	s_add_u32 s28, s22, s34
	s_addc_u32 s29, s23, s35
	s_add_u32 s24, s24, s36
	s_addc_u32 s25, s25, s37
	v_lshl_add_u64 v[200:201], v[40:41], 0, v[4:5]
	v_lshl_add_u64 v[4:5], s[28:29], 0, v[6:7]
	s_add_u32 s28, s24, s34
	v_lshl_add_u64 v[202:203], v[40:41], 0, v[4:5]
	v_lshl_add_u64 v[4:5], s[24:25], 0, v[6:7]
	s_addc_u32 s29, s25, s35
	v_lshl_add_u64 v[204:205], v[40:41], 0, v[4:5]
	v_lshl_add_u64 v[4:5], s[22:23], 0, v[6:7]
	s_add_u32 s14, s22, s14
	v_lshl_add_u64 v[206:207], v[40:41], 0, v[4:5]
	v_lshl_add_u64 v[4:5], s[28:29], 0, v[6:7]
	s_addc_u32 s15, s23, s15
	v_lshl_add_u64 v[208:209], v[40:41], 0, v[4:5]
	v_lshl_add_u64 v[4:5], s[14:15], 0, v[6:7]
	s_add_u32 s14, s24, s26
	s_addc_u32 s15, s25, s27
	s_add_u32 s0, s16, s0
	v_lshl_add_u64 v[210:211], v[40:41], 0, v[4:5]
	v_lshl_add_u64 v[4:5], s[14:15], 0, v[6:7]
	s_addc_u32 s1, s17, s1
	v_lshl_add_u64 v[212:213], v[40:41], 0, v[4:5]
	v_lshl_add_u64 v[4:5], s[0:1], 0, v[6:7]
	v_add_u32_e32 v217, 0x4300, v169
	v_add_u32_e32 v218, 0x4700, v169
	v_cmp_gt_u32_e64 s[6:7], 64, v42
	v_or_b32_e32 v222, 1, v216
	v_or_b32_e32 v223, 2, v216
	;; [unrolled: 1-line block ×3, first 2 shown]
	v_add_u32_e32 v227, 16, v216
	v_add_u32_e32 v228, 17, v216
	;; [unrolled: 1-line block ×12, first 2 shown]
	v_lshl_add_u64 v[188:189], v[40:41], 0, v[10:11]
	v_lshl_add_u64 v[194:195], v[40:41], 0, v[8:9]
	;; [unrolled: 1-line block ×3, first 2 shown]
	v_add_u32_e32 v239, v221, v12
	v_mov_b32_e32 v4, 0
	s_cmp_eq_u32 s19, s2
	s_cselect_b32 s26, s33, 0
	s_and_saveexec_b64 s[0:1], s[4:5]
	s_cbranch_execz .LBB191_104
.LBB191_100:
	s_cmp_lg_u32 s26, 0
	s_cselect_b64 s[14:15], -1, 0
	v_cmp_le_i32_e32 vcc, s26, v168
	s_and_b64 s[14:15], s[14:15], vcc
	s_and_saveexec_b64 s[16:17], s[14:15]
	s_xor_b64 s[14:15], exec, s[16:17]
	s_cbranch_execz .LBB191_102
; %bb.101:
	v_mov_b32_e32 v5, v4
	v_mov_b32_e32 v6, v4
	v_mov_b32_e32 v7, v4
	ds_write_b128 v217, v[4:7]
.LBB191_102:
	s_andn2_saveexec_b64 s[14:15], s[14:15]
	s_cbranch_execz .LBB191_104
; %bb.103:
	s_ashr_i32 s11, s10, 31
	v_lshl_add_u64 v[6:7], s[10:11], 4, v[170:171]
	flat_load_dwordx4 v[6:9], v[6:7]
	s_waitcnt vmcnt(0) lgkmcnt(0)
	ds_write2_b64 v217, v[6:7], v[8:9] offset1:1
.LBB191_104:                            ; =>This Inner Loop Header: Depth=1
	s_or_b64 exec, exec, s[0:1]
	s_cmp_eq_u32 s26, 0
	s_cselect_b64 s[14:15], -1, 0
	s_cmp_lg_u32 s26, 0
	s_cselect_b64 s[16:17], -1, 0
	v_lshl_add_u64 v[18:19], v[184:185], 0, v[174:175]
	s_and_b64 vcc, exec, s[16:17]
	s_waitcnt lgkmcnt(0)
	s_barrier
	s_cbranch_vccz .LBB191_112
; %bb.105:                              ;   in Loop: Header=BB191_104 Depth=1
	v_mov_b64_e32 v[10:11], 0
	v_cmp_gt_i32_e32 vcc, s26, v216
	v_mov_b64_e32 v[6:7], v[10:11]
	v_mov_b64_e32 v[8:9], v[10:11]
	s_and_saveexec_b64 s[0:1], vcc
	s_cbranch_execz .LBB191_107
; %bb.106:                              ;   in Loop: Header=BB191_104 Depth=1
	flat_load_dwordx4 v[6:9], v[18:19]
.LBB191_107:                            ;   in Loop: Header=BB191_104 Depth=1
	s_or_b64 exec, exec, s[0:1]
	v_cmp_gt_i32_e32 vcc, s26, v222
	v_mov_b64_e32 v[12:13], v[10:11]
	s_and_saveexec_b64 s[0:1], vcc
	s_cbranch_execz .LBB191_109
; %bb.108:                              ;   in Loop: Header=BB191_104 Depth=1
	v_lshl_add_u64 v[10:11], v[180:181], 0, v[174:175]
	flat_load_dwordx4 v[10:13], v[10:11]
.LBB191_109:                            ;   in Loop: Header=BB191_104 Depth=1
	s_or_b64 exec, exec, s[0:1]
	v_mov_b64_e32 v[14:15], 0
	v_cmp_gt_i32_e32 vcc, s26, v223
	s_mov_b64 s[24:25], 0
	v_mov_b64_e32 v[16:17], v[14:15]
	s_and_saveexec_b64 s[0:1], vcc
	s_cbranch_execz .LBB191_111
; %bb.110:                              ;   in Loop: Header=BB191_104 Depth=1
	v_lshl_add_u64 v[14:15], v[188:189], 0, v[174:175]
	flat_load_dwordx4 v[14:17], v[14:15]
.LBB191_111:                            ;   in Loop: Header=BB191_104 Depth=1
	s_or_b64 exec, exec, s[0:1]
	v_cmp_gt_i32_e64 s[0:1], s26, v224
	s_mov_b64 s[22:23], 0
	s_and_b64 vcc, exec, s[24:25]
	s_cbranch_vccnz .LBB191_113
	s_branch .LBB191_114
.LBB191_112:                            ;   in Loop: Header=BB191_104 Depth=1
	s_mov_b64 s[0:1], 0
                                        ; implicit-def: $sgpr22_sgpr23
                                        ; implicit-def: $vgpr16_vgpr17
                                        ; implicit-def: $vgpr12_vgpr13
                                        ; implicit-def: $vgpr8_vgpr9
	s_cbranch_execz .LBB191_114
.LBB191_113:                            ;   in Loop: Header=BB191_104 Depth=1
	s_waitcnt vmcnt(0) lgkmcnt(0)
	v_lshl_add_u64 v[10:11], v[180:181], 0, v[174:175]
	v_lshl_add_u64 v[14:15], v[176:177], 0, v[174:175]
	flat_load_dwordx4 v[6:9], v[18:19]
	s_or_b64 s[0:1], s[0:1], exec
	flat_load_dwordx4 v[10:13], v[10:11]
                                        ; implicit-def: $sgpr22_sgpr23
	s_nop 0
	flat_load_dwordx4 v[14:17], v[14:15]
.LBB191_114:                            ;   in Loop: Header=BB191_104 Depth=1
	v_mov_b64_e32 v[18:19], s[22:23]
	v_mov_b64_e32 v[20:21], s[22:23]
	s_and_saveexec_b64 s[22:23], s[0:1]
	s_cbranch_execz .LBB191_116
; %bb.115:                              ;   in Loop: Header=BB191_104 Depth=1
	v_lshl_add_u64 v[18:19], v[192:193], 0, v[174:175]
	flat_load_dwordx4 v[18:21], v[18:19]
.LBB191_116:                            ;   in Loop: Header=BB191_104 Depth=1
	s_or_b64 exec, exec, s[22:23]
	ds_read_b128 v[34:37], v218
	ds_read_b128 v[22:25], v225
	v_cndmask_b32_e64 v5, 0, 1, s[16:17]
	v_cmp_ne_u32_e64 s[0:1], 1, v5
	s_andn2_b64 vcc, exec, s[16:17]
	s_waitcnt vmcnt(0) lgkmcnt(0)
	v_mul_f64 v[26:27], v[8:9], v[36:37]
	v_mul_f64 v[28:29], v[6:7], v[36:37]
	;; [unrolled: 1-line block ×3, first 2 shown]
	v_fma_f64 v[26:27], v[6:7], v[34:35], -v[26:27]
	v_fmac_f64_e32 v[28:29], v[8:9], v[34:35]
	v_mul_f64 v[32:33], v[10:11], v[36:37]
	ds_write_b128 v226, v[26:29]
	v_fma_f64 v[30:31], v[10:11], v[34:35], -v[30:31]
	v_fmac_f64_e32 v[32:33], v[12:13], v[34:35]
	v_mul_f64 v[38:39], v[16:17], v[36:37]
	v_mul_f64 v[40:41], v[14:15], v[36:37]
	ds_read_b128 v[26:29], v225 offset:16
	ds_write_b128 v226, v[30:33] offset:1072
	v_fma_f64 v[38:39], v[14:15], v[34:35], -v[38:39]
	v_fmac_f64_e32 v[40:41], v[16:17], v[34:35]
	v_mul_f64 v[42:43], v[20:21], v[36:37]
	v_mul_f64 v[44:45], v[18:19], v[36:37]
	ds_read_b128 v[30:33], v225 offset:32
	ds_write_b128 v226, v[38:41] offset:2144
	v_fma_f64 v[42:43], v[18:19], v[34:35], -v[42:43]
	v_fmac_f64_e32 v[44:45], v[20:21], v[34:35]
	ds_read_b128 v[38:41], v225 offset:48
	ds_write_b128 v226, v[42:45] offset:3216
	s_waitcnt lgkmcnt(0)
	s_barrier
	ds_read_b128 v[98:101], v221
	ds_read_b128 v[94:97], v221 offset:16
	ds_read_b128 v[86:89], v221 offset:32
	;; [unrolled: 1-line block ×3, first 2 shown]
	v_lshl_add_u64 v[50:51], v[204:205], 0, v[174:175]
	s_waitcnt lgkmcnt(0)
	s_barrier
	s_cbranch_vccnz .LBB191_124
; %bb.117:                              ;   in Loop: Header=BB191_104 Depth=1
	v_mov_b64_e32 v[42:43], 0
	v_cmp_gt_i32_e32 vcc, s26, v227
	v_mov_b64_e32 v[34:35], v[42:43]
	v_mov_b64_e32 v[36:37], v[42:43]
	s_and_saveexec_b64 s[16:17], vcc
	s_cbranch_execz .LBB191_119
; %bb.118:                              ;   in Loop: Header=BB191_104 Depth=1
	flat_load_dwordx4 v[34:37], v[50:51]
.LBB191_119:                            ;   in Loop: Header=BB191_104 Depth=1
	s_or_b64 exec, exec, s[16:17]
	v_cmp_gt_i32_e32 vcc, s26, v228
	v_mov_b64_e32 v[44:45], v[42:43]
	s_and_saveexec_b64 s[16:17], vcc
	s_cbranch_execz .LBB191_121
; %bb.120:                              ;   in Loop: Header=BB191_104 Depth=1
	v_lshl_add_u64 v[42:43], v[200:201], 0, v[174:175]
	flat_load_dwordx4 v[42:45], v[42:43]
.LBB191_121:                            ;   in Loop: Header=BB191_104 Depth=1
	s_or_b64 exec, exec, s[16:17]
	v_mov_b64_e32 v[46:47], 0
	v_cmp_gt_i32_e32 vcc, s26, v229
	s_mov_b64 s[24:25], 0
	v_mov_b64_e32 v[48:49], v[46:47]
	s_and_saveexec_b64 s[16:17], vcc
	s_cbranch_execz .LBB191_123
; %bb.122:                              ;   in Loop: Header=BB191_104 Depth=1
	v_lshl_add_u64 v[46:47], v[208:209], 0, v[174:175]
	flat_load_dwordx4 v[46:49], v[46:47]
.LBB191_123:                            ;   in Loop: Header=BB191_104 Depth=1
	s_or_b64 exec, exec, s[16:17]
	v_cmp_gt_i32_e64 s[16:17], s26, v230
	s_mov_b64 s[22:23], 0
	s_and_b64 vcc, exec, s[24:25]
	s_cbranch_vccnz .LBB191_125
	s_branch .LBB191_126
.LBB191_124:                            ;   in Loop: Header=BB191_104 Depth=1
	s_mov_b64 s[16:17], 0
                                        ; implicit-def: $sgpr22_sgpr23
                                        ; implicit-def: $vgpr48_vgpr49
                                        ; implicit-def: $vgpr44_vgpr45
                                        ; implicit-def: $vgpr36_vgpr37
	s_cbranch_execz .LBB191_126
.LBB191_125:                            ;   in Loop: Header=BB191_104 Depth=1
	s_waitcnt vmcnt(0) lgkmcnt(0)
	v_lshl_add_u64 v[42:43], v[200:201], 0, v[174:175]
	v_lshl_add_u64 v[46:47], v[194:195], 0, v[174:175]
	flat_load_dwordx4 v[34:37], v[50:51]
	s_or_b64 s[16:17], s[16:17], exec
	flat_load_dwordx4 v[42:45], v[42:43]
                                        ; implicit-def: $sgpr22_sgpr23
	s_nop 0
	flat_load_dwordx4 v[46:49], v[46:47]
.LBB191_126:                            ;   in Loop: Header=BB191_104 Depth=1
	v_mov_b64_e32 v[50:51], s[22:23]
	v_mov_b64_e32 v[52:53], s[22:23]
	s_and_saveexec_b64 s[22:23], s[16:17]
	s_cbranch_execz .LBB191_128
; %bb.127:                              ;   in Loop: Header=BB191_104 Depth=1
	v_lshl_add_u64 v[50:51], v[212:213], 0, v[174:175]
	flat_load_dwordx4 v[50:53], v[50:51]
.LBB191_128:                            ;   in Loop: Header=BB191_104 Depth=1
	s_or_b64 exec, exec, s[22:23]
	ds_read_b128 v[66:69], v218
	ds_read_b128 v[54:57], v225 offset:256
	s_and_b64 vcc, exec, s[0:1]
	v_lshl_add_u64 v[90:91], v[206:207], 0, v[174:175]
	s_waitcnt vmcnt(0) lgkmcnt(0)
	v_mul_f64 v[58:59], v[36:37], v[68:69]
	v_mul_f64 v[60:61], v[34:35], v[68:69]
	v_mul_f64 v[62:63], v[44:45], v[68:69]
	v_fma_f64 v[58:59], v[34:35], v[66:67], -v[58:59]
	v_fmac_f64_e32 v[60:61], v[36:37], v[66:67]
	v_mul_f64 v[64:65], v[42:43], v[68:69]
	ds_write_b128 v226, v[58:61]
	v_fma_f64 v[62:63], v[42:43], v[66:67], -v[62:63]
	v_fmac_f64_e32 v[64:65], v[44:45], v[66:67]
	v_mul_f64 v[70:71], v[48:49], v[68:69]
	v_mul_f64 v[72:73], v[46:47], v[68:69]
	ds_read_b128 v[58:61], v225 offset:272
	ds_write_b128 v226, v[62:65] offset:1072
	v_fma_f64 v[70:71], v[46:47], v[66:67], -v[70:71]
	v_fmac_f64_e32 v[72:73], v[48:49], v[66:67]
	ds_read_b128 v[62:65], v225 offset:288
	ds_write_b128 v226, v[70:73] offset:2144
	v_mul_f64 v[70:71], v[52:53], v[68:69]
	v_mul_f64 v[72:73], v[50:51], v[68:69]
	v_fma_f64 v[70:71], v[50:51], v[66:67], -v[70:71]
	v_fmac_f64_e32 v[72:73], v[52:53], v[66:67]
	ds_read_b128 v[74:77], v225 offset:304
	ds_write_b128 v226, v[70:73] offset:3216
	s_waitcnt lgkmcnt(0)
	s_barrier
	ds_read_b128 v[146:149], v221
	ds_read_b128 v[142:145], v221 offset:16
	ds_read_b128 v[138:141], v221 offset:32
	;; [unrolled: 1-line block ×3, first 2 shown]
	s_waitcnt lgkmcnt(0)
	s_barrier
	s_cbranch_vccnz .LBB191_136
; %bb.129:                              ;   in Loop: Header=BB191_104 Depth=1
	v_mov_b64_e32 v[70:71], 0
	v_cmp_gt_i32_e32 vcc, s26, v231
	v_mov_b64_e32 v[66:67], v[70:71]
	v_mov_b64_e32 v[68:69], v[70:71]
	s_and_saveexec_b64 s[16:17], vcc
	s_cbranch_execz .LBB191_131
; %bb.130:                              ;   in Loop: Header=BB191_104 Depth=1
	flat_load_dwordx4 v[66:69], v[90:91]
.LBB191_131:                            ;   in Loop: Header=BB191_104 Depth=1
	s_or_b64 exec, exec, s[16:17]
	v_cmp_gt_i32_e32 vcc, s26, v232
	v_mov_b64_e32 v[72:73], v[70:71]
	s_and_saveexec_b64 s[16:17], vcc
	s_cbranch_execz .LBB191_133
; %bb.132:                              ;   in Loop: Header=BB191_104 Depth=1
	v_lshl_add_u64 v[70:71], v[210:211], 0, v[174:175]
	flat_load_dwordx4 v[70:73], v[70:71]
.LBB191_133:                            ;   in Loop: Header=BB191_104 Depth=1
	s_or_b64 exec, exec, s[16:17]
	v_mov_b64_e32 v[78:79], 0
	v_cmp_gt_i32_e32 vcc, s26, v233
	s_mov_b64 s[24:25], 0
	v_mov_b64_e32 v[80:81], v[78:79]
	s_and_saveexec_b64 s[16:17], vcc
	s_cbranch_execz .LBB191_135
; %bb.134:                              ;   in Loop: Header=BB191_104 Depth=1
	v_lshl_add_u64 v[78:79], v[202:203], 0, v[174:175]
	flat_load_dwordx4 v[78:81], v[78:79]
.LBB191_135:                            ;   in Loop: Header=BB191_104 Depth=1
	s_or_b64 exec, exec, s[16:17]
	v_cmp_gt_i32_e64 s[16:17], s26, v234
	s_mov_b64 s[22:23], 0
	s_and_b64 vcc, exec, s[24:25]
	s_cbranch_vccnz .LBB191_137
	s_branch .LBB191_138
.LBB191_136:                            ;   in Loop: Header=BB191_104 Depth=1
	s_mov_b64 s[16:17], 0
                                        ; implicit-def: $sgpr22_sgpr23
                                        ; implicit-def: $vgpr80_vgpr81
                                        ; implicit-def: $vgpr72_vgpr73
                                        ; implicit-def: $vgpr68_vgpr69
	s_cbranch_execz .LBB191_138
.LBB191_137:                            ;   in Loop: Header=BB191_104 Depth=1
	s_waitcnt vmcnt(0) lgkmcnt(0)
	v_lshl_add_u64 v[70:71], v[210:211], 0, v[174:175]
	v_lshl_add_u64 v[78:79], v[214:215], 0, v[174:175]
	flat_load_dwordx4 v[66:69], v[90:91]
	s_or_b64 s[16:17], s[16:17], exec
	flat_load_dwordx4 v[70:73], v[70:71]
                                        ; implicit-def: $sgpr22_sgpr23
	s_nop 0
	flat_load_dwordx4 v[78:81], v[78:79]
.LBB191_138:                            ;   in Loop: Header=BB191_104 Depth=1
	v_mov_b64_e32 v[90:91], s[22:23]
	v_mov_b64_e32 v[92:93], s[22:23]
	s_and_saveexec_b64 s[22:23], s[16:17]
	s_cbranch_execz .LBB191_140
; %bb.139:                              ;   in Loop: Header=BB191_104 Depth=1
	v_lshl_add_u64 v[90:91], v[198:199], 0, v[174:175]
	flat_load_dwordx4 v[90:93], v[90:91]
.LBB191_140:                            ;   in Loop: Header=BB191_104 Depth=1
	s_or_b64 exec, exec, s[22:23]
	ds_read_b128 v[114:117], v218
	ds_read_b128 v[102:105], v225 offset:512
	s_and_b64 vcc, exec, s[0:1]
	v_lshl_add_u64 v[130:131], v[186:187], 0, v[174:175]
	s_waitcnt vmcnt(0) lgkmcnt(0)
	v_mul_f64 v[106:107], v[68:69], v[116:117]
	v_mul_f64 v[108:109], v[66:67], v[116:117]
	v_mul_f64 v[110:111], v[72:73], v[116:117]
	v_fma_f64 v[106:107], v[66:67], v[114:115], -v[106:107]
	v_fmac_f64_e32 v[108:109], v[68:69], v[114:115]
	v_mul_f64 v[112:113], v[70:71], v[116:117]
	ds_write_b128 v226, v[106:109]
	v_fma_f64 v[110:111], v[70:71], v[114:115], -v[110:111]
	v_fmac_f64_e32 v[112:113], v[72:73], v[114:115]
	v_mul_f64 v[118:119], v[80:81], v[116:117]
	v_mul_f64 v[120:121], v[78:79], v[116:117]
	ds_read_b128 v[106:109], v225 offset:528
	ds_write_b128 v226, v[110:113] offset:1072
	v_fma_f64 v[118:119], v[78:79], v[114:115], -v[118:119]
	v_fmac_f64_e32 v[120:121], v[80:81], v[114:115]
	v_mul_f64 v[122:123], v[92:93], v[116:117]
	v_mul_f64 v[124:125], v[90:91], v[116:117]
	ds_read_b128 v[110:113], v225 offset:544
	ds_write_b128 v226, v[118:121] offset:2144
	v_fma_f64 v[122:123], v[90:91], v[114:115], -v[122:123]
	v_fmac_f64_e32 v[124:125], v[92:93], v[114:115]
	ds_read_b128 v[118:121], v225 offset:560
	ds_write_b128 v226, v[122:125] offset:3216
	s_waitcnt lgkmcnt(0)
	s_barrier
	ds_read_b128 v[162:165], v221
	ds_read_b128 v[158:161], v221 offset:16
	ds_read_b128 v[154:157], v221 offset:32
	;; [unrolled: 1-line block ×3, first 2 shown]
	s_waitcnt lgkmcnt(0)
	s_barrier
	s_cbranch_vccnz .LBB191_148
; %bb.141:                              ;   in Loop: Header=BB191_104 Depth=1
	v_mov_b64_e32 v[122:123], 0
	v_cmp_gt_i32_e32 vcc, s26, v235
	v_mov_b64_e32 v[114:115], v[122:123]
	v_mov_b64_e32 v[116:117], v[122:123]
	s_and_saveexec_b64 s[0:1], vcc
	s_cbranch_execz .LBB191_143
; %bb.142:                              ;   in Loop: Header=BB191_104 Depth=1
	flat_load_dwordx4 v[114:117], v[130:131]
.LBB191_143:                            ;   in Loop: Header=BB191_104 Depth=1
	s_or_b64 exec, exec, s[0:1]
	v_cmp_gt_i32_e32 vcc, s26, v236
	v_mov_b64_e32 v[124:125], v[122:123]
	s_and_saveexec_b64 s[0:1], vcc
	s_cbranch_execz .LBB191_145
; %bb.144:                              ;   in Loop: Header=BB191_104 Depth=1
	v_lshl_add_u64 v[122:123], v[190:191], 0, v[174:175]
	flat_load_dwordx4 v[122:125], v[122:123]
.LBB191_145:                            ;   in Loop: Header=BB191_104 Depth=1
	s_or_b64 exec, exec, s[0:1]
	v_mov_b64_e32 v[126:127], 0
	v_cmp_gt_i32_e32 vcc, s26, v237
	s_mov_b64 s[22:23], 0
	v_mov_b64_e32 v[128:129], v[126:127]
	s_and_saveexec_b64 s[0:1], vcc
	s_cbranch_execz .LBB191_147
; %bb.146:                              ;   in Loop: Header=BB191_104 Depth=1
	v_lshl_add_u64 v[126:127], v[182:183], 0, v[174:175]
	flat_load_dwordx4 v[126:129], v[126:127]
.LBB191_147:                            ;   in Loop: Header=BB191_104 Depth=1
	s_or_b64 exec, exec, s[0:1]
	v_cmp_gt_i32_e64 s[0:1], s26, v238
	s_mov_b64 s[16:17], 0
	s_and_b64 vcc, exec, s[22:23]
	s_cbranch_vccnz .LBB191_149
	s_branch .LBB191_150
.LBB191_148:                            ;   in Loop: Header=BB191_104 Depth=1
	s_mov_b64 s[0:1], 0
                                        ; implicit-def: $sgpr16_sgpr17
                                        ; implicit-def: $vgpr128_vgpr129
                                        ; implicit-def: $vgpr124_vgpr125
                                        ; implicit-def: $vgpr116_vgpr117
	s_cbranch_execz .LBB191_150
.LBB191_149:                            ;   in Loop: Header=BB191_104 Depth=1
	s_waitcnt vmcnt(0) lgkmcnt(0)
	v_lshl_add_u64 v[122:123], v[190:191], 0, v[174:175]
	v_lshl_add_u64 v[126:127], v[196:197], 0, v[174:175]
	flat_load_dwordx4 v[114:117], v[130:131]
	s_or_b64 s[0:1], s[0:1], exec
	flat_load_dwordx4 v[122:125], v[122:123]
                                        ; implicit-def: $sgpr16_sgpr17
	s_nop 0
	flat_load_dwordx4 v[126:129], v[126:127]
.LBB191_150:                            ;   in Loop: Header=BB191_104 Depth=1
	v_mov_b64_e32 v[130:131], s[16:17]
	v_mov_b64_e32 v[132:133], s[16:17]
	s_and_saveexec_b64 s[16:17], s[0:1]
	s_cbranch_execz .LBB191_152
; %bb.151:                              ;   in Loop: Header=BB191_104 Depth=1
	v_lshl_add_u64 v[130:131], v[178:179], 0, v[174:175]
	flat_load_dwordx4 v[130:133], v[130:131]
.LBB191_152:                            ;   in Loop: Header=BB191_104 Depth=1
	s_or_b64 exec, exec, s[16:17]
	v_add_f64 v[146:147], v[146:147], 0
	v_add_f64 v[148:149], v[148:149], 0
	;; [unrolled: 1-line block ×6, first 2 shown]
	ds_read_b128 v[142:145], v218
	v_add_f64 v[162:163], v[162:163], 0
	v_add_f64 v[98:99], v[98:99], 0
	v_add_f64 v[158:159], v[162:163], v[158:159]
	v_add_f64 v[100:101], v[100:101], 0
	v_add_f64 v[94:95], v[98:99], v[94:95]
	v_add_f64 v[154:155], v[158:159], v[154:155]
	v_add_f64 v[96:97], v[100:101], v[96:97]
	v_add_f64 v[86:87], v[94:95], v[86:87]
	v_add_f64 v[150:151], v[154:155], v[150:151]
	v_add_f64 v[154:155], v[96:97], v[88:89]
	v_add_f64 v[82:83], v[86:87], v[82:83]
	ds_read_b128 v[86:89], v225 offset:768
	s_waitcnt vmcnt(0) lgkmcnt(0)
	v_mul_f64 v[94:95], v[116:117], v[144:145]
	v_mul_f64 v[96:97], v[114:115], v[144:145]
	v_fma_f64 v[94:95], v[114:115], v[142:143], -v[94:95]
	v_fmac_f64_e32 v[96:97], v[116:117], v[142:143]
	v_mul_f64 v[98:99], v[124:125], v[144:145]
	v_mul_f64 v[100:101], v[122:123], v[144:145]
	v_add_f64 v[138:139], v[138:139], v[134:135]
	v_add_f64 v[140:141], v[140:141], v[136:137]
	ds_write_b128 v226, v[94:97]
	v_fma_f64 v[98:99], v[122:123], v[142:143], -v[98:99]
	v_fmac_f64_e32 v[100:101], v[124:125], v[142:143]
	v_mul_f64 v[134:135], v[128:129], v[144:145]
	v_mul_f64 v[136:137], v[126:127], v[144:145]
	ds_read_b128 v[94:97], v225 offset:784
	ds_write_b128 v226, v[98:101] offset:1072
	v_fma_f64 v[134:135], v[126:127], v[142:143], -v[134:135]
	v_fmac_f64_e32 v[136:137], v[128:129], v[142:143]
	v_mul_f64 v[146:147], v[132:133], v[144:145]
	v_mul_f64 v[148:149], v[130:131], v[144:145]
	ds_read_b128 v[98:101], v225 offset:800
	ds_write_b128 v226, v[134:137] offset:2144
	v_fma_f64 v[146:147], v[130:131], v[142:143], -v[146:147]
	v_fmac_f64_e32 v[148:149], v[132:133], v[142:143]
	v_add_f64 v[164:165], v[164:165], 0
	ds_read_b128 v[134:137], v225 offset:816
	ds_write_b128 v226, v[146:149] offset:3216
	s_waitcnt lgkmcnt(0)
	s_barrier
	ds_read_b128 v[142:145], v221
	v_add_f64 v[160:161], v[164:165], v[160:161]
	v_add_f64 v[156:157], v[160:161], v[156:157]
	;; [unrolled: 1-line block ×4, first 2 shown]
	ds_read_b128 v[146:149], v221 offset:16
	ds_read_b128 v[154:157], v221 offset:32
	;; [unrolled: 1-line block ×3, first 2 shown]
	s_waitcnt lgkmcnt(3)
	v_add_f64 v[142:143], v[142:143], 0
	v_add_f64 v[144:145], v[144:145], 0
	v_cmp_gt_i32_e32 vcc, s26, v168
	s_waitcnt lgkmcnt(2)
	v_add_f64 v[142:143], v[142:143], v[146:147]
	v_add_f64 v[144:145], v[144:145], v[148:149]
	s_or_b64 s[0:1], s[14:15], vcc
	s_waitcnt lgkmcnt(1)
	v_add_f64 v[142:143], v[142:143], v[154:155]
	v_add_f64 v[144:145], v[144:145], v[156:157]
	s_and_b64 s[14:15], s[6:7], s[0:1]
	s_waitcnt lgkmcnt(0)
	v_add_f64 v[142:143], v[142:143], v[158:159]
	v_add_f64 v[144:145], v[144:145], v[160:161]
	s_barrier
	ds_write_b128 v239, v[82:85]
	ds_write_b128 v239, v[138:141] offset:256
	ds_write_b128 v239, v[150:153] offset:512
	ds_write_b128 v239, v[142:145] offset:768
	s_waitcnt lgkmcnt(0)
	s_barrier
	s_and_saveexec_b64 s[0:1], s[14:15]
	s_cbranch_execz .LBB191_154
; %bb.153:                              ;   in Loop: Header=BB191_104 Depth=1
	ds_read_b128 v[82:85], v219
	ds_read_b128 v[138:141], v219 offset:16
	ds_read_b128 v[142:145], v219 offset:32
	;; [unrolled: 1-line block ×3, first 2 shown]
	v_ashrrev_i32_e32 v173, 31, v172
	s_waitcnt lgkmcnt(2)
	v_add_f64 v[82:83], v[138:139], v[82:83]
	v_add_f64 v[138:139], v[140:141], v[84:85]
	s_waitcnt lgkmcnt(1)
	v_add_f64 v[140:141], v[82:83], v[142:143]
	ds_read_b128 v[82:85], v219 offset:64
	v_add_f64 v[142:143], v[138:139], v[144:145]
	s_waitcnt lgkmcnt(1)
	v_add_f64 v[144:145], v[140:141], v[146:147]
	ds_read_b128 v[138:141], v219 offset:80
	v_add_f64 v[146:147], v[142:143], v[148:149]
	s_waitcnt lgkmcnt(1)
	v_add_f64 v[82:83], v[144:145], v[82:83]
	ds_read_b128 v[142:145], v219 offset:96
	v_add_f64 v[146:147], v[146:147], v[84:85]
	s_waitcnt lgkmcnt(1)
	v_add_f64 v[138:139], v[82:83], v[138:139]
	ds_read_b128 v[82:85], v219 offset:112
	v_add_f64 v[146:147], v[146:147], v[140:141]
	s_waitcnt lgkmcnt(1)
	v_add_f64 v[142:143], v[138:139], v[142:143]
	ds_read_b128 v[138:141], v219 offset:128
	v_add_f64 v[146:147], v[146:147], v[144:145]
	s_waitcnt lgkmcnt(1)
	v_add_f64 v[82:83], v[142:143], v[82:83]
	ds_read_b128 v[142:145], v219 offset:144
	v_add_f64 v[146:147], v[146:147], v[84:85]
	s_waitcnt lgkmcnt(1)
	v_add_f64 v[138:139], v[82:83], v[138:139]
	ds_read_b128 v[82:85], v219 offset:160
	v_add_f64 v[146:147], v[146:147], v[140:141]
	s_waitcnt lgkmcnt(1)
	v_add_f64 v[142:143], v[138:139], v[142:143]
	ds_read_b128 v[138:141], v219 offset:176
	v_add_f64 v[146:147], v[146:147], v[144:145]
	s_waitcnt lgkmcnt(1)
	v_add_f64 v[82:83], v[142:143], v[82:83]
	ds_read_b128 v[142:145], v219 offset:192
	v_add_f64 v[84:85], v[146:147], v[84:85]
	s_waitcnt lgkmcnt(1)
	v_add_f64 v[138:139], v[82:83], v[138:139]
	v_add_f64 v[146:147], v[84:85], v[140:141]
	ds_read_b128 v[82:85], v219 offset:208
	s_waitcnt lgkmcnt(1)
	v_add_f64 v[148:149], v[138:139], v[142:143]
	ds_read_b128 v[138:141], v219 offset:224
	v_add_f64 v[146:147], v[146:147], v[144:145]
	ds_read_b128 v[142:145], v220
	s_waitcnt lgkmcnt(2)
	v_add_f64 v[82:83], v[148:149], v[82:83]
	v_add_f64 v[84:85], v[146:147], v[84:85]
	s_waitcnt lgkmcnt(1)
	v_add_f64 v[82:83], v[82:83], v[138:139]
	v_add_f64 v[84:85], v[84:85], v[140:141]
	;; [unrolled: 3-line block ×3, first 2 shown]
	v_lshl_add_u64 v[138:139], v[172:173], 4, s[8:9]
	global_store_dwordx4 v[138:139], v[82:85], off
.LBB191_154:                            ;   in Loop: Header=BB191_104 Depth=1
	s_or_b64 exec, exec, s[0:1]
	s_nop 0
	v_mul_f64 v[82:83], v[8:9], v[24:25]
	v_fma_f64 v[82:83], v[6:7], v[22:23], -v[82:83]
	v_mul_f64 v[6:7], v[6:7], v[24:25]
	v_mul_f64 v[24:25], v[12:13], v[28:29]
	v_add_f64 v[0:1], v[0:1], v[82:83]
	v_fma_f64 v[24:25], v[10:11], v[26:27], -v[24:25]
	v_add_f64 v[0:1], v[0:1], v[24:25]
	v_mul_f64 v[24:25], v[16:17], v[32:33]
	v_fma_f64 v[24:25], v[14:15], v[30:31], -v[24:25]
	v_add_f64 v[0:1], v[0:1], v[24:25]
	v_mul_f64 v[24:25], v[20:21], v[40:41]
	v_fmac_f64_e32 v[6:7], v[8:9], v[22:23]
	v_fma_f64 v[24:25], v[18:19], v[38:39], -v[24:25]
	v_add_f64 v[2:3], v[2:3], v[6:7]
	v_mul_f64 v[6:7], v[36:37], v[56:57]
	v_add_f64 v[0:1], v[0:1], v[24:25]
	v_fma_f64 v[6:7], v[34:35], v[54:55], -v[6:7]
	v_add_f64 v[0:1], v[0:1], v[6:7]
	v_mul_f64 v[6:7], v[44:45], v[60:61]
	v_fma_f64 v[6:7], v[42:43], v[58:59], -v[6:7]
	v_add_f64 v[0:1], v[0:1], v[6:7]
	v_mul_f64 v[6:7], v[48:49], v[64:65]
	;; [unrolled: 3-line block ×3, first 2 shown]
	v_fma_f64 v[6:7], v[50:51], v[74:75], -v[6:7]
	v_mul_f64 v[10:11], v[10:11], v[28:29]
	v_add_f64 v[0:1], v[0:1], v[6:7]
	v_mul_f64 v[6:7], v[68:69], v[104:105]
	v_mul_f64 v[14:15], v[14:15], v[32:33]
	v_fmac_f64_e32 v[10:11], v[12:13], v[26:27]
	v_fma_f64 v[6:7], v[66:67], v[102:103], -v[6:7]
	v_mul_f64 v[18:19], v[18:19], v[40:41]
	v_add_f64 v[2:3], v[2:3], v[10:11]
	v_fmac_f64_e32 v[14:15], v[16:17], v[30:31]
	v_add_f64 v[0:1], v[0:1], v[6:7]
	v_mul_f64 v[6:7], v[72:73], v[108:109]
	v_add_f64 v[2:3], v[2:3], v[14:15]
	v_fmac_f64_e32 v[18:19], v[20:21], v[38:39]
	v_mul_f64 v[8:9], v[34:35], v[56:57]
	v_fma_f64 v[6:7], v[70:71], v[106:107], -v[6:7]
	v_add_f64 v[2:3], v[2:3], v[18:19]
	v_mul_f64 v[10:11], v[42:43], v[60:61]
	v_fmac_f64_e32 v[8:9], v[36:37], v[54:55]
	v_add_f64 v[0:1], v[0:1], v[6:7]
	v_mul_f64 v[6:7], v[80:81], v[112:113]
	v_mul_f64 v[12:13], v[46:47], v[64:65]
	v_add_f64 v[2:3], v[2:3], v[8:9]
	v_fmac_f64_e32 v[10:11], v[44:45], v[58:59]
	v_fma_f64 v[6:7], v[78:79], v[110:111], -v[6:7]
	v_mul_f64 v[14:15], v[50:51], v[76:77]
	v_add_f64 v[2:3], v[2:3], v[10:11]
	v_fmac_f64_e32 v[12:13], v[48:49], v[62:63]
	v_add_f64 v[0:1], v[0:1], v[6:7]
	v_mul_f64 v[6:7], v[92:93], v[120:121]
	v_add_f64 v[2:3], v[2:3], v[12:13]
	v_fmac_f64_e32 v[14:15], v[52:53], v[74:75]
	v_mul_f64 v[8:9], v[66:67], v[104:105]
	v_fma_f64 v[6:7], v[90:91], v[118:119], -v[6:7]
	v_add_f64 v[2:3], v[2:3], v[14:15]
	v_mul_f64 v[10:11], v[70:71], v[108:109]
	v_add_f64 v[0:1], v[0:1], v[6:7]
	v_fmac_f64_e32 v[8:9], v[68:69], v[102:103]
	v_mul_f64 v[6:7], v[116:117], v[88:89]
	v_mul_f64 v[12:13], v[78:79], v[112:113]
	v_add_f64 v[2:3], v[2:3], v[8:9]
	v_fmac_f64_e32 v[10:11], v[72:73], v[106:107]
	v_fma_f64 v[6:7], v[114:115], v[86:87], -v[6:7]
	v_mul_f64 v[14:15], v[90:91], v[120:121]
	v_add_f64 v[2:3], v[2:3], v[10:11]
	v_fmac_f64_e32 v[12:13], v[80:81], v[110:111]
	v_add_f64 v[0:1], v[0:1], v[6:7]
	v_mul_f64 v[6:7], v[124:125], v[96:97]
	v_add_f64 v[2:3], v[2:3], v[12:13]
	v_fmac_f64_e32 v[14:15], v[92:93], v[118:119]
	v_mul_f64 v[8:9], v[114:115], v[88:89]
	v_fma_f64 v[6:7], v[122:123], v[94:95], -v[6:7]
	v_add_f64 v[2:3], v[2:3], v[14:15]
	v_mul_f64 v[10:11], v[122:123], v[96:97]
	v_add_f64 v[0:1], v[0:1], v[6:7]
	v_mul_f64 v[6:7], v[128:129], v[100:101]
	v_fmac_f64_e32 v[8:9], v[116:117], v[86:87]
	v_fma_f64 v[6:7], v[126:127], v[98:99], -v[6:7]
	v_mul_f64 v[12:13], v[126:127], v[100:101]
	v_fmac_f64_e32 v[10:11], v[124:125], v[94:95]
	v_add_f64 v[2:3], v[2:3], v[8:9]
	v_add_f64 v[0:1], v[0:1], v[6:7]
	v_mul_f64 v[6:7], v[132:133], v[136:137]
	v_mul_f64 v[14:15], v[130:131], v[136:137]
	v_fmac_f64_e32 v[12:13], v[128:129], v[98:99]
	v_add_f64 v[2:3], v[2:3], v[10:11]
	v_fma_f64 v[6:7], v[130:131], v[134:135], -v[6:7]
	v_fmac_f64_e32 v[14:15], v[132:133], v[134:135]
	v_add_f64 v[2:3], v[2:3], v[12:13]
	s_add_i32 s0, s2, 1
	s_add_i32 s10, s10, s30
	s_add_i32 s1, s2, 2
	v_add_f64 v[0:1], v[0:1], v[6:7]
	v_add_f64 v[2:3], v[2:3], v[14:15]
	v_add_u32_e32 v172, 64, v172
	v_lshl_add_u64 v[176:177], v[176:177], 0, s[12:13]
	v_lshl_add_u64 v[178:179], v[178:179], 0, s[12:13]
	;; [unrolled: 1-line block ×19, first 2 shown]
	s_cmp_ge_u32 s1, s3
	v_lshl_add_u64 v[214:215], v[214:215], 0, s[12:13]
	s_barrier
	s_cbranch_scc1 .LBB191_156
; %bb.155:                              ;   in Loop: Header=BB191_104 Depth=1
	s_mov_b32 s2, s0
	s_cmp_eq_u32 s19, s2
	s_cselect_b32 s26, s33, 0
	s_and_saveexec_b64 s[0:1], s[4:5]
	s_cbranch_execnz .LBB191_100
	s_branch .LBB191_104
.LBB191_156:
	s_movk_i32 s0, 0x430
	v_cmp_gt_i32_e32 vcc, s18, v168
	v_mad_u32_u24 v4, v167, s0, v169
	s_or_b64 s[0:1], s[20:21], vcc
	s_and_b64 s[0:1], s[4:5], s[0:1]
	ds_write_b128 v4, v[0:3]
	s_waitcnt lgkmcnt(0)
	s_barrier
	s_and_saveexec_b64 s[2:3], s[0:1]
	s_cbranch_execz .LBB191_158
; %bb.157:
	ds_read_b128 v[0:3], v169 offset:1072
	ds_read_b128 v[4:7], v169
	ds_read_b128 v[8:11], v169 offset:2144
	ds_read_b128 v[12:15], v169 offset:3216
	v_ashrrev_i32_e32 v167, 31, v166
	s_waitcnt lgkmcnt(2)
	v_add_f64 v[0:1], v[0:1], v[4:5]
	v_add_f64 v[2:3], v[2:3], v[6:7]
	s_waitcnt lgkmcnt(1)
	v_add_f64 v[0:1], v[0:1], v[8:9]
	v_add_f64 v[2:3], v[2:3], v[10:11]
	;; [unrolled: 3-line block ×3, first 2 shown]
	v_lshl_add_u64 v[4:5], v[166:167], 4, s[8:9]
	global_store_dwordx4 v[4:5], v[0:3], off
.LBB191_158:
	s_endpgm
	.section	.rodata,"a",@progbits
	.p2align	6, 0x0
	.amdhsa_kernel _ZL26rocblas_hemvn_kernel_upperILb0ELi64ELi4ELi33ELi32ELi16Ei19rocblas_complex_numIdEPKPKS1_PS1_EviT6_lT7_lT5_lS8_lS9_lS7_lT8_i
		.amdhsa_group_segment_fixed_size 19200
		.amdhsa_private_segment_fixed_size 0
		.amdhsa_kernarg_size 392
		.amdhsa_user_sgpr_count 2
		.amdhsa_user_sgpr_dispatch_ptr 0
		.amdhsa_user_sgpr_queue_ptr 0
		.amdhsa_user_sgpr_kernarg_segment_ptr 1
		.amdhsa_user_sgpr_dispatch_id 0
		.amdhsa_user_sgpr_kernarg_preload_length 0
		.amdhsa_user_sgpr_kernarg_preload_offset 0
		.amdhsa_user_sgpr_private_segment_size 0
		.amdhsa_uses_dynamic_stack 0
		.amdhsa_enable_private_segment 0
		.amdhsa_system_sgpr_workgroup_id_x 1
		.amdhsa_system_sgpr_workgroup_id_y 0
		.amdhsa_system_sgpr_workgroup_id_z 1
		.amdhsa_system_sgpr_workgroup_info 0
		.amdhsa_system_vgpr_workitem_id 1
		.amdhsa_next_free_vgpr 240
		.amdhsa_next_free_sgpr 40
		.amdhsa_accum_offset 240
		.amdhsa_reserve_vcc 1
		.amdhsa_float_round_mode_32 0
		.amdhsa_float_round_mode_16_64 0
		.amdhsa_float_denorm_mode_32 3
		.amdhsa_float_denorm_mode_16_64 3
		.amdhsa_dx10_clamp 1
		.amdhsa_ieee_mode 1
		.amdhsa_fp16_overflow 0
		.amdhsa_tg_split 0
		.amdhsa_exception_fp_ieee_invalid_op 0
		.amdhsa_exception_fp_denorm_src 0
		.amdhsa_exception_fp_ieee_div_zero 0
		.amdhsa_exception_fp_ieee_overflow 0
		.amdhsa_exception_fp_ieee_underflow 0
		.amdhsa_exception_fp_ieee_inexact 0
		.amdhsa_exception_int_div_zero 0
	.end_amdhsa_kernel
	.section	.text._ZL26rocblas_hemvn_kernel_upperILb0ELi64ELi4ELi33ELi32ELi16Ei19rocblas_complex_numIdEPKPKS1_PS1_EviT6_lT7_lT5_lS8_lS9_lS7_lT8_i,"axG",@progbits,_ZL26rocblas_hemvn_kernel_upperILb0ELi64ELi4ELi33ELi32ELi16Ei19rocblas_complex_numIdEPKPKS1_PS1_EviT6_lT7_lT5_lS8_lS9_lS7_lT8_i,comdat
.Lfunc_end191:
	.size	_ZL26rocblas_hemvn_kernel_upperILb0ELi64ELi4ELi33ELi32ELi16Ei19rocblas_complex_numIdEPKPKS1_PS1_EviT6_lT7_lT5_lS8_lS9_lS7_lT8_i, .Lfunc_end191-_ZL26rocblas_hemvn_kernel_upperILb0ELi64ELi4ELi33ELi32ELi16Ei19rocblas_complex_numIdEPKPKS1_PS1_EviT6_lT7_lT5_lS8_lS9_lS7_lT8_i
                                        ; -- End function
	.section	.AMDGPU.csdata,"",@progbits
; Kernel info:
; codeLenInByte = 10240
; NumSgprs: 46
; NumVgprs: 240
; NumAgprs: 0
; TotalNumVgprs: 240
; ScratchSize: 0
; MemoryBound: 1
; FloatMode: 240
; IeeeMode: 1
; LDSByteSize: 19200 bytes/workgroup (compile time only)
; SGPRBlocks: 5
; VGPRBlocks: 29
; NumSGPRsForWavesPerEU: 46
; NumVGPRsForWavesPerEU: 240
; AccumOffset: 240
; Occupancy: 2
; WaveLimiterHint : 1
; COMPUTE_PGM_RSRC2:SCRATCH_EN: 0
; COMPUTE_PGM_RSRC2:USER_SGPR: 2
; COMPUTE_PGM_RSRC2:TRAP_HANDLER: 0
; COMPUTE_PGM_RSRC2:TGID_X_EN: 1
; COMPUTE_PGM_RSRC2:TGID_Y_EN: 0
; COMPUTE_PGM_RSRC2:TGID_Z_EN: 1
; COMPUTE_PGM_RSRC2:TIDIG_COMP_CNT: 1
; COMPUTE_PGM_RSRC3_GFX90A:ACCUM_OFFSET: 59
; COMPUTE_PGM_RSRC3_GFX90A:TG_SPLIT: 0
	.section	.text._ZL26rocblas_hemvn_kernel_lowerILb0ELi64ELi4ELi33ELi32ELi16ElPK19rocblas_complex_numIdEPKS3_PS1_EviT6_lT7_lT5_lS8_lS9_lS7_lT8_i,"axG",@progbits,_ZL26rocblas_hemvn_kernel_lowerILb0ELi64ELi4ELi33ELi32ELi16ElPK19rocblas_complex_numIdEPKS3_PS1_EviT6_lT7_lT5_lS8_lS9_lS7_lT8_i,comdat
	.globl	_ZL26rocblas_hemvn_kernel_lowerILb0ELi64ELi4ELi33ELi32ELi16ElPK19rocblas_complex_numIdEPKS3_PS1_EviT6_lT7_lT5_lS8_lS9_lS7_lT8_i ; -- Begin function _ZL26rocblas_hemvn_kernel_lowerILb0ELi64ELi4ELi33ELi32ELi16ElPK19rocblas_complex_numIdEPKS3_PS1_EviT6_lT7_lT5_lS8_lS9_lS7_lT8_i
	.p2align	8
	.type	_ZL26rocblas_hemvn_kernel_lowerILb0ELi64ELi4ELi33ELi32ELi16ElPK19rocblas_complex_numIdEPKS3_PS1_EviT6_lT7_lT5_lS8_lS9_lS7_lT8_i,@function
_ZL26rocblas_hemvn_kernel_lowerILb0ELi64ELi4ELi33ELi32ELi16ElPK19rocblas_complex_numIdEPKS3_PS1_EviT6_lT7_lT5_lS8_lS9_lS7_lT8_i: ; @_ZL26rocblas_hemvn_kernel_lowerILb0ELi64ELi4ELi33ELi32ELi16ElPK19rocblas_complex_numIdEPKS3_PS1_EviT6_lT7_lT5_lS8_lS9_lS7_lT8_i
; %bb.0:
	s_load_dwordx2 s[4:5], s[0:1], 0x84
	s_add_u32 s12, s0, 0x78
	s_mov_b32 s24, s3
	s_addc_u32 s13, s1, 0
	s_waitcnt lgkmcnt(0)
	s_and_b32 s3, s5, 0xffff
	s_lshr_b32 s5, s4, 16
	s_and_b32 s4, s4, 0xffff
	s_mul_i32 s4, s5, s4
	s_mul_i32 s4, s4, s3
	s_cmpk_lg_i32 s4, 0x100
	s_cbranch_scc1 .LBB192_107
; %bb.1:
	s_load_dwordx8 s[4:11], s[0:1], 0x8
	s_load_dwordx2 s[26:27], s[0:1], 0x68
	s_mov_b32 s25, 0
	s_mov_b64 s[16:17], 0
	s_waitcnt lgkmcnt(0)
	s_mul_i32 s3, s24, s7
	s_mul_hi_u32 s7, s24, s6
	s_mul_i32 s6, s24, s6
	s_add_i32 s7, s7, s3
	s_lshl_b64 s[6:7], s[6:7], 4
	s_add_u32 s14, s4, s6
	s_addc_u32 s15, s5, s7
	s_load_dwordx4 s[28:31], s[14:15], 0x0
	s_load_dwordx2 s[22:23], s[0:1], 0x28
	s_load_dwordx4 s[4:7], s[0:1], 0x58
	s_waitcnt lgkmcnt(0)
	v_cmp_neq_f64_e64 s[14:15], s[28:29], 0
	v_cmp_neq_f64_e64 s[18:19], s[30:31], 0
	s_or_b64 s[14:15], s[14:15], s[18:19]
	s_and_b64 vcc, exec, s[14:15]
	s_cbranch_vccnz .LBB192_3
; %bb.2:
	s_mul_i32 s3, s24, s7
	s_mul_hi_u32 s7, s24, s6
	s_add_i32 s7, s7, s3
	s_mul_i32 s6, s24, s6
	s_lshl_b64 s[6:7], s[6:7], 4
	s_add_u32 s4, s4, s6
	s_addc_u32 s5, s5, s7
	s_load_dwordx4 s[16:19], s[4:5], 0x0
	s_mov_b64 s[6:7], 0
	s_waitcnt lgkmcnt(0)
	v_cmp_neq_f64_e64 s[4:5], s[16:17], 1.0
	v_cmp_neq_f64_e64 s[16:17], s[18:19], 0
	s_or_b64 s[16:17], s[4:5], s[16:17]
	s_cbranch_execz .LBB192_4
	s_branch .LBB192_5
.LBB192_3:
	s_mov_b64 s[6:7], -1
.LBB192_4:
	s_lshl_b64 s[4:5], s[24:25], 3
	s_add_u32 s4, s8, s4
	s_addc_u32 s5, s9, s5
	s_load_dwordx2 s[4:5], s[4:5], 0x0
	s_lshl_b64 s[6:7], s[10:11], 4
	s_mov_b64 s[16:17], -1
	s_waitcnt lgkmcnt(0)
	s_add_u32 s6, s4, s6
	s_addc_u32 s7, s5, s7
.LBB192_5:
	s_andn2_b64 vcc, exec, s[16:17]
	s_cbranch_vccnz .LBB192_107
; %bb.6:
	s_load_dwordx4 s[8:11], s[0:1], 0x38
	s_load_dwordx2 s[20:21], s[0:1], 0x48
	v_cndmask_b32_e64 v1, 0, 1, s[14:15]
	v_cmp_ne_u32_e64 s[4:5], 1, v1
	s_andn2_b64 vcc, exec, s[14:15]
	s_mov_b64 s[14:15], 0
	s_cbranch_vccnz .LBB192_8
; %bb.7:
	s_lshl_b64 s[14:15], s[24:25], 3
	s_waitcnt lgkmcnt(0)
	s_add_u32 s8, s8, s14
	s_addc_u32 s9, s9, s15
	s_load_dwordx2 s[8:9], s[8:9], 0x0
	s_lshl_b64 s[10:11], s[10:11], 4
	s_waitcnt lgkmcnt(0)
	s_add_u32 s14, s8, s10
	s_addc_u32 s15, s9, s11
.LBB192_8:
	s_and_b64 vcc, exec, s[4:5]
	s_cbranch_vccnz .LBB192_107
; %bb.9:
	s_load_dword s25, s[12:13], 0x0
	s_load_dword s3, s[0:1], 0x0
	v_and_b32_e32 v42, 0x3ff, v0
	s_lshl_b32 s30, s2, 6
	v_add_u32_e32 v132, s30, v42
	s_waitcnt lgkmcnt(0)
	s_add_i32 s0, s25, -1
	s_ashr_i32 s33, s3, 31
	s_lshr_b32 s1, s33, 26
	s_add_i32 s1, s3, s1
	s_andn2_b32 s1, s1, 63
	s_sub_i32 s1, s3, s1
	s_cmp_eq_u32 s2, s0
	v_ashrrev_i32_e32 v133, 31, v132
	v_bfe_u32 v142, v0, 10, 10
	s_cselect_b32 s28, s1, 0
	v_mul_lo_u32 v2, v133, s20
	v_mul_lo_u32 v3, v132, s21
	v_mad_u64_u32 v[0:1], s[0:1], v132, s20, 0
	v_add3_u32 v1, v1, v3, v2
	v_lshl_add_u64 v[36:37], v[0:1], 4, s[14:15]
	v_cmp_ne_u32_e64 s[0:1], 0, v142
	v_cmp_eq_u32_e64 s[16:17], 0, v142
	s_and_saveexec_b64 s[4:5], s[16:17]
	s_cbranch_execz .LBB192_14
; %bb.10:
	s_cmp_lg_u32 s28, 0
	s_cselect_b64 s[8:9], -1, 0
	v_cmp_le_i32_e32 vcc, s28, v42
	v_mov_b32_e32 v0, 0x4700
	s_and_b64 s[8:9], s[8:9], vcc
	v_lshl_add_u32 v0, v42, 4, v0
	s_and_saveexec_b64 s[10:11], s[8:9]
	s_xor_b64 s[8:9], exec, s[10:11]
	s_cbranch_execz .LBB192_12
; %bb.11:
	v_mov_b32_e32 v2, 0
	v_mov_b32_e32 v3, v2
	;; [unrolled: 1-line block ×4, first 2 shown]
	ds_write_b128 v0, v[2:5]
                                        ; implicit-def: $vgpr0
.LBB192_12:
	s_andn2_saveexec_b64 s[8:9], s[8:9]
	s_cbranch_execz .LBB192_14
; %bb.13:
	flat_load_dwordx4 v[2:5], v[36:37]
	s_waitcnt vmcnt(0) lgkmcnt(0)
	ds_write2_b64 v0, v[2:3], v[4:5] offset1:1
.LBB192_14:
	s_or_b64 exec, exec, s[4:5]
	s_ashr_i32 s31, s30, 31
	v_lshl_add_u32 v43, v142, 6, v42
	s_lshl_b64 s[4:5], s[30:31], 4
	v_and_b32_e32 v4, 31, v42
	v_lshrrev_b32_e32 v10, 5, v43
	s_add_u32 s6, s6, s4
	v_mov_b32_e32 v5, 0
	s_addc_u32 s7, s7, s5
	v_mad_u64_u32 v[38:39], s[4:5], v10, s22, v[4:5]
	v_mov_b32_e32 v0, v39
	v_mad_u64_u32 v[0:1], s[4:5], v10, s23, v[0:1]
	s_mul_i32 s4, s30, s23
	s_mul_hi_u32 s5, s30, s22
	s_add_i32 s4, s5, s4
	s_mul_i32 s5, s31, s22
	s_add_i32 s5, s4, s5
	s_mul_i32 s4, s30, s22
	s_lshl_b64 s[34:35], s[4:5], 4
	s_add_u32 s4, s34, s6
	s_addc_u32 s5, s35, s7
	s_cmp_lg_u32 s28, 0
	v_mov_b32_e32 v39, v0
	s_cselect_b64 s[36:37], -1, 0
	s_cmp_eq_u32 s28, 0
	v_lshl_add_u64 v[6:7], v[38:39], 4, s[4:5]
	s_cselect_b64 s[18:19], -1, 0
	s_and_b64 vcc, exec, s[36:37]
	s_cbranch_vccnz .LBB192_16
; %bb.15:
	flat_load_dwordx4 v[0:3], v[6:7]
	v_mul_u32_u24_e32 v5, 33, v10
	s_lshl_b64 s[4:5], s[22:23], 7
	v_add_lshl_u32 v5, v5, v4, 4
	v_lshl_add_u64 v[8:9], v[6:7], 0, s[4:5]
	v_add_u32_e32 v11, 0x1080, v5
	s_mul_i32 s6, s23, 0x180
	s_waitcnt vmcnt(0) lgkmcnt(0)
	ds_write2_b64 v5, v[0:1], v[2:3] offset1:1
	flat_load_dwordx4 v[0:3], v[8:9]
	v_lshl_add_u64 v[8:9], v[8:9], 0, s[4:5]
	s_waitcnt vmcnt(0) lgkmcnt(0)
	ds_write2_b64 v11, v[0:1], v[2:3] offset1:1
	flat_load_dwordx4 v[0:3], v[8:9]
	v_mov_b32_e32 v8, 0x180
	v_mad_u64_u32 v[8:9], s[4:5], s22, v8, v[6:7]
	v_add_u32_e32 v11, 0x2100, v5
	v_add_u32_e32 v9, s6, v9
	;; [unrolled: 1-line block ×3, first 2 shown]
	s_waitcnt vmcnt(0) lgkmcnt(0)
	ds_write2_b64 v11, v[0:1], v[2:3] offset1:1
	flat_load_dwordx4 v[0:3], v[8:9]
	s_waitcnt vmcnt(0) lgkmcnt(0)
	ds_write2_b64 v5, v[0:1], v[2:3] offset1:1
	s_cbranch_execz .LBB192_17
	s_branch .LBB192_34
.LBB192_16:
.LBB192_17:
	v_lshlrev_b32_e32 v0, 4, v4
	v_sub_co_u32_e32 v2, vcc, v6, v0
	s_ashr_i32 s29, s28, 31
	s_nop 0
	v_subbrev_co_u32_e32 v3, vcc, 0, v7, vcc
	v_lshl_add_u64 v[2:3], s[28:29], 4, v[2:3]
	v_lshl_add_u64 v[2:3], v[2:3], 0, -16
	v_cmp_gt_i32_e32 vcc, s28, v4
	v_mul_u32_u24_e32 v1, 33, v10
	v_cmp_le_i32_e64 s[4:5], s28, v10
	v_cndmask_b32_e32 v3, v3, v7, vcc
	v_cndmask_b32_e32 v2, v2, v6, vcc
	v_add_lshl_u32 v1, v1, v4, 4
	s_and_saveexec_b64 s[6:7], s[4:5]
	s_xor_b64 s[4:5], exec, s[6:7]
	s_cbranch_execz .LBB192_19
; %bb.18:
	v_mov_b32_e32 v12, 0
	v_mov_b32_e32 v13, v12
	;; [unrolled: 1-line block ×4, first 2 shown]
	ds_write_b128 v1, v[12:15]
.LBB192_19:
	s_andn2_saveexec_b64 s[4:5], s[4:5]
	s_cbranch_execz .LBB192_21
; %bb.20:
	flat_load_dwordx4 v[12:15], v[2:3]
	s_waitcnt vmcnt(0) lgkmcnt(0)
	ds_write2_b64 v1, v[12:13], v[14:15] offset1:1
.LBB192_21:
	s_or_b64 exec, exec, s[4:5]
	v_add_u32_e32 v5, 8, v10
	v_cmp_le_i32_e64 s[4:5], s28, v5
	s_and_saveexec_b64 s[6:7], s[4:5]
	s_xor_b64 s[4:5], exec, s[6:7]
	s_cbranch_execz .LBB192_23
; %bb.22:
	v_mul_u32_u24_e32 v5, 33, v5
	v_mov_b32_e32 v12, 0
	v_add_lshl_u32 v5, v5, v4, 4
	v_mov_b32_e32 v13, v12
	v_mov_b32_e32 v14, v12
	;; [unrolled: 1-line block ×3, first 2 shown]
	ds_write_b128 v5, v[12:15]
.LBB192_23:
	s_andn2_saveexec_b64 s[4:5], s[4:5]
	s_cbranch_execz .LBB192_25
; %bb.24:
	s_lshl_b64 s[6:7], s[22:23], 7
	v_lshl_add_u64 v[8:9], v[2:3], 0, s[6:7]
	flat_load_dwordx4 v[12:15], v[8:9]
	v_add_u32_e32 v5, 0x1080, v1
	s_waitcnt vmcnt(0) lgkmcnt(0)
	ds_write2_b64 v5, v[12:13], v[14:15] offset1:1
.LBB192_25:
	s_or_b64 exec, exec, s[4:5]
	v_add_u32_e32 v5, 16, v10
	v_cmp_le_i32_e64 s[4:5], s28, v5
	s_and_saveexec_b64 s[6:7], s[4:5]
	s_xor_b64 s[4:5], exec, s[6:7]
	s_cbranch_execz .LBB192_27
; %bb.26:
	v_mov_b32_e32 v12, 0
	v_mov_b32_e32 v13, v12
	;; [unrolled: 1-line block ×4, first 2 shown]
	ds_write_b128 v1, v[12:15] offset:8448
.LBB192_27:
	s_andn2_saveexec_b64 s[4:5], s[4:5]
	s_cbranch_execz .LBB192_29
; %bb.28:
	s_lshl_b64 s[6:7], s[22:23], 8
	v_lshl_add_u64 v[8:9], v[2:3], 0, s[6:7]
	flat_load_dwordx4 v[12:15], v[8:9]
	v_add_u32_e32 v5, 0x2100, v1
	s_waitcnt vmcnt(0) lgkmcnt(0)
	ds_write2_b64 v5, v[12:13], v[14:15] offset1:1
.LBB192_29:
	s_or_b64 exec, exec, s[4:5]
	v_add_u32_e32 v5, 24, v10
	v_cmp_le_i32_e64 s[4:5], s28, v5
	s_and_saveexec_b64 s[6:7], s[4:5]
	s_xor_b64 s[4:5], exec, s[6:7]
	s_cbranch_execz .LBB192_31
; %bb.30:
	v_mov_b32_e32 v12, 0
	v_mov_b32_e32 v13, v12
	;; [unrolled: 1-line block ×4, first 2 shown]
	ds_write_b128 v1, v[12:15] offset:12672
                                        ; implicit-def: $vgpr1
.LBB192_31:
	s_andn2_saveexec_b64 s[4:5], s[4:5]
	s_cbranch_execz .LBB192_33
; %bb.32:
	v_mov_b32_e32 v5, 0x180
	v_mad_u64_u32 v[8:9], s[6:7], s22, v5, v[2:3]
	s_mul_i32 s6, s23, 0x180
	s_nop 0
	v_add_u32_e32 v9, s6, v9
	flat_load_dwordx4 v[12:15], v[8:9]
	v_add_u32_e32 v1, 0x3180, v1
	s_waitcnt vmcnt(0) lgkmcnt(0)
	ds_write2_b64 v1, v[12:13], v[14:15] offset1:1
.LBB192_33:
	s_or_b64 exec, exec, s[4:5]
	v_mov_b32_e32 v1, 0
	v_lshl_add_u64 v[0:1], v[2:3], 0, v[0:1]
	s_lshl_b64 s[4:5], s[28:29], 4
	v_mov_b32_e32 v2, s5
	v_subrev_co_u32_e64 v0, s[4:5], s4, v0
	s_nop 1
	v_subb_co_u32_e64 v1, s[4:5], v1, v2, s[4:5]
	v_lshl_add_u64 v[0:1], v[0:1], 0, 16
	v_cndmask_b32_e32 v7, v1, v7, vcc
	v_cndmask_b32_e32 v6, v0, v6, vcc
.LBB192_34:
	v_lshlrev_b32_e32 v0, 2, v10
	v_mul_u32_u24_e32 v44, 33, v4
	v_cmp_lt_u32_e64 s[6:7], v0, v4
	v_add_lshl_u32 v5, v0, v44, 4
	s_waitcnt lgkmcnt(0)
	s_barrier
	s_and_saveexec_b64 s[4:5], s[6:7]
	s_cbranch_execz .LBB192_36
; %bb.35:
	v_mul_u32_u24_e32 v1, 0x84, v10
	v_add_lshl_u32 v1, v1, v4, 4
	ds_read_b128 v[12:15], v1
	s_waitcnt lgkmcnt(0)
	ds_write_b128 v5, v[12:15]
.LBB192_36:
	s_or_b64 exec, exec, s[4:5]
	v_or_b32_e32 v1, 1, v0
	v_cmp_lt_u32_e64 s[8:9], v1, v4
	s_and_saveexec_b64 s[4:5], s[8:9]
	s_cbranch_execz .LBB192_38
; %bb.37:
	v_mul_u32_u24_e32 v1, 33, v1
	v_add_lshl_u32 v1, v1, v4, 4
	ds_read_b128 v[12:15], v1
	s_waitcnt lgkmcnt(0)
	ds_write_b128 v5, v[12:15] offset:16
.LBB192_38:
	s_or_b64 exec, exec, s[4:5]
	v_or_b32_e32 v1, 2, v0
	v_cmp_lt_u32_e64 s[10:11], v1, v4
	s_and_saveexec_b64 s[4:5], s[10:11]
	s_cbranch_execz .LBB192_40
; %bb.39:
	v_mul_u32_u24_e32 v1, 33, v1
	v_add_lshl_u32 v1, v1, v4, 4
	ds_read_b128 v[12:15], v1
	s_waitcnt lgkmcnt(0)
	ds_write_b128 v5, v[12:15] offset:32
.LBB192_40:
	s_or_b64 exec, exec, s[4:5]
	v_or_b32_e32 v1, 3, v0
	v_cmp_lt_u32_e64 s[12:13], v1, v4
	v_mad_u32_u24 v1, v1, 33, v4
	v_lshlrev_b32_e32 v11, 4, v1
	s_and_saveexec_b64 s[4:5], s[12:13]
	s_cbranch_execz .LBB192_42
; %bb.41:
	ds_read_b128 v[12:15], v11
	s_waitcnt lgkmcnt(0)
	ds_write_b128 v5, v[12:15] offset:48
.LBB192_42:
	s_or_b64 exec, exec, s[4:5]
	v_mul_u32_u24_e32 v1, 0x84, v10
	v_lshlrev_b32_e32 v14, 4, v0
	s_waitcnt lgkmcnt(0)
	s_barrier
	v_add_lshl_u32 v13, v1, v4, 4
	ds_read_b128 v[0:3], v14 offset:18176
	ds_read_b128 v[16:19], v13
	ds_read_b128 v[20:23], v14 offset:18192
	ds_read_b128 v[24:27], v14 offset:18208
	v_add_u32_e32 v12, 0xfffffbe0, v11
	ds_read_b128 v[28:31], v12
	ds_read_b128 v[32:35], v12 offset:528
	s_waitcnt lgkmcnt(4)
	v_mul_f64 v[8:9], v[2:3], v[18:19]
	v_fma_f64 v[8:9], v[0:1], v[16:17], -v[8:9]
	v_mul_f64 v[0:1], v[0:1], v[18:19]
	v_fmac_f64_e32 v[0:1], v[2:3], v[16:17]
	s_waitcnt lgkmcnt(1)
	v_mul_f64 v[16:17], v[20:21], v[30:31]
	v_add_f64 v[2:3], v[8:9], 0
	v_add_f64 v[0:1], v[0:1], 0
	v_mul_f64 v[8:9], v[22:23], v[30:31]
	v_fmac_f64_e32 v[16:17], v[22:23], v[28:29]
	v_fma_f64 v[8:9], v[20:21], v[28:29], -v[8:9]
	v_add_f64 v[20:21], v[0:1], v[16:17]
	s_waitcnt lgkmcnt(0)
	v_mul_f64 v[0:1], v[26:27], v[34:35]
	v_add_f64 v[8:9], v[2:3], v[8:9]
	v_fma_f64 v[22:23], v[24:25], v[32:33], -v[0:1]
	ds_read_b128 v[0:3], v14 offset:18224
	ds_read_b128 v[16:19], v11
	v_mul_f64 v[24:25], v[24:25], v[34:35]
	v_fmac_f64_e32 v[24:25], v[26:27], v[32:33]
	v_add_f64 v[8:9], v[8:9], v[22:23]
	v_add_f64 v[20:21], v[20:21], v[24:25]
	s_waitcnt lgkmcnt(0)
	v_mul_f64 v[22:23], v[2:3], v[18:19]
	v_mul_f64 v[18:19], v[0:1], v[18:19]
	v_fma_f64 v[22:23], v[0:1], v[16:17], -v[22:23]
	v_fmac_f64_e32 v[18:19], v[2:3], v[16:17]
	v_add_f64 v[0:1], v[8:9], v[22:23]
	v_add_f64 v[2:3], v[20:21], v[18:19]
	v_add_lshl_u32 v45, v10, v44, 4
	s_barrier
	ds_write_b128 v45, v[0:3]
	v_mov_b64_e32 v[0:1], 0
	v_cmp_gt_u32_e64 s[4:5], 32, v43
	v_mov_b64_e32 v[2:3], v[0:1]
	s_waitcnt lgkmcnt(0)
	s_barrier
	s_and_saveexec_b64 s[14:15], s[4:5]
	s_cbranch_execz .LBB192_44
; %bb.43:
	v_lshlrev_b32_e32 v15, 4, v44
	ds_read_b128 v[0:3], v15
	ds_read_b128 v[16:19], v15 offset:16
	ds_read_b128 v[20:23], v15 offset:32
	;; [unrolled: 1-line block ×3, first 2 shown]
	s_waitcnt lgkmcnt(2)
	v_add_f64 v[0:1], v[16:17], v[0:1]
	v_add_f64 v[8:9], v[18:19], v[2:3]
	s_waitcnt lgkmcnt(1)
	v_add_f64 v[16:17], v[0:1], v[20:21]
	ds_read_b128 v[0:3], v15 offset:64
	v_add_f64 v[8:9], v[8:9], v[22:23]
	s_waitcnt lgkmcnt(1)
	v_add_f64 v[20:21], v[16:17], v[24:25]
	ds_read_b128 v[16:19], v15 offset:80
	;; [unrolled: 4-line block ×3, first 2 shown]
	v_add_f64 v[8:9], v[8:9], v[2:3]
	ds_read_b128 v[0:3], v15 offset:112
	s_waitcnt lgkmcnt(2)
	v_add_f64 v[16:17], v[24:25], v[16:17]
	v_add_f64 v[8:9], v[8:9], v[18:19]
	s_waitcnt lgkmcnt(1)
	v_add_f64 v[16:17], v[16:17], v[20:21]
	v_add_f64 v[8:9], v[8:9], v[22:23]
	;; [unrolled: 3-line block ×3, first 2 shown]
.LBB192_44:
	s_or_b64 exec, exec, s[14:15]
	s_lshl_b64 s[14:15], s[22:23], 9
	v_lshl_add_u64 v[8:9], v[6:7], 0, s[14:15]
	s_mov_b64 s[38:39], 0x200
	v_cndmask_b32_e64 v6, 0, 1, s[18:19]
	v_cmp_ne_u32_e64 s[14:15], 1, v6
	s_andn2_b64 vcc, exec, s[18:19]
	v_lshl_add_u64 v[6:7], v[8:9], 0, s[38:39]
	s_barrier
	s_cbranch_vccnz .LBB192_46
; %bb.45:
	flat_load_dwordx4 v[16:19], v[6:7]
	v_mul_u32_u24_e32 v15, 33, v10
	s_lshl_b64 s[18:19], s[22:23], 7
	v_add_lshl_u32 v15, v15, v4, 4
	v_lshl_add_u64 v[20:21], v[8:9], 0, s[18:19]
	v_add_u32_e32 v22, 0x1080, v15
	s_mul_i32 s29, s23, 0x180
	s_waitcnt vmcnt(0) lgkmcnt(0)
	ds_write2_b64 v15, v[16:17], v[18:19] offset1:1
	flat_load_dwordx4 v[16:19], v[20:21] offset:512
	v_lshl_add_u64 v[20:21], v[20:21], 0, s[18:19]
	s_waitcnt vmcnt(0) lgkmcnt(0)
	ds_write2_b64 v22, v[16:17], v[18:19] offset1:1
	flat_load_dwordx4 v[16:19], v[20:21] offset:512
	v_mov_b32_e32 v20, 0x180
	v_mad_u64_u32 v[8:9], s[18:19], s22, v20, v[8:9]
	v_add_u32_e32 v20, 0x2100, v15
	v_add_u32_e32 v9, s29, v9
	s_waitcnt vmcnt(0) lgkmcnt(0)
	ds_write2_b64 v20, v[16:17], v[18:19] offset1:1
	flat_load_dwordx4 v[16:19], v[8:9] offset:512
	v_add_u32_e32 v8, 0x3180, v15
	s_waitcnt vmcnt(0) lgkmcnt(0)
	ds_write2_b64 v8, v[16:17], v[18:19] offset1:1
	s_cbranch_execz .LBB192_47
	s_branch .LBB192_64
.LBB192_46:
.LBB192_47:
	v_or_b32_e32 v15, 32, v4
	v_lshlrev_b32_e32 v8, 4, v15
	v_sub_co_u32_e32 v8, vcc, v6, v8
	s_ashr_i32 s29, s28, 31
	s_nop 0
	v_subbrev_co_u32_e32 v9, vcc, 0, v7, vcc
	v_lshl_add_u64 v[8:9], s[28:29], 4, v[8:9]
	v_lshl_add_u64 v[8:9], v[8:9], 0, -16
	v_cmp_gt_i32_e32 vcc, s28, v15
	s_sub_i32 s38, s28, 32
	v_mul_u32_u24_e32 v15, 33, v10
	v_cndmask_b32_e32 v9, v9, v7, vcc
	v_cndmask_b32_e32 v8, v8, v6, vcc
	v_cmp_le_i32_e64 s[18:19], s38, v10
	v_add_lshl_u32 v15, v15, v4, 4
	s_and_saveexec_b64 s[40:41], s[18:19]
	s_xor_b64 s[18:19], exec, s[40:41]
	s_cbranch_execz .LBB192_49
; %bb.48:
	v_mov_b32_e32 v16, 0
	v_mov_b32_e32 v17, v16
	;; [unrolled: 1-line block ×4, first 2 shown]
	ds_write_b128 v15, v[16:19]
.LBB192_49:
	s_andn2_saveexec_b64 s[18:19], s[18:19]
	s_cbranch_execz .LBB192_51
; %bb.50:
	flat_load_dwordx4 v[16:19], v[8:9]
	s_waitcnt vmcnt(0) lgkmcnt(0)
	ds_write2_b64 v15, v[16:17], v[18:19] offset1:1
.LBB192_51:
	s_or_b64 exec, exec, s[18:19]
	v_add_u32_e32 v16, 8, v10
	v_cmp_le_i32_e64 s[18:19], s38, v16
	s_and_saveexec_b64 s[40:41], s[18:19]
	s_xor_b64 s[18:19], exec, s[40:41]
	s_cbranch_execz .LBB192_53
; %bb.52:
	v_mul_u32_u24_e32 v16, 33, v16
	v_add_lshl_u32 v20, v16, v4, 4
	v_mov_b32_e32 v16, 0
	v_mov_b32_e32 v17, v16
	;; [unrolled: 1-line block ×4, first 2 shown]
	ds_write_b128 v20, v[16:19]
.LBB192_53:
	s_andn2_saveexec_b64 s[18:19], s[18:19]
	s_cbranch_execz .LBB192_55
; %bb.54:
	s_lshl_b64 s[40:41], s[22:23], 7
	v_lshl_add_u64 v[16:17], v[8:9], 0, s[40:41]
	flat_load_dwordx4 v[16:19], v[16:17]
	v_add_u32_e32 v20, 0x1080, v15
	s_waitcnt vmcnt(0) lgkmcnt(0)
	ds_write2_b64 v20, v[16:17], v[18:19] offset1:1
.LBB192_55:
	s_or_b64 exec, exec, s[18:19]
	v_add_u32_e32 v16, 16, v10
	v_cmp_le_i32_e64 s[18:19], s38, v16
	s_and_saveexec_b64 s[40:41], s[18:19]
	s_xor_b64 s[18:19], exec, s[40:41]
	s_cbranch_execz .LBB192_57
; %bb.56:
	v_mov_b32_e32 v16, 0
	v_mov_b32_e32 v17, v16
	;; [unrolled: 1-line block ×4, first 2 shown]
	ds_write_b128 v15, v[16:19] offset:8448
.LBB192_57:
	s_andn2_saveexec_b64 s[18:19], s[18:19]
	s_cbranch_execz .LBB192_59
; %bb.58:
	s_lshl_b64 s[40:41], s[22:23], 8
	v_lshl_add_u64 v[16:17], v[8:9], 0, s[40:41]
	flat_load_dwordx4 v[16:19], v[16:17]
	v_add_u32_e32 v20, 0x2100, v15
	s_waitcnt vmcnt(0) lgkmcnt(0)
	ds_write2_b64 v20, v[16:17], v[18:19] offset1:1
.LBB192_59:
	s_or_b64 exec, exec, s[18:19]
	v_add_u32_e32 v16, 24, v10
	v_cmp_le_i32_e64 s[18:19], s38, v16
	s_and_saveexec_b64 s[38:39], s[18:19]
	s_xor_b64 s[18:19], exec, s[38:39]
	s_cbranch_execz .LBB192_61
; %bb.60:
	v_mov_b32_e32 v16, 0
	v_mov_b32_e32 v17, v16
	;; [unrolled: 1-line block ×4, first 2 shown]
	ds_write_b128 v15, v[16:19] offset:12672
                                        ; implicit-def: $vgpr15
.LBB192_61:
	s_andn2_saveexec_b64 s[18:19], s[18:19]
	s_cbranch_execz .LBB192_63
; %bb.62:
	v_mov_b32_e32 v16, 0x180
	v_mad_u64_u32 v[16:17], s[38:39], s22, v16, v[8:9]
	s_mul_i32 s38, s23, 0x180
	s_nop 0
	v_add_u32_e32 v17, s38, v17
	flat_load_dwordx4 v[16:19], v[16:17]
	v_add_u32_e32 v15, 0x3180, v15
	s_waitcnt vmcnt(0) lgkmcnt(0)
	ds_write2_b64 v15, v[16:17], v[18:19] offset1:1
.LBB192_63:
	s_or_b64 exec, exec, s[18:19]
	v_lshlrev_b32_e32 v16, 4, v4
	v_mov_b32_e32 v17, 0
	v_lshl_add_u64 v[8:9], v[8:9], 0, v[16:17]
	s_lshl_b64 s[18:19], s[28:29], 4
	v_mov_b32_e32 v15, s19
	v_subrev_co_u32_e64 v8, s[18:19], s18, v8
	s_nop 1
	v_subb_co_u32_e64 v9, s[18:19], v9, v15, s[18:19]
	s_mov_b64 s[18:19], 0x210
	s_nop 0
	v_lshl_add_u64 v[8:9], v[8:9], 0, s[18:19]
	v_cndmask_b32_e32 v7, v9, v7, vcc
	v_cndmask_b32_e32 v6, v8, v6, vcc
.LBB192_64:
	v_add_u32_e32 v8, 0x4700, v14
	v_add_u32_e32 v9, 0x210, v12
	s_lshl_b64 s[18:19], s[22:23], 5
	s_waitcnt lgkmcnt(0)
	s_barrier
	s_and_saveexec_b64 s[38:39], s[6:7]
	s_cbranch_execnz .LBB192_73
; %bb.65:
	s_or_b64 exec, exec, s[38:39]
	s_and_saveexec_b64 s[6:7], s[8:9]
	s_cbranch_execnz .LBB192_74
.LBB192_66:
	s_or_b64 exec, exec, s[6:7]
	s_and_saveexec_b64 s[6:7], s[10:11]
	s_cbranch_execnz .LBB192_75
.LBB192_67:
	s_or_b64 exec, exec, s[6:7]
	s_and_saveexec_b64 s[6:7], s[12:13]
	s_cbranch_execz .LBB192_69
.LBB192_68:
	ds_read_b128 v[14:17], v11
	s_waitcnt lgkmcnt(0)
	ds_write_b128 v5, v[14:17] offset:48
.LBB192_69:
	s_or_b64 exec, exec, s[6:7]
	s_waitcnt lgkmcnt(0)
	s_barrier
	ds_read_b128 v[14:17], v8 offset:512
	ds_read_b128 v[18:21], v13
	ds_read_b128 v[22:25], v8 offset:528
	ds_read_b128 v[26:29], v8 offset:544
	v_cmp_eq_u32_e64 s[6:7], 1, v10
	s_waitcnt lgkmcnt(2)
	v_mul_f64 v[30:31], v[16:17], v[20:21]
	v_fma_f64 v[34:35], v[14:15], v[18:19], -v[30:31]
	ds_read_b128 v[30:33], v8 offset:560
	ds_read_b128 v[46:49], v12
	v_mul_f64 v[14:15], v[14:15], v[20:21]
	v_fmac_f64_e32 v[14:15], v[16:17], v[18:19]
	v_add_f64 v[18:19], v[14:15], 0
	v_add_f64 v[16:17], v[34:35], 0
	s_waitcnt lgkmcnt(0)
	v_mul_f64 v[14:15], v[24:25], v[48:49]
	v_fma_f64 v[20:21], v[22:23], v[46:47], -v[14:15]
	v_mul_f64 v[22:23], v[22:23], v[48:49]
	ds_read_b128 v[12:15], v12 offset:528
	v_fmac_f64_e32 v[22:23], v[24:25], v[46:47]
	v_add_f64 v[20:21], v[16:17], v[20:21]
	v_add_f64 v[22:23], v[18:19], v[22:23]
	ds_read_b128 v[16:19], v11
	s_waitcnt lgkmcnt(1)
	v_mul_f64 v[24:25], v[28:29], v[14:15]
	v_fma_f64 v[24:25], v[26:27], v[12:13], -v[24:25]
	v_mul_f64 v[14:15], v[26:27], v[14:15]
	v_fmac_f64_e32 v[14:15], v[28:29], v[12:13]
	v_add_f64 v[12:13], v[20:21], v[24:25]
	s_waitcnt lgkmcnt(0)
	v_mul_f64 v[20:21], v[32:33], v[18:19]
	v_mul_f64 v[18:19], v[30:31], v[18:19]
	v_add_f64 v[14:15], v[22:23], v[14:15]
	v_fma_f64 v[20:21], v[30:31], v[16:17], -v[20:21]
	v_fmac_f64_e32 v[18:19], v[32:33], v[16:17]
	v_add_f64 v[12:13], v[12:13], v[20:21]
	v_add_f64 v[14:15], v[14:15], v[18:19]
	s_barrier
	ds_write_b128 v45, v[12:15]
	s_waitcnt lgkmcnt(0)
	s_barrier
	s_and_saveexec_b64 s[8:9], s[6:7]
	s_cbranch_execz .LBB192_71
; %bb.70:
	v_lshlrev_b32_e32 v9, 4, v44
	ds_read_b128 v[0:3], v9
	ds_read_b128 v[12:15], v9 offset:16
	ds_read_b128 v[16:19], v9 offset:32
	;; [unrolled: 1-line block ×3, first 2 shown]
	s_waitcnt lgkmcnt(2)
	v_add_f64 v[0:1], v[12:13], v[0:1]
	v_add_f64 v[12:13], v[14:15], v[2:3]
	s_waitcnt lgkmcnt(1)
	v_add_f64 v[14:15], v[0:1], v[16:17]
	ds_read_b128 v[0:3], v9 offset:64
	v_add_f64 v[12:13], v[12:13], v[18:19]
	s_waitcnt lgkmcnt(1)
	v_add_f64 v[16:17], v[14:15], v[20:21]
	v_add_f64 v[20:21], v[12:13], v[22:23]
	ds_read_b128 v[12:15], v9 offset:80
	s_waitcnt lgkmcnt(1)
	v_add_f64 v[22:23], v[16:17], v[0:1]
	ds_read_b128 v[16:19], v9 offset:96
	v_add_f64 v[20:21], v[20:21], v[2:3]
	ds_read_b128 v[0:3], v9 offset:112
	s_waitcnt lgkmcnt(2)
	v_add_f64 v[12:13], v[22:23], v[12:13]
	v_add_f64 v[14:15], v[20:21], v[14:15]
	s_waitcnt lgkmcnt(1)
	v_add_f64 v[12:13], v[12:13], v[16:17]
	v_add_f64 v[14:15], v[14:15], v[18:19]
	;; [unrolled: 3-line block ×3, first 2 shown]
.LBB192_71:
	s_or_b64 exec, exec, s[8:9]
	s_lshl_b64 s[8:9], s[18:19], 4
	v_mov_b32_e32 v9, s9
	v_subrev_co_u32_e64 v40, s[8:9], s8, v6
	s_and_b64 vcc, exec, s[14:15]
	s_nop 0
	v_subb_co_u32_e64 v41, s[8:9], v7, v9, s[8:9]
	s_barrier
	s_cbranch_vccnz .LBB192_76
; %bb.72:
	flat_load_dwordx4 v[12:15], v[40:41]
	v_mad_u32_u24 v9, v10, 33, v4
	s_lshl_b64 s[8:9], s[22:23], 7
	v_lshlrev_b32_e32 v20, 4, v9
	v_lshl_add_u64 v[6:7], v[40:41], 0, s[8:9]
	v_add_u32_e32 v11, 0x1080, v20
	s_mul_i32 s10, s23, 0x180
	s_waitcnt vmcnt(0) lgkmcnt(0)
	ds_write2_b64 v20, v[12:13], v[14:15] offset1:1
	flat_load_dwordx4 v[12:15], v[6:7]
	v_lshl_add_u64 v[6:7], v[6:7], 0, s[8:9]
	s_waitcnt vmcnt(0) lgkmcnt(0)
	ds_write2_b64 v11, v[12:13], v[14:15] offset1:1
	flat_load_dwordx4 v[12:15], v[6:7]
	v_mov_b32_e32 v6, 0x180
	v_mad_u64_u32 v[6:7], s[8:9], s22, v6, v[40:41]
	v_add_u32_e32 v11, 0x2100, v20
	v_add_u32_e32 v7, s10, v7
	s_waitcnt vmcnt(0) lgkmcnt(0)
	ds_write2_b64 v11, v[12:13], v[14:15] offset1:1
	flat_load_dwordx4 v[16:19], v[6:7]
	v_add_u32_e32 v11, 8, v10
	v_add_u32_e32 v12, 16, v10
	;; [unrolled: 1-line block ×7, first 2 shown]
	s_waitcnt vmcnt(0) lgkmcnt(0)
	ds_write2_b64 v15, v[16:17], v[18:19] offset1:1
	s_cbranch_execz .LBB192_77
	s_branch .LBB192_94
.LBB192_73:
	ds_read_b128 v[14:17], v13
	s_waitcnt lgkmcnt(0)
	ds_write_b128 v5, v[14:17]
	s_or_b64 exec, exec, s[38:39]
	s_and_saveexec_b64 s[6:7], s[8:9]
	s_cbranch_execz .LBB192_66
.LBB192_74:
	ds_read_b128 v[14:17], v12
	s_waitcnt lgkmcnt(0)
	ds_write_b128 v5, v[14:17] offset:16
	s_or_b64 exec, exec, s[6:7]
	s_and_saveexec_b64 s[6:7], s[10:11]
	s_cbranch_execz .LBB192_67
.LBB192_75:
	ds_read_b128 v[14:17], v9
	s_waitcnt lgkmcnt(0)
	ds_write_b128 v5, v[14:17] offset:32
	s_or_b64 exec, exec, s[6:7]
	s_and_saveexec_b64 s[6:7], s[12:13]
	s_cbranch_execnz .LBB192_68
	s_branch .LBB192_69
.LBB192_76:
                                        ; implicit-def: $vgpr9
                                        ; implicit-def: $vgpr11
                                        ; implicit-def: $vgpr7
                                        ; implicit-def: $vgpr12
                                        ; implicit-def: $vgpr6
                                        ; implicit-def: $vgpr13
                                        ; implicit-def: $vgpr14
.LBB192_77:
	v_or_b32_e32 v9, 32, v4
	v_lshlrev_b32_e32 v6, 4, v9
	v_sub_co_u32_e32 v6, vcc, v40, v6
	s_ashr_i32 s29, s28, 31
	s_nop 0
	v_subbrev_co_u32_e32 v7, vcc, 0, v41, vcc
	v_lshl_add_u64 v[6:7], s[28:29], 4, v[6:7]
	v_lshl_add_u64 v[6:7], v[6:7], 0, -16
	v_cmp_gt_i32_e32 vcc, s28, v9
	v_mad_u32_u24 v9, v10, 33, v4
	v_cmp_le_i32_e64 s[8:9], s28, v10
	v_cndmask_b32_e32 v7, v7, v41, vcc
	v_cndmask_b32_e32 v6, v6, v40, vcc
	v_lshlrev_b32_e32 v15, 4, v9
	s_and_saveexec_b64 s[10:11], s[8:9]
	s_xor_b64 s[8:9], exec, s[10:11]
	s_cbranch_execz .LBB192_79
; %bb.78:
	v_mov_b32_e32 v16, 0
	v_mov_b32_e32 v17, v16
	;; [unrolled: 1-line block ×4, first 2 shown]
	ds_write_b128 v15, v[16:19]
.LBB192_79:
	s_andn2_saveexec_b64 s[8:9], s[8:9]
	s_cbranch_execz .LBB192_81
; %bb.80:
	flat_load_dwordx4 v[16:19], v[6:7]
	s_waitcnt vmcnt(0) lgkmcnt(0)
	ds_write2_b64 v15, v[16:17], v[18:19] offset1:1
.LBB192_81:
	s_or_b64 exec, exec, s[8:9]
	v_add_u32_e32 v11, 8, v10
	v_cmp_le_i32_e64 s[8:9], s28, v11
	s_and_saveexec_b64 s[10:11], s[8:9]
	s_xor_b64 s[8:9], exec, s[10:11]
	s_cbranch_execz .LBB192_83
; %bb.82:
	v_mul_u32_u24_e32 v12, 33, v11
	v_mov_b32_e32 v16, 0
	v_add_lshl_u32 v12, v12, v4, 4
	v_mov_b32_e32 v17, v16
	v_mov_b32_e32 v18, v16
	;; [unrolled: 1-line block ×3, first 2 shown]
	ds_write_b128 v12, v[16:19]
.LBB192_83:
	s_andn2_saveexec_b64 s[8:9], s[8:9]
	s_cbranch_execz .LBB192_85
; %bb.84:
	s_lshl_b64 s[10:11], s[22:23], 7
	v_lshl_add_u64 v[12:13], v[6:7], 0, s[10:11]
	flat_load_dwordx4 v[16:19], v[12:13]
	v_add_u32_e32 v12, 0x1080, v15
	s_waitcnt vmcnt(0) lgkmcnt(0)
	ds_write2_b64 v12, v[16:17], v[18:19] offset1:1
.LBB192_85:
	s_or_b64 exec, exec, s[8:9]
	v_add_u32_e32 v12, 16, v10
	v_cmp_le_i32_e64 s[8:9], s28, v12
	s_and_saveexec_b64 s[10:11], s[8:9]
	s_xor_b64 s[8:9], exec, s[10:11]
	s_cbranch_execz .LBB192_87
; %bb.86:
	v_mul_u32_u24_e32 v13, 33, v12
	v_mov_b32_e32 v16, 0
	v_add_lshl_u32 v13, v13, v4, 4
	v_mov_b32_e32 v17, v16
	v_mov_b32_e32 v18, v16
	;; [unrolled: 1-line block ×3, first 2 shown]
	ds_write_b128 v13, v[16:19]
.LBB192_87:
	s_andn2_saveexec_b64 s[8:9], s[8:9]
	s_cbranch_execz .LBB192_89
; %bb.88:
	s_lshl_b64 s[10:11], s[22:23], 8
	v_lshl_add_u64 v[16:17], v[6:7], 0, s[10:11]
	flat_load_dwordx4 v[16:19], v[16:17]
	v_add_u32_e32 v13, 0x2100, v15
	s_waitcnt vmcnt(0) lgkmcnt(0)
	ds_write2_b64 v13, v[16:17], v[18:19] offset1:1
.LBB192_89:
	s_or_b64 exec, exec, s[8:9]
	v_add_u32_e32 v13, 24, v10
	v_cmp_le_i32_e64 s[8:9], s28, v13
                                        ; implicit-def: $vgpr14
	s_and_saveexec_b64 s[10:11], s[8:9]
	s_xor_b64 s[8:9], exec, s[10:11]
	s_cbranch_execz .LBB192_91
; %bb.90:
	v_mov_b32_e32 v16, 0
	v_add_u32_e32 v14, 0x318, v9
	v_mov_b32_e32 v17, v16
	v_mov_b32_e32 v18, v16
	v_mov_b32_e32 v19, v16
	ds_write_b128 v15, v[16:19] offset:12672
                                        ; implicit-def: $vgpr15
.LBB192_91:
	s_andn2_saveexec_b64 s[8:9], s[8:9]
	s_cbranch_execz .LBB192_93
; %bb.92:
	v_mov_b32_e32 v14, 0x180
	v_mad_u64_u32 v[16:17], s[10:11], s22, v14, v[6:7]
	s_mul_i32 s10, s23, 0x180
	s_nop 0
	v_add_u32_e32 v17, s10, v17
	flat_load_dwordx4 v[16:19], v[16:17]
	v_add_u32_e32 v14, 0x318, v9
	v_add_u32_e32 v15, 0x3180, v15
	s_waitcnt vmcnt(0) lgkmcnt(0)
	ds_write2_b64 v15, v[16:17], v[18:19] offset1:1
.LBB192_93:
	s_or_b64 exec, exec, s[8:9]
	v_lshlrev_b32_e32 v16, 4, v4
	v_mov_b32_e32 v17, 0
	v_lshl_add_u64 v[6:7], v[6:7], 0, v[16:17]
	s_lshl_b64 s[8:9], s[28:29], 4
	v_mov_b32_e32 v4, s9
	v_subrev_co_u32_e64 v6, s[8:9], s8, v6
	s_nop 1
	v_subb_co_u32_e64 v7, s[8:9], v7, v4, s[8:9]
	s_mov_b64 s[8:9], 0x210
	s_nop 0
	v_lshl_add_u64 v[6:7], v[6:7], 0, s[8:9]
	v_cndmask_b32_e32 v41, v7, v41, vcc
	v_cndmask_b32_e32 v40, v6, v40, vcc
	v_add_u32_e32 v7, 0x108, v9
	v_add_u32_e32 v6, 0x210, v9
.LBB192_94:
	v_lshlrev_b32_e32 v4, 4, v9
	v_lshlrev_b32_e32 v9, 4, v10
	s_waitcnt lgkmcnt(0)
	s_barrier
	ds_read_b128 v[46:49], v9 offset:18176
	ds_read_b128 v[50:53], v4
	v_lshlrev_b32_e32 v4, 4, v7
	v_lshlrev_b32_e32 v7, 4, v11
	ds_read_b128 v[54:57], v7 offset:18176
	ds_read_b128 v[58:61], v4
	v_lshlrev_b32_e32 v4, 4, v6
	v_lshlrev_b32_e32 v6, 4, v12
	ds_read_b128 v[62:65], v6 offset:18176
	ds_read_b128 v[66:69], v4
	v_lshlrev_b32_e32 v6, 4, v13
	s_waitcnt lgkmcnt(4)
	v_mul_f64 v[10:11], v[48:49], v[52:53]
	v_lshlrev_b32_e32 v4, 4, v14
	ds_read_b128 v[70:73], v6 offset:18176
	ds_read_b128 v[74:77], v4
	v_fma_f64 v[10:11], v[46:47], v[50:51], -v[10:11]
	s_waitcnt lgkmcnt(4)
	v_mul_f64 v[16:17], v[56:57], v[60:61]
	v_add_f64 v[10:11], v[10:11], 0
	v_fma_f64 v[16:17], v[54:55], v[58:59], -v[16:17]
	v_add_f64 v[6:7], v[10:11], v[16:17]
	s_waitcnt lgkmcnt(2)
	v_mul_f64 v[10:11], v[64:65], v[68:69]
	v_fma_f64 v[10:11], v[62:63], v[66:67], -v[10:11]
	v_add_f64 v[6:7], v[6:7], v[10:11]
	s_waitcnt lgkmcnt(0)
	v_mul_f64 v[10:11], v[72:73], v[76:77]
	v_fma_f64 v[10:11], v[70:71], v[74:75], -v[10:11]
	v_add_f64 v[78:79], v[6:7], v[10:11]
	ds_read_b128 v[28:31], v5
	ds_read_b128 v[20:23], v5 offset:16
	ds_read_b128 v[12:15], v5 offset:32
	;; [unrolled: 1-line block ×7, first 2 shown]
	v_mul_f64 v[46:47], v[46:47], v[52:53]
	v_fmac_f64_e32 v[46:47], v[48:49], v[50:51]
	v_mul_f64 v[48:49], v[54:55], v[60:61]
	v_add_f64 v[46:47], v[46:47], 0
	v_fmac_f64_e32 v[48:49], v[56:57], v[58:59]
	v_add_f64 v[46:47], v[46:47], v[48:49]
	v_mul_f64 v[48:49], v[62:63], v[68:69]
	v_fmac_f64_e32 v[48:49], v[64:65], v[66:67]
	v_add_f64 v[46:47], v[46:47], v[48:49]
	v_mul_f64 v[48:49], v[70:71], v[76:77]
	v_fmac_f64_e32 v[48:49], v[72:73], v[74:75]
	v_add_f64 v[80:81], v[46:47], v[48:49]
	s_waitcnt lgkmcnt(0)
	s_barrier
	ds_write_b128 v45, v[78:81]
	s_waitcnt lgkmcnt(0)
	s_barrier
	s_and_saveexec_b64 s[8:9], s[6:7]
	s_cbranch_execz .LBB192_96
; %bb.95:
	v_lshlrev_b32_e32 v62, 4, v44
	ds_read_b128 v[46:49], v62
	ds_read_b128 v[50:53], v62 offset:16
	ds_read_b128 v[54:57], v62 offset:32
	;; [unrolled: 1-line block ×3, first 2 shown]
	s_waitcnt lgkmcnt(3)
	v_add_f64 v[0:1], v[0:1], v[46:47]
	v_add_f64 v[2:3], v[2:3], v[48:49]
	s_waitcnt lgkmcnt(2)
	v_add_f64 v[0:1], v[0:1], v[50:51]
	v_add_f64 v[46:47], v[2:3], v[52:53]
	s_waitcnt lgkmcnt(1)
	v_add_f64 v[48:49], v[0:1], v[54:55]
	ds_read_b128 v[0:3], v62 offset:64
	v_add_f64 v[46:47], v[46:47], v[56:57]
	s_waitcnt lgkmcnt(1)
	v_add_f64 v[50:51], v[48:49], v[58:59]
	v_add_f64 v[54:55], v[46:47], v[60:61]
	ds_read_b128 v[46:49], v62 offset:80
	s_waitcnt lgkmcnt(1)
	v_add_f64 v[56:57], v[50:51], v[0:1]
	ds_read_b128 v[50:53], v62 offset:96
	v_add_f64 v[54:55], v[54:55], v[2:3]
	ds_read_b128 v[0:3], v62 offset:112
	s_waitcnt lgkmcnt(2)
	v_add_f64 v[46:47], v[56:57], v[46:47]
	v_add_f64 v[48:49], v[54:55], v[48:49]
	s_waitcnt lgkmcnt(1)
	v_add_f64 v[46:47], v[46:47], v[50:51]
	v_add_f64 v[48:49], v[48:49], v[52:53]
	;; [unrolled: 3-line block ×3, first 2 shown]
.LBB192_96:
	s_or_b64 exec, exec, s[8:9]
	v_mul_f64 v[46:47], v[30:31], v[34:35]
	v_fma_f64 v[46:47], v[28:29], v[32:33], -v[46:47]
	v_mul_f64 v[28:29], v[28:29], v[34:35]
	v_fmac_f64_e32 v[28:29], v[30:31], v[32:33]
	v_mul_f64 v[32:33], v[22:23], v[26:27]
	v_fma_f64 v[32:33], v[20:21], v[24:25], -v[32:33]
	v_mul_f64 v[20:21], v[20:21], v[26:27]
	v_fmac_f64_e32 v[20:21], v[22:23], v[24:25]
	v_mul_f64 v[24:25], v[14:15], v[18:19]
	v_add_f64 v[30:31], v[46:47], 0
	v_add_f64 v[28:29], v[28:29], 0
	v_fma_f64 v[24:25], v[12:13], v[16:17], -v[24:25]
	v_mul_f64 v[12:13], v[12:13], v[18:19]
	v_add_f64 v[22:23], v[30:31], v[32:33]
	v_add_f64 v[20:21], v[28:29], v[20:21]
	v_fmac_f64_e32 v[12:13], v[14:15], v[16:17]
	v_mul_f64 v[16:17], v[6:7], v[10:11]
	v_mul_f64 v[10:11], v[4:5], v[10:11]
	v_add_f64 v[14:15], v[22:23], v[24:25]
	v_add_f64 v[12:13], v[20:21], v[12:13]
	v_fma_f64 v[16:17], v[4:5], v[8:9], -v[16:17]
	v_fmac_f64_e32 v[10:11], v[6:7], v[8:9]
	v_add_f64 v[4:5], v[14:15], v[16:17]
	v_add_f64 v[6:7], v[12:13], v[10:11]
	s_barrier
	ds_write_b128 v45, v[4:7]
	s_waitcnt lgkmcnt(0)
	s_barrier
	s_and_saveexec_b64 s[6:7], s[4:5]
	s_cbranch_execz .LBB192_98
; %bb.97:
	v_lshlrev_b32_e32 v20, 4, v44
	ds_read_b128 v[4:7], v20
	ds_read_b128 v[8:11], v20 offset:16
	ds_read_b128 v[12:15], v20 offset:32
	;; [unrolled: 1-line block ×3, first 2 shown]
	s_waitcnt lgkmcnt(3)
	v_add_f64 v[0:1], v[0:1], v[4:5]
	v_add_f64 v[2:3], v[2:3], v[6:7]
	s_waitcnt lgkmcnt(2)
	v_add_f64 v[0:1], v[0:1], v[8:9]
	v_add_f64 v[4:5], v[2:3], v[10:11]
	s_waitcnt lgkmcnt(1)
	v_add_f64 v[6:7], v[0:1], v[12:13]
	ds_read_b128 v[0:3], v20 offset:64
	v_add_f64 v[4:5], v[4:5], v[14:15]
	s_waitcnt lgkmcnt(1)
	v_add_f64 v[8:9], v[6:7], v[16:17]
	v_add_f64 v[12:13], v[4:5], v[18:19]
	ds_read_b128 v[4:7], v20 offset:80
	s_waitcnt lgkmcnt(1)
	v_add_f64 v[14:15], v[8:9], v[0:1]
	ds_read_b128 v[8:11], v20 offset:96
	v_add_f64 v[12:13], v[12:13], v[2:3]
	ds_read_b128 v[0:3], v20 offset:112
	s_waitcnt lgkmcnt(2)
	v_add_f64 v[4:5], v[14:15], v[4:5]
	v_add_f64 v[6:7], v[12:13], v[6:7]
	s_waitcnt lgkmcnt(1)
	v_add_f64 v[4:5], v[4:5], v[8:9]
	v_add_f64 v[6:7], v[6:7], v[10:11]
	;; [unrolled: 3-line block ×3, first 2 shown]
.LBB192_98:
	s_or_b64 exec, exec, s[6:7]
	s_mul_hi_u32 s4, s3, s24
	s_mul_i32 s33, s33, s24
	s_add_i32 s4, s4, s33
	s_mul_i32 s6, s3, s24
	s_mul_i32 s4, s4, s25
	s_mul_hi_u32 s5, s6, s25
	s_add_i32 s5, s5, s4
	s_mul_i32 s4, s6, s25
	s_lshl_b64 s[4:5], s[4:5], 4
	s_add_u32 s6, s26, s4
	s_mul_i32 s4, s2, s3
	s_addc_u32 s7, s27, s5
	s_ashr_i32 s5, s4, 31
	s_lshl_b64 s[4:5], s[4:5], 4
	s_add_u32 s6, s6, s4
	v_cmp_le_i32_e32 vcc, s28, v42
	s_addc_u32 s7, s7, s5
	s_and_b64 vcc, s[36:37], vcc
	s_cmp_lt_i32 s2, 1
	v_lshlrev_b32_e32 v134, 4, v42
	s_barrier
	s_cbranch_scc1 .LBB192_105
; %bb.99:
	s_mul_i32 s3, s30, s21
	s_mul_hi_u32 s4, s30, s20
	s_add_i32 s3, s4, s3
	s_mul_i32 s4, s31, s20
	s_add_i32 s5, s3, s4
	s_mul_i32 s4, s30, s20
	s_lshl_b64 s[4:5], s[4:5], 4
	v_mov_b32_e32 v4, s5
	v_subrev_co_u32_e64 v136, s[4:5], s4, v36
	v_lshlrev_b32_e32 v9, 2, v142
	s_nop 0
	v_subb_co_u32_e64 v137, s[4:5], v37, v4, s[4:5]
	v_mov_b32_e32 v4, s35
	v_subrev_co_u32_e64 v6, s[4:5], s34, v40
	s_ashr_i32 s29, s28, 31
	s_nop 0
	v_subb_co_u32_e64 v7, s[4:5], v41, v4, s[4:5]
	v_lshlrev_b64 v[4:5], 4, v[38:39]
	v_sub_co_u32_e64 v4, s[4:5], v6, v4
	v_mov_b32_e32 v139, 0
	s_nop 0
	v_subb_co_u32_e64 v5, s[4:5], v7, v5, s[4:5]
	v_mad_u64_u32 v[6:7], s[4:5], v9, s22, 0
	v_mov_b32_e32 v8, v7
	v_mad_u64_u32 v[8:9], s[4:5], v9, s23, v[8:9]
	v_mov_b32_e32 v7, v8
	s_movk_i32 s4, 0xfe00
	v_lshl_add_u64 v[4:5], v[6:7], 4, v[4:5]
	s_mov_b32 s5, -1
	v_lshl_add_u64 v[4:5], v[4:5], 0, s[4:5]
	v_lshl_add_u64 v[6:7], s[28:29], 4, v[4:5]
	v_mov_b32_e32 v135, v139
	v_lshl_add_u64 v[6:7], v[6:7], 0, -16
	v_lshl_add_u64 v[4:5], v[4:5], 0, v[134:135]
	v_cndmask_b32_e32 v8, v4, v6, vcc
	v_and_b32_e32 v4, 48, v42
	v_and_b32_e32 v10, 15, v42
	v_cndmask_b32_e32 v9, v5, v7, vcc
	v_lshlrev_b32_e32 v5, 4, v4
	s_movk_i32 s3, 0x430
	v_mad_u32_u24 v144, v10, s3, v5
	v_or_b32_e32 v5, 0xf0, v134
	v_mad_u32_u24 v145, v10, s3, v5
	v_lshlrev_b32_e32 v5, 2, v43
	v_and_b32_e32 v5, 0x7ffc0, v5
	v_mad_u32_u24 v146, v10, s3, v5
	v_mov_b32_e32 v5, 0x4300
	v_lshl_add_u32 v147, v142, 6, v5
	v_and_b32_e32 v5, 0x1fff0, v43
	s_movk_i32 s8, 0x10c0
	v_mad_u32_u24 v149, v10, s3, v5
	s_mul_i32 s3, s23, 0xd0
	s_mul_hi_u32 s10, s22, 0xd0
	v_add_u32_e32 v135, 0x4300, v134
	v_add_u32_e32 v143, 0x4700, v134
	v_cmp_gt_u32_e64 s[4:5], 64, v43
	v_mad_u32_u24 v148, v142, s8, v134
	s_lshl_b64 s[8:9], s[22:23], 4
	s_add_i32 s11, s10, s3
	s_mul_i32 s10, s22, 0xd0
	v_or_b32_e32 v150, v4, v10
	s_mov_b32 s3, 0
	s_branch .LBB192_101
.LBB192_100:                            ;   in Loop: Header=BB192_101 Depth=1
	s_or_b64 exec, exec, s[12:13]
	v_mul_f64 v[152:153], v[6:7], v[22:23]
	v_fma_f64 v[152:153], v[4:5], v[20:21], -v[152:153]
	v_mul_f64 v[4:5], v[4:5], v[22:23]
	v_mul_f64 v[22:23], v[10:11], v[42:43]
	v_add_f64 v[0:1], v[0:1], v[152:153]
	v_fma_f64 v[22:23], v[8:9], v[40:41], -v[22:23]
	v_add_f64 v[0:1], v[0:1], v[22:23]
	v_mul_f64 v[22:23], v[14:15], v[46:47]
	v_fma_f64 v[22:23], v[12:13], v[44:45], -v[22:23]
	v_add_f64 v[0:1], v[0:1], v[22:23]
	v_mul_f64 v[22:23], v[18:19], v[50:51]
	v_fmac_f64_e32 v[4:5], v[6:7], v[20:21]
	v_fma_f64 v[22:23], v[16:17], v[48:49], -v[22:23]
	v_add_f64 v[2:3], v[2:3], v[4:5]
	v_mul_f64 v[4:5], v[26:27], v[70:71]
	v_add_f64 v[0:1], v[0:1], v[22:23]
	v_fma_f64 v[4:5], v[24:25], v[68:69], -v[4:5]
	v_add_f64 v[0:1], v[0:1], v[4:5]
	v_mul_f64 v[4:5], v[30:31], v[82:83]
	v_fma_f64 v[4:5], v[28:29], v[80:81], -v[4:5]
	v_add_f64 v[0:1], v[0:1], v[4:5]
	v_mul_f64 v[4:5], v[38:39], v[78:79]
	;; [unrolled: 3-line block ×3, first 2 shown]
	v_fma_f64 v[4:5], v[32:33], v[72:73], -v[4:5]
	v_mul_f64 v[8:9], v[8:9], v[42:43]
	v_add_f64 v[0:1], v[0:1], v[4:5]
	v_mul_f64 v[4:5], v[66:67], v[102:103]
	v_mul_f64 v[12:13], v[12:13], v[46:47]
	v_fmac_f64_e32 v[8:9], v[10:11], v[40:41]
	v_fma_f64 v[4:5], v[64:65], v[100:101], -v[4:5]
	v_mul_f64 v[16:17], v[16:17], v[50:51]
	v_add_f64 v[2:3], v[2:3], v[8:9]
	v_fmac_f64_e32 v[12:13], v[14:15], v[44:45]
	v_add_f64 v[0:1], v[0:1], v[4:5]
	v_mul_f64 v[4:5], v[62:63], v[118:119]
	v_add_f64 v[2:3], v[2:3], v[12:13]
	v_fmac_f64_e32 v[16:17], v[18:19], v[48:49]
	v_mul_f64 v[6:7], v[24:25], v[70:71]
	v_fma_f64 v[4:5], v[60:61], v[116:117], -v[4:5]
	v_add_f64 v[2:3], v[2:3], v[16:17]
	v_mul_f64 v[8:9], v[28:29], v[82:83]
	v_fmac_f64_e32 v[6:7], v[26:27], v[68:69]
	v_add_f64 v[0:1], v[0:1], v[4:5]
	v_mul_f64 v[4:5], v[58:59], v[114:115]
	v_mul_f64 v[10:11], v[36:37], v[78:79]
	v_add_f64 v[2:3], v[2:3], v[6:7]
	v_fmac_f64_e32 v[8:9], v[30:31], v[80:81]
	v_fma_f64 v[4:5], v[56:57], v[112:113], -v[4:5]
	v_mul_f64 v[12:13], v[32:33], v[74:75]
	v_add_f64 v[2:3], v[2:3], v[8:9]
	v_fmac_f64_e32 v[10:11], v[38:39], v[76:77]
	v_add_f64 v[0:1], v[0:1], v[4:5]
	v_mul_f64 v[4:5], v[54:55], v[110:111]
	v_add_f64 v[2:3], v[2:3], v[10:11]
	v_fmac_f64_e32 v[12:13], v[34:35], v[72:73]
	v_mul_f64 v[6:7], v[64:65], v[102:103]
	v_fma_f64 v[4:5], v[52:53], v[108:109], -v[4:5]
	v_add_f64 v[2:3], v[2:3], v[12:13]
	v_mul_f64 v[8:9], v[60:61], v[118:119]
	v_add_f64 v[0:1], v[0:1], v[4:5]
	v_fmac_f64_e32 v[6:7], v[66:67], v[100:101]
	v_mul_f64 v[4:5], v[86:87], v[106:107]
	v_mul_f64 v[10:11], v[56:57], v[114:115]
	v_add_f64 v[2:3], v[2:3], v[6:7]
	v_fmac_f64_e32 v[8:9], v[62:63], v[116:117]
	v_fma_f64 v[4:5], v[84:85], v[104:105], -v[4:5]
	v_mul_f64 v[12:13], v[52:53], v[110:111]
	v_add_f64 v[2:3], v[2:3], v[8:9]
	v_fmac_f64_e32 v[10:11], v[58:59], v[112:113]
	v_add_f64 v[0:1], v[0:1], v[4:5]
	v_mul_f64 v[4:5], v[90:91], v[122:123]
	v_add_f64 v[2:3], v[2:3], v[10:11]
	v_fmac_f64_e32 v[12:13], v[54:55], v[108:109]
	v_mul_f64 v[6:7], v[84:85], v[106:107]
	v_fma_f64 v[4:5], v[88:89], v[120:121], -v[4:5]
	v_add_f64 v[2:3], v[2:3], v[12:13]
	v_mul_f64 v[8:9], v[88:89], v[122:123]
	v_add_f64 v[0:1], v[0:1], v[4:5]
	v_mul_f64 v[4:5], v[94:95], v[126:127]
	v_fmac_f64_e32 v[6:7], v[86:87], v[104:105]
	v_fma_f64 v[4:5], v[92:93], v[124:125], -v[4:5]
	v_mul_f64 v[10:11], v[92:93], v[126:127]
	v_fmac_f64_e32 v[8:9], v[90:91], v[120:121]
	v_add_f64 v[2:3], v[2:3], v[6:7]
	v_add_f64 v[0:1], v[0:1], v[4:5]
	v_mul_f64 v[4:5], v[98:99], v[130:131]
	v_mul_f64 v[12:13], v[96:97], v[130:131]
	v_fmac_f64_e32 v[10:11], v[94:95], v[124:125]
	v_add_f64 v[2:3], v[2:3], v[8:9]
	v_fma_f64 v[4:5], v[96:97], v[128:129], -v[4:5]
	v_fmac_f64_e32 v[12:13], v[98:99], v[128:129]
	v_add_f64 v[2:3], v[2:3], v[10:11]
	s_add_i32 s3, s3, 64
	s_add_i32 s2, s2, -1
	v_add_f64 v[0:1], v[0:1], v[4:5]
	v_add_f64 v[2:3], v[2:3], v[12:13]
	s_cmp_eq_u32 s2, 0
	v_lshl_add_u64 v[8:9], v[140:141], 0, s[10:11]
	s_barrier
	s_cbranch_scc1 .LBB192_105
.LBB192_101:                            ; =>This Inner Loop Header: Depth=1
	s_and_saveexec_b64 s[12:13], s[16:17]
	s_cbranch_execz .LBB192_103
; %bb.102:                              ;   in Loop: Header=BB192_101 Depth=1
	s_mul_i32 s14, s3, s21
	s_mul_hi_u32 s15, s3, s20
	s_add_i32 s15, s15, s14
	s_mul_i32 s14, s3, s20
	v_lshl_add_u64 v[4:5], s[14:15], 4, v[136:137]
	flat_load_dwordx4 v[4:7], v[4:5]
	s_waitcnt vmcnt(0) lgkmcnt(0)
	ds_write2_b64 v135, v[4:5], v[6:7] offset1:1
.LBB192_103:                            ;   in Loop: Header=BB192_101 Depth=1
	s_or_b64 exec, exec, s[12:13]
	s_waitcnt lgkmcnt(0)
	s_barrier
	flat_load_dwordx4 v[4:7], v[8:9]
	v_lshl_add_u64 v[12:13], v[8:9], 0, s[8:9]
	flat_load_dwordx4 v[8:11], v[12:13]
	v_lshl_add_u64 v[16:17], v[12:13], 0, s[8:9]
	;; [unrolled: 2-line block ×3, first 2 shown]
	flat_load_dwordx4 v[16:19], v[28:29]
	ds_read_b128 v[24:27], v143
	ds_read_b128 v[20:23], v147
	v_lshl_add_u64 v[36:37], v[28:29], 0, s[10:11]
	s_waitcnt vmcnt(0) lgkmcnt(0)
	v_mul_f64 v[28:29], v[6:7], v[26:27]
	v_mul_f64 v[30:31], v[4:5], v[26:27]
	v_fma_f64 v[28:29], v[4:5], v[24:25], -v[28:29]
	v_fmac_f64_e32 v[30:31], v[6:7], v[24:25]
	v_mul_f64 v[34:35], v[10:11], v[26:27]
	v_mul_f64 v[32:33], v[8:9], v[26:27]
	ds_write_b128 v148, v[28:31]
	v_fma_f64 v[30:31], v[8:9], v[24:25], -v[34:35]
	v_fmac_f64_e32 v[32:33], v[10:11], v[24:25]
	v_mul_f64 v[28:29], v[14:15], v[26:27]
	v_mul_f64 v[34:35], v[12:13], v[26:27]
	ds_read_b128 v[40:43], v147 offset:16
	ds_write_b128 v148, v[30:33] offset:1072
	v_fma_f64 v[32:33], v[12:13], v[24:25], -v[28:29]
	v_fmac_f64_e32 v[34:35], v[14:15], v[24:25]
	v_mul_f64 v[30:31], v[18:19], v[26:27]
	v_mul_f64 v[28:29], v[16:17], v[26:27]
	ds_read_b128 v[44:47], v147 offset:32
	ds_write_b128 v148, v[32:35] offset:2144
	v_fma_f64 v[26:27], v[16:17], v[24:25], -v[30:31]
	v_fmac_f64_e32 v[28:29], v[18:19], v[24:25]
	v_lshl_add_u64 v[32:33], v[36:37], 0, s[8:9]
	ds_read_b128 v[48:51], v147 offset:48
	ds_write_b128 v148, v[26:29] offset:3216
	s_waitcnt lgkmcnt(0)
	s_barrier
	ds_read_b128 v[128:131], v146
	ds_read_b128 v[124:127], v146 offset:16
	ds_read_b128 v[120:123], v146 offset:32
	;; [unrolled: 1-line block ×3, first 2 shown]
	s_waitcnt lgkmcnt(0)
	s_barrier
	flat_load_dwordx4 v[24:27], v[36:37]
	flat_load_dwordx4 v[28:31], v[32:33]
	v_lshl_add_u64 v[32:33], v[32:33], 0, s[8:9]
	v_lshl_add_u64 v[56:57], v[32:33], 0, s[8:9]
	flat_load_dwordx4 v[36:39], v[32:33]
	ds_read_b128 v[52:55], v143
	ds_read_b128 v[68:71], v147 offset:256
	flat_load_dwordx4 v[32:35], v[56:57]
	v_lshl_add_u64 v[88:89], v[56:57], 0, s[10:11]
	v_add_f64 v[128:129], v[128:129], 0
	v_add_f64 v[130:131], v[130:131], 0
	v_add_f64 v[124:125], v[128:129], v[124:125]
	v_add_f64 v[126:127], v[130:131], v[126:127]
	v_add_f64 v[120:121], v[124:125], v[120:121]
	v_add_f64 v[122:123], v[126:127], v[122:123]
	v_add_f64 v[184:185], v[120:121], v[104:105]
	v_add_f64 v[186:187], v[122:123], v[106:107]
	s_waitcnt vmcnt(0) lgkmcnt(0)
	v_mul_f64 v[58:59], v[26:27], v[54:55]
	v_mul_f64 v[56:57], v[24:25], v[54:55]
	;; [unrolled: 1-line block ×6, first 2 shown]
	v_fmac_f64_e32 v[56:57], v[26:27], v[52:53]
	v_mul_f64 v[72:73], v[34:35], v[54:55]
	v_mul_f64 v[86:87], v[32:33], v[54:55]
	v_fma_f64 v[54:55], v[24:25], v[52:53], -v[58:59]
	v_fma_f64 v[58:59], v[28:29], v[52:53], -v[62:63]
	v_fmac_f64_e32 v[60:61], v[30:31], v[52:53]
	ds_write_b128 v148, v[54:57]
	v_fma_f64 v[62:63], v[36:37], v[52:53], -v[66:67]
	v_fmac_f64_e32 v[64:65], v[38:39], v[52:53]
	ds_read_b128 v[80:83], v147 offset:272
	ds_write_b128 v148, v[58:61] offset:1072
	v_fma_f64 v[84:85], v[32:33], v[52:53], -v[72:73]
	v_fmac_f64_e32 v[86:87], v[34:35], v[52:53]
	ds_read_b128 v[76:79], v147 offset:288
	ds_write_b128 v148, v[62:65] offset:2144
	v_lshl_add_u64 v[52:53], v[88:89], 0, s[8:9]
	ds_read_b128 v[72:75], v147 offset:304
	ds_write_b128 v148, v[84:87] offset:3216
	s_waitcnt lgkmcnt(0)
	s_barrier
	ds_read_b128 v[152:155], v146
	ds_read_b128 v[156:159], v146 offset:16
	ds_read_b128 v[160:163], v146 offset:32
	;; [unrolled: 1-line block ×3, first 2 shown]
	s_waitcnt lgkmcnt(0)
	s_barrier
	flat_load_dwordx4 v[60:63], v[52:53]
	v_lshl_add_u64 v[52:53], v[52:53], 0, s[8:9]
	flat_load_dwordx4 v[64:67], v[88:89]
	v_lshl_add_u64 v[88:89], v[52:53], 0, s[8:9]
	flat_load_dwordx4 v[56:59], v[52:53]
	ds_read_b128 v[84:87], v143
	ds_read_b128 v[100:103], v147 offset:512
	flat_load_dwordx4 v[52:55], v[88:89]
	v_lshl_add_u64 v[98:99], v[88:89], 0, s[10:11]
	v_add_f64 v[104:105], v[152:153], 0
	v_add_f64 v[106:107], v[154:155], 0
	;; [unrolled: 1-line block ×8, first 2 shown]
	s_waitcnt vmcnt(0) lgkmcnt(0)
	v_mul_f64 v[94:95], v[62:63], v[86:87]
	v_mul_f64 v[92:93], v[60:61], v[86:87]
	;; [unrolled: 1-line block ×6, first 2 shown]
	v_fmac_f64_e32 v[88:89], v[66:67], v[84:85]
	v_mul_f64 v[110:111], v[54:55], v[86:87]
	v_mul_f64 v[170:171], v[52:53], v[86:87]
	v_fma_f64 v[86:87], v[64:65], v[84:85], -v[90:91]
	v_fma_f64 v[90:91], v[60:61], v[84:85], -v[94:95]
	v_fmac_f64_e32 v[92:93], v[62:63], v[84:85]
	ds_write_b128 v148, v[86:89]
	v_fma_f64 v[94:95], v[56:57], v[84:85], -v[108:109]
	v_fmac_f64_e32 v[96:97], v[58:59], v[84:85]
	ds_read_b128 v[116:119], v147 offset:528
	ds_write_b128 v148, v[90:93] offset:1072
	v_lshl_add_u64 v[92:93], v[98:99], 0, s[8:9]
	v_fma_f64 v[168:169], v[52:53], v[84:85], -v[110:111]
	v_fmac_f64_e32 v[170:171], v[54:55], v[84:85]
	ds_read_b128 v[112:115], v147 offset:544
	ds_write_b128 v148, v[94:97] offset:2144
	v_lshl_add_u64 v[96:97], v[92:93], 0, s[8:9]
	ds_read_b128 v[108:111], v147 offset:560
	ds_write_b128 v148, v[168:171] offset:3216
	s_waitcnt lgkmcnt(0)
	s_barrier
	ds_read_b128 v[168:171], v146
	ds_read_b128 v[172:175], v146 offset:16
	ds_read_b128 v[176:179], v146 offset:32
	;; [unrolled: 1-line block ×3, first 2 shown]
	s_waitcnt lgkmcnt(0)
	s_barrier
	flat_load_dwordx4 v[84:87], v[98:99]
	v_lshl_add_u64 v[140:141], v[96:97], 0, s[8:9]
	flat_load_dwordx4 v[88:91], v[92:93]
	v_add_f64 v[124:125], v[168:169], 0
	flat_load_dwordx4 v[92:95], v[96:97]
	v_add_f64 v[126:127], v[170:171], 0
	flat_load_dwordx4 v[96:99], v[140:141]
	ds_read_b128 v[120:123], v143
	ds_read_b128 v[104:107], v147 offset:768
	v_add_f64 v[124:125], v[124:125], v[172:173]
	v_add_f64 v[126:127], v[126:127], v[174:175]
	;; [unrolled: 1-line block ×6, first 2 shown]
	s_waitcnt vmcnt(0) lgkmcnt(0)
	v_mul_f64 v[126:127], v[86:87], v[122:123]
	v_mul_f64 v[124:125], v[84:85], v[122:123]
	;; [unrolled: 1-line block ×8, first 2 shown]
	v_fma_f64 v[122:123], v[84:85], v[120:121], -v[126:127]
	v_fmac_f64_e32 v[124:125], v[86:87], v[120:121]
	v_fma_f64 v[126:127], v[88:89], v[120:121], -v[130:131]
	v_fmac_f64_e32 v[128:129], v[90:91], v[120:121]
	ds_write_b128 v148, v[122:125]
	v_fma_f64 v[160:161], v[92:93], v[120:121], -v[160:161]
	v_fmac_f64_e32 v[162:163], v[94:95], v[120:121]
	v_fma_f64 v[164:165], v[96:97], v[120:121], -v[164:165]
	v_fmac_f64_e32 v[166:167], v[98:99], v[120:121]
	ds_read_b128 v[120:123], v147 offset:784
	ds_write_b128 v148, v[126:129] offset:1072
	ds_read_b128 v[124:127], v147 offset:800
	ds_write_b128 v148, v[160:163] offset:2144
	ds_read_b128 v[128:131], v147 offset:816
	ds_write_b128 v148, v[164:167] offset:3216
	s_waitcnt lgkmcnt(0)
	s_barrier
	ds_read_b128 v[160:163], v146
	ds_read_b128 v[164:167], v146 offset:16
	ds_read_b128 v[168:171], v146 offset:32
	;; [unrolled: 1-line block ×3, first 2 shown]
	s_waitcnt lgkmcnt(0)
	s_barrier
	ds_write_b128 v149, v[184:187]
	ds_write_b128 v149, v[152:155] offset:256
	ds_write_b128 v149, v[156:159] offset:512
	v_add_f64 v[152:153], v[160:161], 0
	v_add_f64 v[154:155], v[162:163], 0
	;; [unrolled: 1-line block ×8, first 2 shown]
	ds_write_b128 v149, v[152:155] offset:768
	s_waitcnt lgkmcnt(0)
	s_barrier
	s_and_saveexec_b64 s[12:13], s[4:5]
	s_cbranch_execz .LBB192_100
; %bb.104:                              ;   in Loop: Header=BB192_101 Depth=1
	ds_read_b128 v[152:155], v144
	ds_read_b128 v[156:159], v144 offset:16
	ds_read_b128 v[160:163], v144 offset:32
	;; [unrolled: 1-line block ×3, first 2 shown]
	v_add_u32_e32 v138, s3, v150
	s_waitcnt lgkmcnt(2)
	v_add_f64 v[152:153], v[156:157], v[152:153]
	v_add_f64 v[156:157], v[158:159], v[154:155]
	s_waitcnt lgkmcnt(1)
	v_add_f64 v[158:159], v[152:153], v[160:161]
	ds_read_b128 v[152:155], v144 offset:64
	v_add_f64 v[160:161], v[156:157], v[162:163]
	s_waitcnt lgkmcnt(1)
	v_add_f64 v[162:163], v[158:159], v[164:165]
	ds_read_b128 v[156:159], v144 offset:80
	;; [unrolled: 4-line block ×9, first 2 shown]
	v_add_f64 v[154:155], v[164:165], v[154:155]
	s_waitcnt lgkmcnt(1)
	v_add_f64 v[156:157], v[152:153], v[156:157]
	v_add_f64 v[164:165], v[154:155], v[158:159]
	ds_read_b128 v[152:155], v144 offset:208
	s_waitcnt lgkmcnt(1)
	v_add_f64 v[166:167], v[156:157], v[160:161]
	ds_read_b128 v[156:159], v144 offset:224
	v_add_f64 v[164:165], v[164:165], v[162:163]
	ds_read_b128 v[160:163], v145
	s_waitcnt lgkmcnt(2)
	v_add_f64 v[152:153], v[166:167], v[152:153]
	v_add_f64 v[154:155], v[164:165], v[154:155]
	s_waitcnt lgkmcnt(1)
	v_add_f64 v[152:153], v[152:153], v[156:157]
	v_add_f64 v[154:155], v[154:155], v[158:159]
	s_waitcnt lgkmcnt(0)
	v_add_f64 v[152:153], v[152:153], v[160:161]
	v_add_f64 v[154:155], v[154:155], v[162:163]
	v_lshl_add_u64 v[156:157], v[138:139], 4, s[6:7]
	global_store_dwordx4 v[156:157], v[152:155], off
	s_branch .LBB192_100
.LBB192_105:
	s_movk_i32 s2, 0x430
	s_or_b64 s[0:1], s[0:1], vcc
	v_mad_u32_u24 v4, v142, s2, v134
	s_xor_b64 s[0:1], s[0:1], -1
	ds_write_b128 v4, v[0:3]
	s_waitcnt lgkmcnt(0)
	s_barrier
	s_and_saveexec_b64 s[2:3], s[0:1]
	s_cbranch_execz .LBB192_107
; %bb.106:
	ds_read_b128 v[0:3], v134 offset:1072
	ds_read_b128 v[4:7], v134
	ds_read_b128 v[8:11], v134 offset:2144
	ds_read_b128 v[12:15], v134 offset:3216
	s_waitcnt lgkmcnt(2)
	v_add_f64 v[0:1], v[0:1], v[4:5]
	v_add_f64 v[2:3], v[2:3], v[6:7]
	s_waitcnt lgkmcnt(1)
	v_add_f64 v[0:1], v[0:1], v[8:9]
	v_add_f64 v[2:3], v[2:3], v[10:11]
	;; [unrolled: 3-line block ×3, first 2 shown]
	v_lshl_add_u64 v[4:5], v[132:133], 4, s[6:7]
	global_store_dwordx4 v[4:5], v[0:3], off
.LBB192_107:
	s_endpgm
	.section	.rodata,"a",@progbits
	.p2align	6, 0x0
	.amdhsa_kernel _ZL26rocblas_hemvn_kernel_lowerILb0ELi64ELi4ELi33ELi32ELi16ElPK19rocblas_complex_numIdEPKS3_PS1_EviT6_lT7_lT5_lS8_lS9_lS7_lT8_i
		.amdhsa_group_segment_fixed_size 19200
		.amdhsa_private_segment_fixed_size 0
		.amdhsa_kernarg_size 376
		.amdhsa_user_sgpr_count 2
		.amdhsa_user_sgpr_dispatch_ptr 0
		.amdhsa_user_sgpr_queue_ptr 0
		.amdhsa_user_sgpr_kernarg_segment_ptr 1
		.amdhsa_user_sgpr_dispatch_id 0
		.amdhsa_user_sgpr_kernarg_preload_length 0
		.amdhsa_user_sgpr_kernarg_preload_offset 0
		.amdhsa_user_sgpr_private_segment_size 0
		.amdhsa_uses_dynamic_stack 0
		.amdhsa_enable_private_segment 0
		.amdhsa_system_sgpr_workgroup_id_x 1
		.amdhsa_system_sgpr_workgroup_id_y 0
		.amdhsa_system_sgpr_workgroup_id_z 1
		.amdhsa_system_sgpr_workgroup_info 0
		.amdhsa_system_vgpr_workitem_id 1
		.amdhsa_next_free_vgpr 188
		.amdhsa_next_free_sgpr 42
		.amdhsa_accum_offset 188
		.amdhsa_reserve_vcc 1
		.amdhsa_float_round_mode_32 0
		.amdhsa_float_round_mode_16_64 0
		.amdhsa_float_denorm_mode_32 3
		.amdhsa_float_denorm_mode_16_64 3
		.amdhsa_dx10_clamp 1
		.amdhsa_ieee_mode 1
		.amdhsa_fp16_overflow 0
		.amdhsa_tg_split 0
		.amdhsa_exception_fp_ieee_invalid_op 0
		.amdhsa_exception_fp_denorm_src 0
		.amdhsa_exception_fp_ieee_div_zero 0
		.amdhsa_exception_fp_ieee_overflow 0
		.amdhsa_exception_fp_ieee_underflow 0
		.amdhsa_exception_fp_ieee_inexact 0
		.amdhsa_exception_int_div_zero 0
	.end_amdhsa_kernel
	.section	.text._ZL26rocblas_hemvn_kernel_lowerILb0ELi64ELi4ELi33ELi32ELi16ElPK19rocblas_complex_numIdEPKS3_PS1_EviT6_lT7_lT5_lS8_lS9_lS7_lT8_i,"axG",@progbits,_ZL26rocblas_hemvn_kernel_lowerILb0ELi64ELi4ELi33ELi32ELi16ElPK19rocblas_complex_numIdEPKS3_PS1_EviT6_lT7_lT5_lS8_lS9_lS7_lT8_i,comdat
.Lfunc_end192:
	.size	_ZL26rocblas_hemvn_kernel_lowerILb0ELi64ELi4ELi33ELi32ELi16ElPK19rocblas_complex_numIdEPKS3_PS1_EviT6_lT7_lT5_lS8_lS9_lS7_lT8_i, .Lfunc_end192-_ZL26rocblas_hemvn_kernel_lowerILb0ELi64ELi4ELi33ELi32ELi16ElPK19rocblas_complex_numIdEPKS3_PS1_EviT6_lT7_lT5_lS8_lS9_lS7_lT8_i
                                        ; -- End function
	.section	.AMDGPU.csdata,"",@progbits
; Kernel info:
; codeLenInByte = 9008
; NumSgprs: 48
; NumVgprs: 188
; NumAgprs: 0
; TotalNumVgprs: 188
; ScratchSize: 0
; MemoryBound: 0
; FloatMode: 240
; IeeeMode: 1
; LDSByteSize: 19200 bytes/workgroup (compile time only)
; SGPRBlocks: 5
; VGPRBlocks: 23
; NumSGPRsForWavesPerEU: 48
; NumVGPRsForWavesPerEU: 188
; AccumOffset: 188
; Occupancy: 2
; WaveLimiterHint : 1
; COMPUTE_PGM_RSRC2:SCRATCH_EN: 0
; COMPUTE_PGM_RSRC2:USER_SGPR: 2
; COMPUTE_PGM_RSRC2:TRAP_HANDLER: 0
; COMPUTE_PGM_RSRC2:TGID_X_EN: 1
; COMPUTE_PGM_RSRC2:TGID_Y_EN: 0
; COMPUTE_PGM_RSRC2:TGID_Z_EN: 1
; COMPUTE_PGM_RSRC2:TIDIG_COMP_CNT: 1
; COMPUTE_PGM_RSRC3_GFX90A:ACCUM_OFFSET: 46
; COMPUTE_PGM_RSRC3_GFX90A:TG_SPLIT: 0
	.section	.text._ZL26rocblas_hemvn_kernel_lowerILb0ELi64ELi4ELi33ELi32ELi16EiPK19rocblas_complex_numIdEPKS3_PS1_EviT6_lT7_lT5_lS8_lS9_lS7_lT8_i,"axG",@progbits,_ZL26rocblas_hemvn_kernel_lowerILb0ELi64ELi4ELi33ELi32ELi16EiPK19rocblas_complex_numIdEPKS3_PS1_EviT6_lT7_lT5_lS8_lS9_lS7_lT8_i,comdat
	.globl	_ZL26rocblas_hemvn_kernel_lowerILb0ELi64ELi4ELi33ELi32ELi16EiPK19rocblas_complex_numIdEPKS3_PS1_EviT6_lT7_lT5_lS8_lS9_lS7_lT8_i ; -- Begin function _ZL26rocblas_hemvn_kernel_lowerILb0ELi64ELi4ELi33ELi32ELi16EiPK19rocblas_complex_numIdEPKS3_PS1_EviT6_lT7_lT5_lS8_lS9_lS7_lT8_i
	.p2align	8
	.type	_ZL26rocblas_hemvn_kernel_lowerILb0ELi64ELi4ELi33ELi32ELi16EiPK19rocblas_complex_numIdEPKS3_PS1_EviT6_lT7_lT5_lS8_lS9_lS7_lT8_i,@function
_ZL26rocblas_hemvn_kernel_lowerILb0ELi64ELi4ELi33ELi32ELi16EiPK19rocblas_complex_numIdEPKS3_PS1_EviT6_lT7_lT5_lS8_lS9_lS7_lT8_i: ; @_ZL26rocblas_hemvn_kernel_lowerILb0ELi64ELi4ELi33ELi32ELi16EiPK19rocblas_complex_numIdEPKS3_PS1_EviT6_lT7_lT5_lS8_lS9_lS7_lT8_i
; %bb.0:
	s_load_dwordx2 s[4:5], s[0:1], 0x84
	s_add_u32 s12, s0, 0x78
	s_mov_b32 s20, s3
	s_addc_u32 s13, s1, 0
	s_waitcnt lgkmcnt(0)
	s_and_b32 s3, s5, 0xffff
	s_lshr_b32 s5, s4, 16
	s_and_b32 s4, s4, 0xffff
	s_mul_i32 s4, s5, s4
	s_mul_i32 s4, s4, s3
	s_cmpk_lg_i32 s4, 0x100
	s_cbranch_scc1 .LBB193_107
; %bb.1:
	s_load_dwordx8 s[4:11], s[0:1], 0x8
	s_mov_b32 s21, 0
	s_mov_b64 s[16:17], 0
	s_waitcnt lgkmcnt(0)
	s_mul_i32 s3, s20, s7
	s_mul_hi_u32 s7, s20, s6
	s_mul_i32 s6, s20, s6
	s_add_i32 s7, s7, s3
	s_lshl_b64 s[6:7], s[6:7], 4
	s_add_u32 s14, s4, s6
	s_addc_u32 s15, s5, s7
	s_load_dwordx4 s[24:27], s[14:15], 0x0
	s_load_dwordx2 s[22:23], s[0:1], 0x68
	s_load_dwordx4 s[4:7], s[0:1], 0x58
	s_waitcnt lgkmcnt(0)
	v_cmp_neq_f64_e64 s[14:15], s[24:25], 0
	v_cmp_neq_f64_e64 s[18:19], s[26:27], 0
	s_or_b64 s[14:15], s[14:15], s[18:19]
	s_and_b64 vcc, exec, s[14:15]
	s_cbranch_vccnz .LBB193_3
; %bb.2:
	s_mul_i32 s3, s20, s7
	s_mul_hi_u32 s7, s20, s6
	s_add_i32 s7, s7, s3
	s_mul_i32 s6, s20, s6
	s_lshl_b64 s[6:7], s[6:7], 4
	s_add_u32 s4, s4, s6
	s_addc_u32 s5, s5, s7
	s_load_dwordx4 s[16:19], s[4:5], 0x0
	s_mov_b64 s[6:7], 0
	s_waitcnt lgkmcnt(0)
	v_cmp_neq_f64_e64 s[4:5], s[16:17], 1.0
	v_cmp_neq_f64_e64 s[16:17], s[18:19], 0
	s_or_b64 s[16:17], s[4:5], s[16:17]
	s_cbranch_execz .LBB193_4
	s_branch .LBB193_5
.LBB193_3:
	s_mov_b64 s[6:7], -1
.LBB193_4:
	s_lshl_b64 s[4:5], s[20:21], 3
	s_add_u32 s4, s8, s4
	s_addc_u32 s5, s9, s5
	s_load_dwordx2 s[4:5], s[4:5], 0x0
	s_lshl_b64 s[6:7], s[10:11], 4
	s_mov_b64 s[16:17], -1
	s_waitcnt lgkmcnt(0)
	s_add_u32 s6, s4, s6
	s_addc_u32 s7, s5, s7
.LBB193_5:
	s_andn2_b64 vcc, exec, s[16:17]
	s_cbranch_vccnz .LBB193_107
; %bb.6:
	v_cndmask_b32_e64 v1, 0, 1, s[14:15]
	v_cmp_ne_u32_e64 s[4:5], 1, v1
	s_andn2_b64 vcc, exec, s[14:15]
	s_mov_b64 s[8:9], 0
	s_cbranch_vccnz .LBB193_8
; %bb.7:
	s_load_dwordx4 s[8:11], s[0:1], 0x38
	s_lshl_b64 s[14:15], s[20:21], 3
	s_waitcnt lgkmcnt(0)
	s_add_u32 s8, s8, s14
	s_addc_u32 s9, s9, s15
	s_load_dwordx2 s[8:9], s[8:9], 0x0
	s_lshl_b64 s[10:11], s[10:11], 4
	s_waitcnt lgkmcnt(0)
	s_add_u32 s8, s8, s10
	s_addc_u32 s9, s9, s11
.LBB193_8:
	s_and_b64 vcc, exec, s[4:5]
	s_cbranch_vccnz .LBB193_107
; %bb.9:
	s_load_dword s33, s[12:13], 0x0
	s_load_dword s21, s[0:1], 0x0
	;; [unrolled: 1-line block ×3, first 2 shown]
	v_and_b32_e32 v42, 0x3ff, v0
	s_lshl_b32 s28, s2, 6
	v_add_u32_e32 v132, s28, v42
	s_waitcnt lgkmcnt(0)
	s_ashr_i32 s40, s21, 31
	s_lshr_b32 s5, s40, 26
	s_add_i32 s5, s21, s5
	s_andn2_b32 s5, s5, 63
	v_bfe_u32 v133, v0, 10, 10
	s_add_i32 s4, s33, -1
	s_sub_i32 s5, s21, s5
	v_mul_lo_u32 v0, v132, s3
	s_cmp_eq_u32 s2, s4
	v_ashrrev_i32_e32 v1, 31, v0
	s_cselect_b32 s24, s5, 0
	v_lshl_add_u64 v[36:37], v[0:1], 4, s[8:9]
	v_cmp_ne_u32_e64 s[16:17], 0, v133
	v_cmp_eq_u32_e64 s[18:19], 0, v133
	s_and_saveexec_b64 s[4:5], s[18:19]
	s_cbranch_execz .LBB193_14
; %bb.10:
	s_cmp_lg_u32 s24, 0
	s_cselect_b64 s[8:9], -1, 0
	v_cmp_le_i32_e32 vcc, s24, v42
	v_mov_b32_e32 v0, 0x4700
	s_and_b64 s[8:9], s[8:9], vcc
	v_lshl_add_u32 v0, v42, 4, v0
	s_and_saveexec_b64 s[10:11], s[8:9]
	s_xor_b64 s[8:9], exec, s[10:11]
	s_cbranch_execz .LBB193_12
; %bb.11:
	v_mov_b32_e32 v2, 0
	v_mov_b32_e32 v3, v2
	;; [unrolled: 1-line block ×4, first 2 shown]
	ds_write_b128 v0, v[2:5]
                                        ; implicit-def: $vgpr0
.LBB193_12:
	s_andn2_saveexec_b64 s[8:9], s[8:9]
	s_cbranch_execz .LBB193_14
; %bb.13:
	flat_load_dwordx4 v[2:5], v[36:37]
	s_waitcnt vmcnt(0) lgkmcnt(0)
	ds_write2_b64 v0, v[2:3], v[4:5] offset1:1
.LBB193_14:
	s_or_b64 exec, exec, s[4:5]
	s_load_dword s26, s[0:1], 0x28
	s_ashr_i32 s29, s28, 31
	v_lshl_add_u32 v43, v133, 6, v42
	s_lshl_b64 s[0:1], s[28:29], 4
	v_and_b32_e32 v4, 31, v42
	v_lshrrev_b32_e32 v5, 5, v43
	s_add_u32 s4, s6, s0
	s_addc_u32 s5, s7, s1
	s_waitcnt lgkmcnt(0)
	v_mad_u64_u32 v[38:39], s[0:1], v5, s26, v[4:5]
	s_mul_i32 s0, s28, s26
	s_ashr_i32 s1, s0, 31
	s_lshl_b64 s[30:31], s[0:1], 4
	s_add_u32 s0, s30, s4
	s_addc_u32 s1, s31, s5
	s_cmp_lg_u32 s24, 0
	v_ashrrev_i32_e32 v39, 31, v38
	s_cselect_b64 s[34:35], -1, 0
	s_cmp_eq_u32 s24, 0
	v_lshl_add_u64 v[6:7], v[38:39], 4, s[0:1]
	s_cselect_b64 s[36:37], -1, 0
	s_and_b64 vcc, exec, s[34:35]
	s_cbranch_vccnz .LBB193_16
; %bb.15:
	flat_load_dwordx4 v[0:3], v[6:7]
	v_mul_u32_u24_e32 v8, 33, v5
	s_lshl_b32 s0, s26, 3
	v_add_lshl_u32 v10, v8, v4, 4
	s_ashr_i32 s1, s0, 31
	v_lshl_add_u64 v[8:9], s[0:1], 4, v[6:7]
	s_ashr_i32 s27, s26, 31
	s_lshl_b64 s[0:1], s[26:27], 7
	v_add_u32_e32 v11, 0x1080, v10
	s_waitcnt vmcnt(0) lgkmcnt(0)
	ds_write2_b64 v10, v[0:1], v[2:3] offset1:1
	flat_load_dwordx4 v[0:3], v[8:9]
	v_lshl_add_u64 v[8:9], v[8:9], 0, s[0:1]
	s_waitcnt vmcnt(0) lgkmcnt(0)
	ds_write2_b64 v11, v[0:1], v[2:3] offset1:1
	flat_load_dwordx4 v[0:3], v[8:9]
	v_add_u32_e32 v11, 0x2100, v10
	v_lshl_add_u64 v[8:9], v[8:9], 0, s[0:1]
	s_waitcnt vmcnt(0) lgkmcnt(0)
	ds_write2_b64 v11, v[0:1], v[2:3] offset1:1
	flat_load_dwordx4 v[0:3], v[8:9]
	v_add_u32_e32 v8, 0x3180, v10
	s_waitcnt vmcnt(0) lgkmcnt(0)
	ds_write2_b64 v8, v[0:1], v[2:3] offset1:1
	s_cbranch_execz .LBB193_17
	s_branch .LBB193_34
.LBB193_16:
.LBB193_17:
	v_lshlrev_b32_e32 v0, 4, v4
	v_sub_co_u32_e32 v2, vcc, v6, v0
	s_ashr_i32 s25, s24, 31
	s_nop 0
	v_subbrev_co_u32_e32 v3, vcc, 0, v7, vcc
	v_lshl_add_u64 v[2:3], s[24:25], 4, v[2:3]
	v_lshl_add_u64 v[2:3], v[2:3], 0, -16
	v_cmp_gt_i32_e32 vcc, s24, v4
	v_mul_u32_u24_e32 v1, 33, v5
	v_cmp_le_i32_e64 s[0:1], s24, v5
	v_cndmask_b32_e32 v3, v3, v7, vcc
	v_cndmask_b32_e32 v2, v2, v6, vcc
	v_add_lshl_u32 v1, v1, v4, 4
	s_and_saveexec_b64 s[4:5], s[0:1]
	s_xor_b64 s[0:1], exec, s[4:5]
	s_cbranch_execz .LBB193_19
; %bb.18:
	v_mov_b32_e32 v8, 0
	v_mov_b32_e32 v9, v8
	;; [unrolled: 1-line block ×4, first 2 shown]
	ds_write_b128 v1, v[8:11]
.LBB193_19:
	s_andn2_saveexec_b64 s[0:1], s[0:1]
	s_cbranch_execz .LBB193_21
; %bb.20:
	flat_load_dwordx4 v[8:11], v[2:3]
	s_waitcnt vmcnt(0) lgkmcnt(0)
	ds_write2_b64 v1, v[8:9], v[10:11] offset1:1
.LBB193_21:
	s_or_b64 exec, exec, s[0:1]
	v_add_u32_e32 v8, 8, v5
	v_cmp_le_i32_e64 s[0:1], s24, v8
	s_and_saveexec_b64 s[4:5], s[0:1]
	s_xor_b64 s[0:1], exec, s[4:5]
	s_cbranch_execz .LBB193_23
; %bb.22:
	v_mul_u32_u24_e32 v8, 33, v8
	v_add_lshl_u32 v12, v8, v4, 4
	v_mov_b32_e32 v8, 0
	v_mov_b32_e32 v9, v8
	v_mov_b32_e32 v10, v8
	v_mov_b32_e32 v11, v8
	ds_write_b128 v12, v[8:11]
.LBB193_23:
	s_andn2_saveexec_b64 s[0:1], s[0:1]
	s_cbranch_execz .LBB193_25
; %bb.24:
	s_lshl_b32 s4, s26, 3
	s_ashr_i32 s5, s4, 31
	v_lshl_add_u64 v[8:9], s[4:5], 4, v[2:3]
	flat_load_dwordx4 v[8:11], v[8:9]
	v_add_u32_e32 v12, 0x1080, v1
	s_waitcnt vmcnt(0) lgkmcnt(0)
	ds_write2_b64 v12, v[8:9], v[10:11] offset1:1
.LBB193_25:
	s_or_b64 exec, exec, s[0:1]
	v_add_u32_e32 v8, 16, v5
	v_cmp_le_i32_e64 s[0:1], s24, v8
	s_and_saveexec_b64 s[4:5], s[0:1]
	s_xor_b64 s[0:1], exec, s[4:5]
	s_cbranch_execz .LBB193_27
; %bb.26:
	v_mul_u32_u24_e32 v8, 33, v8
	v_add_lshl_u32 v12, v8, v4, 4
	v_mov_b32_e32 v8, 0
	v_mov_b32_e32 v9, v8
	;; [unrolled: 1-line block ×4, first 2 shown]
	ds_write_b128 v12, v[8:11]
.LBB193_27:
	s_andn2_saveexec_b64 s[0:1], s[0:1]
	s_cbranch_execz .LBB193_29
; %bb.28:
	s_lshl_b32 s4, s26, 4
	s_ashr_i32 s5, s4, 31
	v_lshl_add_u64 v[8:9], s[4:5], 4, v[2:3]
	flat_load_dwordx4 v[8:11], v[8:9]
	v_add_u32_e32 v12, 0x2100, v1
	s_waitcnt vmcnt(0) lgkmcnt(0)
	ds_write2_b64 v12, v[8:9], v[10:11] offset1:1
.LBB193_29:
	s_or_b64 exec, exec, s[0:1]
	v_add_u32_e32 v8, 24, v5
	v_cmp_le_i32_e64 s[0:1], s24, v8
	s_and_saveexec_b64 s[4:5], s[0:1]
	s_xor_b64 s[0:1], exec, s[4:5]
	s_cbranch_execz .LBB193_31
; %bb.30:
	v_mov_b32_e32 v8, 0
	v_mov_b32_e32 v9, v8
	;; [unrolled: 1-line block ×4, first 2 shown]
	ds_write_b128 v1, v[8:11] offset:12672
                                        ; implicit-def: $vgpr1
.LBB193_31:
	s_andn2_saveexec_b64 s[0:1], s[0:1]
	s_cbranch_execz .LBB193_33
; %bb.32:
	s_mul_i32 s4, s26, 24
	s_ashr_i32 s5, s4, 31
	v_lshl_add_u64 v[8:9], s[4:5], 4, v[2:3]
	flat_load_dwordx4 v[8:11], v[8:9]
	v_add_u32_e32 v1, 0x3180, v1
	s_waitcnt vmcnt(0) lgkmcnt(0)
	ds_write2_b64 v1, v[8:9], v[10:11] offset1:1
.LBB193_33:
	s_or_b64 exec, exec, s[0:1]
	v_mov_b32_e32 v1, 0
	v_lshl_add_u64 v[0:1], v[2:3], 0, v[0:1]
	s_lshl_b64 s[0:1], s[24:25], 4
	v_mov_b32_e32 v2, s1
	v_subrev_co_u32_e64 v0, s[0:1], s0, v0
	s_nop 1
	v_subb_co_u32_e64 v1, s[0:1], v1, v2, s[0:1]
	v_lshl_add_u64 v[0:1], v[0:1], 0, 16
	v_cndmask_b32_e32 v7, v1, v7, vcc
	v_cndmask_b32_e32 v6, v0, v6, vcc
.LBB193_34:
	v_lshlrev_b32_e32 v0, 2, v5
	v_mul_u32_u24_e32 v44, 33, v4
	v_cmp_lt_u32_e64 s[6:7], v0, v4
	v_add_lshl_u32 v10, v0, v44, 4
	s_waitcnt lgkmcnt(0)
	s_barrier
	s_and_saveexec_b64 s[0:1], s[6:7]
	s_cbranch_execz .LBB193_36
; %bb.35:
	v_mul_u32_u24_e32 v1, 0x84, v5
	v_add_lshl_u32 v1, v1, v4, 4
	ds_read_b128 v[12:15], v1
	s_waitcnt lgkmcnt(0)
	ds_write_b128 v10, v[12:15]
.LBB193_36:
	s_or_b64 exec, exec, s[0:1]
	v_or_b32_e32 v1, 1, v0
	v_cmp_lt_u32_e64 s[8:9], v1, v4
	s_and_saveexec_b64 s[0:1], s[8:9]
	s_cbranch_execz .LBB193_38
; %bb.37:
	v_mul_u32_u24_e32 v1, 33, v1
	v_add_lshl_u32 v1, v1, v4, 4
	ds_read_b128 v[12:15], v1
	s_waitcnt lgkmcnt(0)
	ds_write_b128 v10, v[12:15] offset:16
.LBB193_38:
	s_or_b64 exec, exec, s[0:1]
	v_or_b32_e32 v1, 2, v0
	v_cmp_lt_u32_e64 s[10:11], v1, v4
	s_and_saveexec_b64 s[0:1], s[10:11]
	s_cbranch_execz .LBB193_40
; %bb.39:
	v_mul_u32_u24_e32 v1, 33, v1
	v_add_lshl_u32 v1, v1, v4, 4
	ds_read_b128 v[12:15], v1
	s_waitcnt lgkmcnt(0)
	ds_write_b128 v10, v[12:15] offset:32
.LBB193_40:
	s_or_b64 exec, exec, s[0:1]
	v_or_b32_e32 v1, 3, v0
	v_cmp_lt_u32_e64 s[12:13], v1, v4
	v_mad_u32_u24 v1, v1, 33, v4
	v_lshlrev_b32_e32 v11, 4, v1
	s_and_saveexec_b64 s[0:1], s[12:13]
	s_cbranch_execz .LBB193_42
; %bb.41:
	ds_read_b128 v[12:15], v11
	s_waitcnt lgkmcnt(0)
	ds_write_b128 v10, v[12:15] offset:48
.LBB193_42:
	s_or_b64 exec, exec, s[0:1]
	v_mul_u32_u24_e32 v1, 0x84, v5
	v_lshlrev_b32_e32 v14, 4, v0
	s_waitcnt lgkmcnt(0)
	s_barrier
	v_add_lshl_u32 v13, v1, v4, 4
	ds_read_b128 v[0:3], v14 offset:18176
	ds_read_b128 v[16:19], v13
	ds_read_b128 v[20:23], v14 offset:18192
	ds_read_b128 v[24:27], v14 offset:18208
	v_add_u32_e32 v12, 0xfffffbe0, v11
	ds_read_b128 v[28:31], v12
	ds_read_b128 v[32:35], v12 offset:528
	s_waitcnt lgkmcnt(4)
	v_mul_f64 v[8:9], v[2:3], v[18:19]
	v_fma_f64 v[8:9], v[0:1], v[16:17], -v[8:9]
	v_mul_f64 v[0:1], v[0:1], v[18:19]
	v_fmac_f64_e32 v[0:1], v[2:3], v[16:17]
	s_waitcnt lgkmcnt(1)
	v_mul_f64 v[16:17], v[20:21], v[30:31]
	v_add_f64 v[2:3], v[8:9], 0
	v_add_f64 v[0:1], v[0:1], 0
	v_mul_f64 v[8:9], v[22:23], v[30:31]
	v_fmac_f64_e32 v[16:17], v[22:23], v[28:29]
	v_fma_f64 v[8:9], v[20:21], v[28:29], -v[8:9]
	v_add_f64 v[20:21], v[0:1], v[16:17]
	s_waitcnt lgkmcnt(0)
	v_mul_f64 v[0:1], v[26:27], v[34:35]
	v_add_f64 v[8:9], v[2:3], v[8:9]
	v_fma_f64 v[22:23], v[24:25], v[32:33], -v[0:1]
	ds_read_b128 v[0:3], v14 offset:18224
	ds_read_b128 v[16:19], v11
	v_mul_f64 v[24:25], v[24:25], v[34:35]
	v_fmac_f64_e32 v[24:25], v[26:27], v[32:33]
	v_add_f64 v[8:9], v[8:9], v[22:23]
	v_add_f64 v[20:21], v[20:21], v[24:25]
	s_waitcnt lgkmcnt(0)
	v_mul_f64 v[22:23], v[2:3], v[18:19]
	v_mul_f64 v[18:19], v[0:1], v[18:19]
	v_fma_f64 v[22:23], v[0:1], v[16:17], -v[22:23]
	v_fmac_f64_e32 v[18:19], v[2:3], v[16:17]
	v_add_f64 v[0:1], v[8:9], v[22:23]
	v_add_f64 v[2:3], v[20:21], v[18:19]
	v_add_lshl_u32 v45, v5, v44, 4
	s_barrier
	ds_write_b128 v45, v[0:3]
	v_mov_b64_e32 v[0:1], 0
	v_cmp_gt_u32_e64 s[4:5], 32, v43
	v_mov_b64_e32 v[2:3], v[0:1]
	s_waitcnt lgkmcnt(0)
	s_barrier
	s_and_saveexec_b64 s[0:1], s[4:5]
	s_cbranch_execz .LBB193_44
; %bb.43:
	v_lshlrev_b32_e32 v15, 4, v44
	ds_read_b128 v[0:3], v15
	ds_read_b128 v[16:19], v15 offset:16
	ds_read_b128 v[20:23], v15 offset:32
	;; [unrolled: 1-line block ×3, first 2 shown]
	s_waitcnt lgkmcnt(2)
	v_add_f64 v[0:1], v[16:17], v[0:1]
	v_add_f64 v[8:9], v[18:19], v[2:3]
	s_waitcnt lgkmcnt(1)
	v_add_f64 v[16:17], v[0:1], v[20:21]
	ds_read_b128 v[0:3], v15 offset:64
	v_add_f64 v[8:9], v[8:9], v[22:23]
	s_waitcnt lgkmcnt(1)
	v_add_f64 v[20:21], v[16:17], v[24:25]
	ds_read_b128 v[16:19], v15 offset:80
	;; [unrolled: 4-line block ×3, first 2 shown]
	v_add_f64 v[8:9], v[8:9], v[2:3]
	ds_read_b128 v[0:3], v15 offset:112
	s_waitcnt lgkmcnt(2)
	v_add_f64 v[16:17], v[24:25], v[16:17]
	v_add_f64 v[8:9], v[8:9], v[18:19]
	s_waitcnt lgkmcnt(1)
	v_add_f64 v[16:17], v[16:17], v[20:21]
	v_add_f64 v[8:9], v[8:9], v[22:23]
	s_waitcnt lgkmcnt(0)
	v_add_f64 v[0:1], v[16:17], v[0:1]
	v_add_f64 v[2:3], v[8:9], v[2:3]
.LBB193_44:
	s_or_b64 exec, exec, s[0:1]
	s_lshl_b32 s38, s26, 5
	s_ashr_i32 s39, s38, 31
	v_lshl_add_u64 v[8:9], s[38:39], 4, v[6:7]
	s_mov_b64 s[0:1], 0x200
	v_cndmask_b32_e64 v6, 0, 1, s[36:37]
	v_cmp_ne_u32_e64 s[14:15], 1, v6
	s_andn2_b64 vcc, exec, s[36:37]
	v_lshl_add_u64 v[6:7], v[8:9], 0, s[0:1]
	s_barrier
	s_cbranch_vccnz .LBB193_46
; %bb.45:
	flat_load_dwordx4 v[16:19], v[6:7]
	v_mul_u32_u24_e32 v15, 33, v5
	s_lshl_b32 s0, s26, 3
	v_add_lshl_u32 v15, v15, v4, 4
	s_ashr_i32 s1, s0, 31
	v_lshl_add_u64 v[8:9], s[0:1], 4, v[8:9]
	s_ashr_i32 s27, s26, 31
	s_lshl_b64 s[0:1], s[26:27], 7
	v_add_u32_e32 v20, 0x1080, v15
	s_waitcnt vmcnt(0) lgkmcnt(0)
	ds_write2_b64 v15, v[16:17], v[18:19] offset1:1
	flat_load_dwordx4 v[16:19], v[8:9] offset:512
	v_lshl_add_u64 v[8:9], v[8:9], 0, s[0:1]
	s_waitcnt vmcnt(0) lgkmcnt(0)
	ds_write2_b64 v20, v[16:17], v[18:19] offset1:1
	flat_load_dwordx4 v[16:19], v[8:9] offset:512
	v_add_u32_e32 v20, 0x2100, v15
	v_lshl_add_u64 v[8:9], v[8:9], 0, s[0:1]
	s_waitcnt vmcnt(0) lgkmcnt(0)
	ds_write2_b64 v20, v[16:17], v[18:19] offset1:1
	flat_load_dwordx4 v[16:19], v[8:9] offset:512
	v_add_u32_e32 v8, 0x3180, v15
	s_waitcnt vmcnt(0) lgkmcnt(0)
	ds_write2_b64 v8, v[16:17], v[18:19] offset1:1
	s_cbranch_execz .LBB193_47
	s_branch .LBB193_64
.LBB193_46:
.LBB193_47:
	v_or_b32_e32 v15, 32, v4
	v_lshlrev_b32_e32 v8, 4, v15
	v_sub_co_u32_e32 v8, vcc, v6, v8
	s_ashr_i32 s25, s24, 31
	s_nop 0
	v_subbrev_co_u32_e32 v9, vcc, 0, v7, vcc
	v_lshl_add_u64 v[8:9], s[24:25], 4, v[8:9]
	v_lshl_add_u64 v[8:9], v[8:9], 0, -16
	v_cmp_gt_i32_e32 vcc, s24, v15
	s_sub_i32 s27, s24, 32
	v_mul_u32_u24_e32 v15, 33, v5
	v_cndmask_b32_e32 v9, v9, v7, vcc
	v_cndmask_b32_e32 v8, v8, v6, vcc
	v_cmp_le_i32_e64 s[0:1], s27, v5
	v_add_lshl_u32 v15, v15, v4, 4
	s_and_saveexec_b64 s[36:37], s[0:1]
	s_xor_b64 s[0:1], exec, s[36:37]
	s_cbranch_execz .LBB193_49
; %bb.48:
	v_mov_b32_e32 v16, 0
	v_mov_b32_e32 v17, v16
	v_mov_b32_e32 v18, v16
	v_mov_b32_e32 v19, v16
	ds_write_b128 v15, v[16:19]
.LBB193_49:
	s_andn2_saveexec_b64 s[0:1], s[0:1]
	s_cbranch_execz .LBB193_51
; %bb.50:
	flat_load_dwordx4 v[16:19], v[8:9]
	s_waitcnt vmcnt(0) lgkmcnt(0)
	ds_write2_b64 v15, v[16:17], v[18:19] offset1:1
.LBB193_51:
	s_or_b64 exec, exec, s[0:1]
	v_add_u32_e32 v16, 8, v5
	v_cmp_le_i32_e64 s[0:1], s27, v16
	s_and_saveexec_b64 s[36:37], s[0:1]
	s_xor_b64 s[0:1], exec, s[36:37]
	s_cbranch_execz .LBB193_53
; %bb.52:
	v_mul_u32_u24_e32 v16, 33, v16
	v_add_lshl_u32 v20, v16, v4, 4
	v_mov_b32_e32 v16, 0
	v_mov_b32_e32 v17, v16
	;; [unrolled: 1-line block ×4, first 2 shown]
	ds_write_b128 v20, v[16:19]
.LBB193_53:
	s_andn2_saveexec_b64 s[0:1], s[0:1]
	s_cbranch_execz .LBB193_55
; %bb.54:
	s_lshl_b32 s36, s26, 3
	s_ashr_i32 s37, s36, 31
	v_lshl_add_u64 v[16:17], s[36:37], 4, v[8:9]
	flat_load_dwordx4 v[16:19], v[16:17]
	v_add_u32_e32 v20, 0x1080, v15
	s_waitcnt vmcnt(0) lgkmcnt(0)
	ds_write2_b64 v20, v[16:17], v[18:19] offset1:1
.LBB193_55:
	s_or_b64 exec, exec, s[0:1]
	v_add_u32_e32 v16, 16, v5
	v_cmp_le_i32_e64 s[0:1], s27, v16
	s_and_saveexec_b64 s[36:37], s[0:1]
	s_xor_b64 s[0:1], exec, s[36:37]
	s_cbranch_execz .LBB193_57
; %bb.56:
	v_mul_u32_u24_e32 v16, 33, v16
	v_add_lshl_u32 v20, v16, v4, 4
	v_mov_b32_e32 v16, 0
	v_mov_b32_e32 v17, v16
	;; [unrolled: 1-line block ×4, first 2 shown]
	ds_write_b128 v20, v[16:19]
.LBB193_57:
	s_andn2_saveexec_b64 s[0:1], s[0:1]
	s_cbranch_execz .LBB193_59
; %bb.58:
	s_lshl_b32 s36, s26, 4
	s_ashr_i32 s37, s36, 31
	v_lshl_add_u64 v[16:17], s[36:37], 4, v[8:9]
	flat_load_dwordx4 v[16:19], v[16:17]
	v_add_u32_e32 v20, 0x2100, v15
	s_waitcnt vmcnt(0) lgkmcnt(0)
	ds_write2_b64 v20, v[16:17], v[18:19] offset1:1
.LBB193_59:
	s_or_b64 exec, exec, s[0:1]
	v_add_u32_e32 v16, 24, v5
	v_cmp_le_i32_e64 s[0:1], s27, v16
	s_and_saveexec_b64 s[36:37], s[0:1]
	s_xor_b64 s[0:1], exec, s[36:37]
	s_cbranch_execz .LBB193_61
; %bb.60:
	v_mov_b32_e32 v16, 0
	v_mov_b32_e32 v17, v16
	;; [unrolled: 1-line block ×4, first 2 shown]
	ds_write_b128 v15, v[16:19] offset:12672
                                        ; implicit-def: $vgpr15
.LBB193_61:
	s_andn2_saveexec_b64 s[0:1], s[0:1]
	s_cbranch_execz .LBB193_63
; %bb.62:
	s_mul_i32 s36, s26, 24
	s_ashr_i32 s37, s36, 31
	v_lshl_add_u64 v[16:17], s[36:37], 4, v[8:9]
	flat_load_dwordx4 v[16:19], v[16:17]
	v_add_u32_e32 v15, 0x3180, v15
	s_waitcnt vmcnt(0) lgkmcnt(0)
	ds_write2_b64 v15, v[16:17], v[18:19] offset1:1
.LBB193_63:
	s_or_b64 exec, exec, s[0:1]
	v_lshlrev_b32_e32 v16, 4, v4
	v_mov_b32_e32 v17, 0
	v_lshl_add_u64 v[8:9], v[8:9], 0, v[16:17]
	s_lshl_b64 s[0:1], s[24:25], 4
	v_mov_b32_e32 v15, s1
	v_subrev_co_u32_e64 v8, s[0:1], s0, v8
	s_nop 1
	v_subb_co_u32_e64 v9, s[0:1], v9, v15, s[0:1]
	s_mov_b64 s[0:1], 0x210
	s_nop 0
	v_lshl_add_u64 v[8:9], v[8:9], 0, s[0:1]
	v_cndmask_b32_e32 v7, v9, v7, vcc
	v_cndmask_b32_e32 v6, v8, v6, vcc
.LBB193_64:
	v_add_u32_e32 v8, 0x4700, v14
	v_add_u32_e32 v9, 0x210, v12
	s_waitcnt lgkmcnt(0)
	s_barrier
	s_and_saveexec_b64 s[0:1], s[6:7]
	s_cbranch_execnz .LBB193_73
; %bb.65:
	s_or_b64 exec, exec, s[0:1]
	s_and_saveexec_b64 s[0:1], s[8:9]
	s_cbranch_execnz .LBB193_74
.LBB193_66:
	s_or_b64 exec, exec, s[0:1]
	s_and_saveexec_b64 s[0:1], s[10:11]
	s_cbranch_execnz .LBB193_75
.LBB193_67:
	s_or_b64 exec, exec, s[0:1]
	s_and_saveexec_b64 s[0:1], s[12:13]
	s_cbranch_execz .LBB193_69
.LBB193_68:
	ds_read_b128 v[14:17], v11
	s_waitcnt lgkmcnt(0)
	ds_write_b128 v10, v[14:17] offset:48
.LBB193_69:
	s_or_b64 exec, exec, s[0:1]
	s_waitcnt lgkmcnt(0)
	s_barrier
	ds_read_b128 v[14:17], v8 offset:512
	ds_read_b128 v[18:21], v13
	ds_read_b128 v[22:25], v8 offset:528
	ds_read_b128 v[26:29], v8 offset:544
	v_cmp_eq_u32_e64 s[6:7], 1, v5
	s_waitcnt lgkmcnt(2)
	v_mul_f64 v[30:31], v[16:17], v[20:21]
	v_fma_f64 v[34:35], v[14:15], v[18:19], -v[30:31]
	ds_read_b128 v[30:33], v8 offset:560
	ds_read_b128 v[46:49], v12
	v_mul_f64 v[14:15], v[14:15], v[20:21]
	v_fmac_f64_e32 v[14:15], v[16:17], v[18:19]
	v_add_f64 v[18:19], v[14:15], 0
	v_add_f64 v[16:17], v[34:35], 0
	s_waitcnt lgkmcnt(0)
	v_mul_f64 v[14:15], v[24:25], v[48:49]
	v_fma_f64 v[20:21], v[22:23], v[46:47], -v[14:15]
	v_mul_f64 v[22:23], v[22:23], v[48:49]
	ds_read_b128 v[12:15], v12 offset:528
	v_fmac_f64_e32 v[22:23], v[24:25], v[46:47]
	v_add_f64 v[20:21], v[16:17], v[20:21]
	v_add_f64 v[22:23], v[18:19], v[22:23]
	ds_read_b128 v[16:19], v11
	s_waitcnt lgkmcnt(1)
	v_mul_f64 v[24:25], v[28:29], v[14:15]
	v_fma_f64 v[24:25], v[26:27], v[12:13], -v[24:25]
	v_mul_f64 v[14:15], v[26:27], v[14:15]
	v_fmac_f64_e32 v[14:15], v[28:29], v[12:13]
	v_add_f64 v[12:13], v[20:21], v[24:25]
	s_waitcnt lgkmcnt(0)
	v_mul_f64 v[20:21], v[32:33], v[18:19]
	v_mul_f64 v[18:19], v[30:31], v[18:19]
	v_add_f64 v[14:15], v[22:23], v[14:15]
	v_fma_f64 v[20:21], v[30:31], v[16:17], -v[20:21]
	v_fmac_f64_e32 v[18:19], v[32:33], v[16:17]
	v_add_f64 v[12:13], v[12:13], v[20:21]
	v_add_f64 v[14:15], v[14:15], v[18:19]
	s_barrier
	ds_write_b128 v45, v[12:15]
	s_waitcnt lgkmcnt(0)
	s_barrier
	s_and_saveexec_b64 s[0:1], s[6:7]
	s_cbranch_execz .LBB193_71
; %bb.70:
	v_lshlrev_b32_e32 v9, 4, v44
	ds_read_b128 v[0:3], v9
	ds_read_b128 v[12:15], v9 offset:16
	ds_read_b128 v[16:19], v9 offset:32
	;; [unrolled: 1-line block ×3, first 2 shown]
	s_waitcnt lgkmcnt(2)
	v_add_f64 v[0:1], v[12:13], v[0:1]
	v_add_f64 v[12:13], v[14:15], v[2:3]
	s_waitcnt lgkmcnt(1)
	v_add_f64 v[14:15], v[0:1], v[16:17]
	ds_read_b128 v[0:3], v9 offset:64
	v_add_f64 v[12:13], v[12:13], v[18:19]
	s_waitcnt lgkmcnt(1)
	v_add_f64 v[16:17], v[14:15], v[20:21]
	v_add_f64 v[20:21], v[12:13], v[22:23]
	ds_read_b128 v[12:15], v9 offset:80
	s_waitcnt lgkmcnt(1)
	v_add_f64 v[22:23], v[16:17], v[0:1]
	ds_read_b128 v[16:19], v9 offset:96
	v_add_f64 v[20:21], v[20:21], v[2:3]
	ds_read_b128 v[0:3], v9 offset:112
	s_waitcnt lgkmcnt(2)
	v_add_f64 v[12:13], v[22:23], v[12:13]
	v_add_f64 v[14:15], v[20:21], v[14:15]
	s_waitcnt lgkmcnt(1)
	v_add_f64 v[12:13], v[12:13], v[16:17]
	v_add_f64 v[14:15], v[14:15], v[18:19]
	;; [unrolled: 3-line block ×3, first 2 shown]
.LBB193_71:
	s_or_b64 exec, exec, s[0:1]
	s_lshl_b64 s[0:1], s[38:39], 4
	v_mov_b32_e32 v9, s1
	v_subrev_co_u32_e64 v40, s[0:1], s0, v6
	s_and_b64 vcc, exec, s[14:15]
	s_nop 0
	v_subb_co_u32_e64 v41, s[0:1], v7, v9, s[0:1]
	s_barrier
	s_cbranch_vccnz .LBB193_76
; %bb.72:
	flat_load_dwordx4 v[12:15], v[40:41]
	v_mad_u32_u24 v9, v5, 33, v4
	s_lshl_b32 s0, s26, 3
	v_lshlrev_b32_e32 v20, 4, v9
	s_ashr_i32 s1, s0, 31
	v_lshl_add_u64 v[6:7], s[0:1], 4, v[40:41]
	s_ashr_i32 s27, s26, 31
	s_lshl_b64 s[0:1], s[26:27], 7
	v_add_u32_e32 v11, 0x1080, v20
	s_waitcnt vmcnt(0) lgkmcnt(0)
	ds_write2_b64 v20, v[12:13], v[14:15] offset1:1
	flat_load_dwordx4 v[12:15], v[6:7]
	v_lshl_add_u64 v[6:7], v[6:7], 0, s[0:1]
	s_waitcnt vmcnt(0) lgkmcnt(0)
	ds_write2_b64 v11, v[12:13], v[14:15] offset1:1
	flat_load_dwordx4 v[12:15], v[6:7]
	v_add_u32_e32 v11, 0x2100, v20
	v_lshl_add_u64 v[6:7], v[6:7], 0, s[0:1]
	s_waitcnt vmcnt(0) lgkmcnt(0)
	ds_write2_b64 v11, v[12:13], v[14:15] offset1:1
	flat_load_dwordx4 v[16:19], v[6:7]
	v_add_u32_e32 v11, 8, v5
	v_add_u32_e32 v12, 16, v5
	;; [unrolled: 1-line block ×7, first 2 shown]
	s_waitcnt vmcnt(0) lgkmcnt(0)
	ds_write2_b64 v15, v[16:17], v[18:19] offset1:1
	s_cbranch_execz .LBB193_77
	s_branch .LBB193_94
.LBB193_73:
	ds_read_b128 v[14:17], v13
	s_waitcnt lgkmcnt(0)
	ds_write_b128 v10, v[14:17]
	s_or_b64 exec, exec, s[0:1]
	s_and_saveexec_b64 s[0:1], s[8:9]
	s_cbranch_execz .LBB193_66
.LBB193_74:
	ds_read_b128 v[14:17], v12
	s_waitcnt lgkmcnt(0)
	ds_write_b128 v10, v[14:17] offset:16
	s_or_b64 exec, exec, s[0:1]
	s_and_saveexec_b64 s[0:1], s[10:11]
	s_cbranch_execz .LBB193_67
.LBB193_75:
	ds_read_b128 v[14:17], v9
	s_waitcnt lgkmcnt(0)
	ds_write_b128 v10, v[14:17] offset:32
	s_or_b64 exec, exec, s[0:1]
	s_and_saveexec_b64 s[0:1], s[12:13]
	s_cbranch_execnz .LBB193_68
	s_branch .LBB193_69
.LBB193_76:
                                        ; implicit-def: $vgpr9
                                        ; implicit-def: $vgpr11
                                        ; implicit-def: $vgpr7
                                        ; implicit-def: $vgpr12
                                        ; implicit-def: $vgpr6
                                        ; implicit-def: $vgpr13
                                        ; implicit-def: $vgpr14
.LBB193_77:
	v_or_b32_e32 v9, 32, v4
	v_lshlrev_b32_e32 v6, 4, v9
	v_sub_co_u32_e32 v6, vcc, v40, v6
	s_ashr_i32 s25, s24, 31
	s_nop 0
	v_subbrev_co_u32_e32 v7, vcc, 0, v41, vcc
	v_lshl_add_u64 v[6:7], s[24:25], 4, v[6:7]
	v_lshl_add_u64 v[6:7], v[6:7], 0, -16
	v_cmp_gt_i32_e32 vcc, s24, v9
	v_mad_u32_u24 v9, v5, 33, v4
	v_cmp_le_i32_e64 s[0:1], s24, v5
	v_cndmask_b32_e32 v7, v7, v41, vcc
	v_cndmask_b32_e32 v6, v6, v40, vcc
	v_lshlrev_b32_e32 v15, 4, v9
	s_and_saveexec_b64 s[8:9], s[0:1]
	s_xor_b64 s[0:1], exec, s[8:9]
	s_cbranch_execz .LBB193_79
; %bb.78:
	v_mov_b32_e32 v16, 0
	v_mov_b32_e32 v17, v16
	;; [unrolled: 1-line block ×4, first 2 shown]
	ds_write_b128 v15, v[16:19]
.LBB193_79:
	s_andn2_saveexec_b64 s[0:1], s[0:1]
	s_cbranch_execz .LBB193_81
; %bb.80:
	flat_load_dwordx4 v[16:19], v[6:7]
	s_waitcnt vmcnt(0) lgkmcnt(0)
	ds_write2_b64 v15, v[16:17], v[18:19] offset1:1
.LBB193_81:
	s_or_b64 exec, exec, s[0:1]
	v_add_u32_e32 v11, 8, v5
	v_cmp_le_i32_e64 s[0:1], s24, v11
	s_and_saveexec_b64 s[8:9], s[0:1]
	s_xor_b64 s[0:1], exec, s[8:9]
	s_cbranch_execz .LBB193_83
; %bb.82:
	v_mul_u32_u24_e32 v12, 33, v11
	v_mov_b32_e32 v16, 0
	v_add_lshl_u32 v12, v12, v4, 4
	v_mov_b32_e32 v17, v16
	v_mov_b32_e32 v18, v16
	;; [unrolled: 1-line block ×3, first 2 shown]
	ds_write_b128 v12, v[16:19]
.LBB193_83:
	s_andn2_saveexec_b64 s[0:1], s[0:1]
	s_cbranch_execz .LBB193_85
; %bb.84:
	s_lshl_b32 s8, s26, 3
	s_ashr_i32 s9, s8, 31
	v_lshl_add_u64 v[12:13], s[8:9], 4, v[6:7]
	flat_load_dwordx4 v[16:19], v[12:13]
	v_add_u32_e32 v12, 0x1080, v15
	s_waitcnt vmcnt(0) lgkmcnt(0)
	ds_write2_b64 v12, v[16:17], v[18:19] offset1:1
.LBB193_85:
	s_or_b64 exec, exec, s[0:1]
	v_add_u32_e32 v12, 16, v5
	v_cmp_le_i32_e64 s[0:1], s24, v12
	s_and_saveexec_b64 s[8:9], s[0:1]
	s_xor_b64 s[0:1], exec, s[8:9]
	s_cbranch_execz .LBB193_87
; %bb.86:
	v_mul_u32_u24_e32 v13, 33, v12
	v_mov_b32_e32 v16, 0
	v_add_lshl_u32 v13, v13, v4, 4
	v_mov_b32_e32 v17, v16
	v_mov_b32_e32 v18, v16
	;; [unrolled: 1-line block ×3, first 2 shown]
	ds_write_b128 v13, v[16:19]
.LBB193_87:
	s_andn2_saveexec_b64 s[0:1], s[0:1]
	s_cbranch_execz .LBB193_89
; %bb.88:
	s_lshl_b32 s8, s26, 4
	s_ashr_i32 s9, s8, 31
	v_lshl_add_u64 v[16:17], s[8:9], 4, v[6:7]
	flat_load_dwordx4 v[16:19], v[16:17]
	v_add_u32_e32 v13, 0x2100, v15
	s_waitcnt vmcnt(0) lgkmcnt(0)
	ds_write2_b64 v13, v[16:17], v[18:19] offset1:1
.LBB193_89:
	s_or_b64 exec, exec, s[0:1]
	v_add_u32_e32 v13, 24, v5
	v_cmp_le_i32_e64 s[0:1], s24, v13
                                        ; implicit-def: $vgpr14
	s_and_saveexec_b64 s[8:9], s[0:1]
	s_xor_b64 s[0:1], exec, s[8:9]
	s_cbranch_execz .LBB193_91
; %bb.90:
	v_mad_u32_u24 v14, v13, 33, v4
	v_mov_b32_e32 v16, 0
	v_lshlrev_b32_e32 v15, 4, v14
	v_mov_b32_e32 v17, v16
	v_mov_b32_e32 v18, v16
	;; [unrolled: 1-line block ×3, first 2 shown]
	ds_write_b128 v15, v[16:19]
                                        ; implicit-def: $vgpr15
.LBB193_91:
	s_andn2_saveexec_b64 s[0:1], s[0:1]
	s_cbranch_execz .LBB193_93
; %bb.92:
	s_mul_i32 s8, s26, 24
	s_ashr_i32 s9, s8, 31
	v_lshl_add_u64 v[16:17], s[8:9], 4, v[6:7]
	flat_load_dwordx4 v[16:19], v[16:17]
	v_add_u32_e32 v14, 0x318, v9
	v_add_u32_e32 v15, 0x3180, v15
	s_waitcnt vmcnt(0) lgkmcnt(0)
	ds_write2_b64 v15, v[16:17], v[18:19] offset1:1
.LBB193_93:
	s_or_b64 exec, exec, s[0:1]
	v_lshlrev_b32_e32 v16, 4, v4
	v_mov_b32_e32 v17, 0
	v_lshl_add_u64 v[6:7], v[6:7], 0, v[16:17]
	s_lshl_b64 s[0:1], s[24:25], 4
	v_mov_b32_e32 v4, s1
	v_subrev_co_u32_e64 v6, s[0:1], s0, v6
	s_nop 1
	v_subb_co_u32_e64 v7, s[0:1], v7, v4, s[0:1]
	s_mov_b64 s[0:1], 0x210
	s_nop 0
	v_lshl_add_u64 v[6:7], v[6:7], 0, s[0:1]
	v_cndmask_b32_e32 v41, v7, v41, vcc
	v_cndmask_b32_e32 v40, v6, v40, vcc
	v_add_u32_e32 v7, 0x108, v9
	v_add_u32_e32 v6, 0x210, v9
.LBB193_94:
	v_lshlrev_b32_e32 v5, 4, v5
	s_waitcnt lgkmcnt(0)
	s_barrier
	v_lshlrev_b32_e32 v4, 4, v9
	ds_read_b128 v[46:49], v5 offset:18176
	ds_read_b128 v[50:53], v4
	v_lshlrev_b32_e32 v5, 4, v11
	v_lshlrev_b32_e32 v4, 4, v7
	ds_read_b128 v[54:57], v5 offset:18176
	ds_read_b128 v[58:61], v4
	v_lshlrev_b32_e32 v7, 4, v12
	;; [unrolled: 4-line block ×3, first 2 shown]
	v_lshlrev_b32_e32 v6, 4, v14
	ds_read_b128 v[70:73], v7 offset:18176
	ds_read_b128 v[74:77], v6
	s_waitcnt lgkmcnt(6)
	v_mul_f64 v[4:5], v[48:49], v[52:53]
	v_fma_f64 v[4:5], v[46:47], v[50:51], -v[4:5]
	s_waitcnt lgkmcnt(4)
	v_mul_f64 v[16:17], v[56:57], v[60:61]
	v_add_f64 v[4:5], v[4:5], 0
	v_fma_f64 v[16:17], v[54:55], v[58:59], -v[16:17]
	s_waitcnt lgkmcnt(2)
	v_mul_f64 v[6:7], v[64:65], v[68:69]
	v_add_f64 v[4:5], v[4:5], v[16:17]
	v_fma_f64 v[6:7], v[62:63], v[66:67], -v[6:7]
	v_add_f64 v[4:5], v[4:5], v[6:7]
	s_waitcnt lgkmcnt(0)
	v_mul_f64 v[6:7], v[72:73], v[76:77]
	v_fma_f64 v[6:7], v[70:71], v[74:75], -v[6:7]
	v_add_f64 v[78:79], v[4:5], v[6:7]
	ds_read_b128 v[28:31], v10
	ds_read_b128 v[20:23], v10 offset:16
	ds_read_b128 v[12:15], v10 offset:32
	;; [unrolled: 1-line block ×7, first 2 shown]
	v_mul_f64 v[46:47], v[46:47], v[52:53]
	v_fmac_f64_e32 v[46:47], v[48:49], v[50:51]
	v_mul_f64 v[48:49], v[54:55], v[60:61]
	v_add_f64 v[46:47], v[46:47], 0
	v_fmac_f64_e32 v[48:49], v[56:57], v[58:59]
	v_add_f64 v[46:47], v[46:47], v[48:49]
	v_mul_f64 v[48:49], v[62:63], v[68:69]
	v_fmac_f64_e32 v[48:49], v[64:65], v[66:67]
	v_add_f64 v[46:47], v[46:47], v[48:49]
	v_mul_f64 v[48:49], v[70:71], v[76:77]
	v_fmac_f64_e32 v[48:49], v[72:73], v[74:75]
	v_add_f64 v[80:81], v[46:47], v[48:49]
	s_waitcnt lgkmcnt(0)
	s_barrier
	ds_write_b128 v45, v[78:81]
	s_waitcnt lgkmcnt(0)
	s_barrier
	s_and_saveexec_b64 s[0:1], s[6:7]
	s_cbranch_execz .LBB193_96
; %bb.95:
	v_lshlrev_b32_e32 v62, 4, v44
	ds_read_b128 v[46:49], v62
	ds_read_b128 v[50:53], v62 offset:16
	ds_read_b128 v[54:57], v62 offset:32
	;; [unrolled: 1-line block ×3, first 2 shown]
	s_waitcnt lgkmcnt(3)
	v_add_f64 v[0:1], v[0:1], v[46:47]
	v_add_f64 v[2:3], v[2:3], v[48:49]
	s_waitcnt lgkmcnt(2)
	v_add_f64 v[0:1], v[0:1], v[50:51]
	v_add_f64 v[46:47], v[2:3], v[52:53]
	s_waitcnt lgkmcnt(1)
	v_add_f64 v[48:49], v[0:1], v[54:55]
	ds_read_b128 v[0:3], v62 offset:64
	v_add_f64 v[46:47], v[46:47], v[56:57]
	s_waitcnt lgkmcnt(1)
	v_add_f64 v[50:51], v[48:49], v[58:59]
	v_add_f64 v[54:55], v[46:47], v[60:61]
	ds_read_b128 v[46:49], v62 offset:80
	s_waitcnt lgkmcnt(1)
	v_add_f64 v[56:57], v[50:51], v[0:1]
	ds_read_b128 v[50:53], v62 offset:96
	v_add_f64 v[54:55], v[54:55], v[2:3]
	ds_read_b128 v[0:3], v62 offset:112
	s_waitcnt lgkmcnt(2)
	v_add_f64 v[46:47], v[56:57], v[46:47]
	v_add_f64 v[48:49], v[54:55], v[48:49]
	s_waitcnt lgkmcnt(1)
	v_add_f64 v[46:47], v[46:47], v[50:51]
	v_add_f64 v[48:49], v[48:49], v[52:53]
	;; [unrolled: 3-line block ×3, first 2 shown]
.LBB193_96:
	s_or_b64 exec, exec, s[0:1]
	v_mul_f64 v[46:47], v[30:31], v[34:35]
	v_fma_f64 v[46:47], v[28:29], v[32:33], -v[46:47]
	v_mul_f64 v[28:29], v[28:29], v[34:35]
	v_fmac_f64_e32 v[28:29], v[30:31], v[32:33]
	v_mul_f64 v[32:33], v[22:23], v[26:27]
	v_fma_f64 v[32:33], v[20:21], v[24:25], -v[32:33]
	v_mul_f64 v[20:21], v[20:21], v[26:27]
	v_fmac_f64_e32 v[20:21], v[22:23], v[24:25]
	v_mul_f64 v[24:25], v[14:15], v[18:19]
	v_add_f64 v[30:31], v[46:47], 0
	v_add_f64 v[28:29], v[28:29], 0
	v_fma_f64 v[24:25], v[12:13], v[16:17], -v[24:25]
	v_mul_f64 v[12:13], v[12:13], v[18:19]
	v_add_f64 v[22:23], v[30:31], v[32:33]
	v_add_f64 v[20:21], v[28:29], v[20:21]
	v_fmac_f64_e32 v[12:13], v[14:15], v[16:17]
	v_mul_f64 v[16:17], v[6:7], v[10:11]
	v_mul_f64 v[10:11], v[4:5], v[10:11]
	v_add_f64 v[14:15], v[22:23], v[24:25]
	v_add_f64 v[12:13], v[20:21], v[12:13]
	v_fma_f64 v[16:17], v[4:5], v[8:9], -v[16:17]
	v_fmac_f64_e32 v[10:11], v[6:7], v[8:9]
	v_add_f64 v[4:5], v[14:15], v[16:17]
	v_add_f64 v[6:7], v[12:13], v[10:11]
	s_barrier
	ds_write_b128 v45, v[4:7]
	s_waitcnt lgkmcnt(0)
	s_barrier
	s_and_saveexec_b64 s[0:1], s[4:5]
	s_cbranch_execz .LBB193_98
; %bb.97:
	v_lshlrev_b32_e32 v20, 4, v44
	ds_read_b128 v[4:7], v20
	ds_read_b128 v[8:11], v20 offset:16
	ds_read_b128 v[12:15], v20 offset:32
	;; [unrolled: 1-line block ×3, first 2 shown]
	s_waitcnt lgkmcnt(3)
	v_add_f64 v[0:1], v[0:1], v[4:5]
	v_add_f64 v[2:3], v[2:3], v[6:7]
	s_waitcnt lgkmcnt(2)
	v_add_f64 v[0:1], v[0:1], v[8:9]
	v_add_f64 v[4:5], v[2:3], v[10:11]
	s_waitcnt lgkmcnt(1)
	v_add_f64 v[6:7], v[0:1], v[12:13]
	ds_read_b128 v[0:3], v20 offset:64
	v_add_f64 v[4:5], v[4:5], v[14:15]
	s_waitcnt lgkmcnt(1)
	v_add_f64 v[8:9], v[6:7], v[16:17]
	v_add_f64 v[12:13], v[4:5], v[18:19]
	ds_read_b128 v[4:7], v20 offset:80
	s_waitcnt lgkmcnt(1)
	v_add_f64 v[14:15], v[8:9], v[0:1]
	ds_read_b128 v[8:11], v20 offset:96
	v_add_f64 v[12:13], v[12:13], v[2:3]
	ds_read_b128 v[0:3], v20 offset:112
	s_waitcnt lgkmcnt(2)
	v_add_f64 v[4:5], v[14:15], v[4:5]
	v_add_f64 v[6:7], v[12:13], v[6:7]
	s_waitcnt lgkmcnt(1)
	v_add_f64 v[4:5], v[4:5], v[8:9]
	v_add_f64 v[6:7], v[6:7], v[10:11]
	;; [unrolled: 3-line block ×3, first 2 shown]
.LBB193_98:
	s_or_b64 exec, exec, s[0:1]
	s_mul_hi_u32 s0, s21, s20
	s_mul_i32 s40, s40, s20
	s_add_i32 s0, s0, s40
	s_mul_i32 s4, s21, s20
	s_mul_i32 s0, s0, s33
	s_mul_hi_u32 s1, s4, s33
	s_add_i32 s1, s1, s0
	s_mul_i32 s0, s4, s33
	s_lshl_b64 s[0:1], s[0:1], 4
	s_add_u32 s4, s22, s0
	s_mul_i32 s0, s2, s21
	s_addc_u32 s5, s23, s1
	s_ashr_i32 s1, s0, 31
	s_lshl_b64 s[0:1], s[0:1], 4
	s_add_u32 s6, s4, s0
	v_cmp_le_i32_e32 vcc, s24, v42
	s_addc_u32 s7, s5, s1
	s_and_b64 vcc, s[34:35], vcc
	s_cmp_lt_i32 s2, 1
	v_lshlrev_b32_e32 v140, 4, v42
	s_barrier
	s_cbranch_scc1 .LBB193_105
; %bb.99:
	s_mul_i32 s0, s28, s3
	s_ashr_i32 s1, s0, 31
	s_lshl_b64 s[0:1], s[0:1], 4
	v_mov_b32_e32 v4, s1
	v_subrev_co_u32_e64 v134, s[0:1], s0, v36
	s_ashr_i32 s25, s24, 31
	s_nop 0
	v_subb_co_u32_e64 v135, s[0:1], v37, v4, s[0:1]
	v_mov_b32_e32 v4, s31
	v_subrev_co_u32_e64 v6, s[0:1], s30, v40
	v_and_b32_e32 v10, 15, v42
	s_nop 0
	v_subb_co_u32_e64 v7, s[0:1], v41, v4, s[0:1]
	v_lshlrev_b64 v[4:5], 4, v[38:39]
	v_sub_co_u32_e64 v4, s[0:1], v6, v4
	v_mul_lo_u32 v6, v133, s26
	s_nop 0
	v_subb_co_u32_e64 v5, s[0:1], v7, v5, s[0:1]
	v_lshl_add_u32 v6, v6, 2, v42
	v_ashrrev_i32_e32 v7, 31, v6
	s_movk_i32 s0, 0xfe00
	v_lshl_add_u64 v[4:5], v[6:7], 4, v[4:5]
	s_mov_b32 s1, -1
	v_lshl_add_u64 v[4:5], v[4:5], 0, s[0:1]
	v_sub_co_u32_e64 v6, s[0:1], v4, v140
	s_ashr_i32 s27, s26, 31
	s_nop 0
	v_subbrev_co_u32_e64 v7, s[0:1], 0, v5, s[0:1]
	v_lshl_add_u64 v[6:7], s[24:25], 4, v[6:7]
	v_lshl_add_u64 v[6:7], v[6:7], 0, -16
	v_cndmask_b32_e32 v8, v4, v6, vcc
	v_and_b32_e32 v4, 48, v42
	v_cndmask_b32_e32 v9, v5, v7, vcc
	v_lshlrev_b32_e32 v5, 4, v4
	s_movk_i32 s0, 0x430
	v_mad_u32_u24 v143, v10, s0, v5
	v_or_b32_e32 v5, 0xf0, v140
	v_mad_u32_u24 v144, v10, s0, v5
	v_lshlrev_b32_e32 v5, 2, v43
	v_and_b32_e32 v5, 0x7ffc0, v5
	v_mad_u32_u24 v145, v10, s0, v5
	v_mov_b32_e32 v5, 0x4300
	v_lshl_add_u32 v146, v133, 6, v5
	s_movk_i32 s1, 0x10c0
	v_and_b32_e32 v5, 0x1fff0, v43
	v_mov_b32_e32 v137, 0
	s_lshl_b32 s3, s3, 6
	v_add_u32_e32 v141, 0x4300, v140
	v_add_u32_e32 v142, 0x4700, v140
	v_cmp_gt_u32_e64 s[4:5], 64, v43
	v_mad_u32_u24 v147, v133, s1, v140
	v_mad_u32_u24 v148, v10, s0, v5
	s_lshl_b64 s[0:1], s[26:27], 4
	s_mul_hi_i32 s9, s26, 0xd0
	s_mul_i32 s8, s26, 0xd0
	v_or_b32_e32 v136, v4, v10
	s_mov_b32 s10, 0
	s_branch .LBB193_101
.LBB193_100:                            ;   in Loop: Header=BB193_101 Depth=1
	s_or_b64 exec, exec, s[12:13]
	v_mul_f64 v[150:151], v[6:7], v[22:23]
	v_fma_f64 v[150:151], v[4:5], v[20:21], -v[150:151]
	v_mul_f64 v[4:5], v[4:5], v[22:23]
	v_mul_f64 v[22:23], v[10:11], v[42:43]
	v_add_f64 v[0:1], v[0:1], v[150:151]
	v_fma_f64 v[22:23], v[8:9], v[40:41], -v[22:23]
	v_add_f64 v[0:1], v[0:1], v[22:23]
	v_mul_f64 v[22:23], v[14:15], v[46:47]
	v_fma_f64 v[22:23], v[12:13], v[44:45], -v[22:23]
	v_add_f64 v[0:1], v[0:1], v[22:23]
	v_mul_f64 v[22:23], v[18:19], v[50:51]
	v_fmac_f64_e32 v[4:5], v[6:7], v[20:21]
	v_fma_f64 v[22:23], v[16:17], v[48:49], -v[22:23]
	v_add_f64 v[2:3], v[2:3], v[4:5]
	v_mul_f64 v[4:5], v[26:27], v[70:71]
	v_add_f64 v[0:1], v[0:1], v[22:23]
	v_fma_f64 v[4:5], v[24:25], v[68:69], -v[4:5]
	v_add_f64 v[0:1], v[0:1], v[4:5]
	v_mul_f64 v[4:5], v[30:31], v[82:83]
	v_fma_f64 v[4:5], v[28:29], v[80:81], -v[4:5]
	v_add_f64 v[0:1], v[0:1], v[4:5]
	v_mul_f64 v[4:5], v[38:39], v[78:79]
	;; [unrolled: 3-line block ×3, first 2 shown]
	v_fma_f64 v[4:5], v[32:33], v[72:73], -v[4:5]
	v_mul_f64 v[8:9], v[8:9], v[42:43]
	v_add_f64 v[0:1], v[0:1], v[4:5]
	v_mul_f64 v[4:5], v[66:67], v[102:103]
	v_mul_f64 v[12:13], v[12:13], v[46:47]
	v_fmac_f64_e32 v[8:9], v[10:11], v[40:41]
	v_fma_f64 v[4:5], v[64:65], v[100:101], -v[4:5]
	v_mul_f64 v[16:17], v[16:17], v[50:51]
	v_add_f64 v[2:3], v[2:3], v[8:9]
	v_fmac_f64_e32 v[12:13], v[14:15], v[44:45]
	v_add_f64 v[0:1], v[0:1], v[4:5]
	v_mul_f64 v[4:5], v[62:63], v[118:119]
	v_add_f64 v[2:3], v[2:3], v[12:13]
	v_fmac_f64_e32 v[16:17], v[18:19], v[48:49]
	v_mul_f64 v[6:7], v[24:25], v[70:71]
	v_fma_f64 v[4:5], v[60:61], v[116:117], -v[4:5]
	v_add_f64 v[2:3], v[2:3], v[16:17]
	v_mul_f64 v[8:9], v[28:29], v[82:83]
	v_fmac_f64_e32 v[6:7], v[26:27], v[68:69]
	v_add_f64 v[0:1], v[0:1], v[4:5]
	v_mul_f64 v[4:5], v[58:59], v[114:115]
	v_mul_f64 v[10:11], v[36:37], v[78:79]
	v_add_f64 v[2:3], v[2:3], v[6:7]
	v_fmac_f64_e32 v[8:9], v[30:31], v[80:81]
	v_fma_f64 v[4:5], v[56:57], v[112:113], -v[4:5]
	v_mul_f64 v[12:13], v[32:33], v[74:75]
	v_add_f64 v[2:3], v[2:3], v[8:9]
	v_fmac_f64_e32 v[10:11], v[38:39], v[76:77]
	v_add_f64 v[0:1], v[0:1], v[4:5]
	v_mul_f64 v[4:5], v[54:55], v[110:111]
	v_add_f64 v[2:3], v[2:3], v[10:11]
	v_fmac_f64_e32 v[12:13], v[34:35], v[72:73]
	v_mul_f64 v[6:7], v[64:65], v[102:103]
	v_fma_f64 v[4:5], v[52:53], v[108:109], -v[4:5]
	v_add_f64 v[2:3], v[2:3], v[12:13]
	v_mul_f64 v[8:9], v[60:61], v[118:119]
	v_add_f64 v[0:1], v[0:1], v[4:5]
	v_fmac_f64_e32 v[6:7], v[66:67], v[100:101]
	v_mul_f64 v[4:5], v[86:87], v[106:107]
	v_mul_f64 v[10:11], v[56:57], v[114:115]
	v_add_f64 v[2:3], v[2:3], v[6:7]
	v_fmac_f64_e32 v[8:9], v[62:63], v[116:117]
	v_fma_f64 v[4:5], v[84:85], v[104:105], -v[4:5]
	v_mul_f64 v[12:13], v[52:53], v[110:111]
	v_add_f64 v[2:3], v[2:3], v[8:9]
	v_fmac_f64_e32 v[10:11], v[58:59], v[112:113]
	v_add_f64 v[0:1], v[0:1], v[4:5]
	v_mul_f64 v[4:5], v[90:91], v[122:123]
	v_add_f64 v[2:3], v[2:3], v[10:11]
	v_fmac_f64_e32 v[12:13], v[54:55], v[108:109]
	v_mul_f64 v[6:7], v[84:85], v[106:107]
	v_fma_f64 v[4:5], v[88:89], v[120:121], -v[4:5]
	v_add_f64 v[2:3], v[2:3], v[12:13]
	v_mul_f64 v[8:9], v[88:89], v[122:123]
	v_add_f64 v[0:1], v[0:1], v[4:5]
	v_mul_f64 v[4:5], v[94:95], v[126:127]
	v_fmac_f64_e32 v[6:7], v[86:87], v[104:105]
	v_fma_f64 v[4:5], v[92:93], v[124:125], -v[4:5]
	v_mul_f64 v[10:11], v[92:93], v[126:127]
	v_fmac_f64_e32 v[8:9], v[90:91], v[120:121]
	v_add_f64 v[2:3], v[2:3], v[6:7]
	v_add_f64 v[0:1], v[0:1], v[4:5]
	v_mul_f64 v[4:5], v[98:99], v[130:131]
	v_mul_f64 v[12:13], v[96:97], v[130:131]
	v_fmac_f64_e32 v[10:11], v[94:95], v[124:125]
	v_add_f64 v[2:3], v[2:3], v[8:9]
	v_fma_f64 v[4:5], v[96:97], v[128:129], -v[4:5]
	v_fmac_f64_e32 v[12:13], v[98:99], v[128:129]
	v_add_f64 v[2:3], v[2:3], v[10:11]
	s_add_i32 s2, s2, -1
	s_add_i32 s10, s10, s3
	v_add_f64 v[0:1], v[0:1], v[4:5]
	v_add_f64 v[2:3], v[2:3], v[12:13]
	v_add_u32_e32 v136, 64, v136
	s_cmp_eq_u32 s2, 0
	v_lshl_add_u64 v[8:9], v[138:139], 0, s[8:9]
	s_barrier
	s_cbranch_scc1 .LBB193_105
.LBB193_101:                            ; =>This Inner Loop Header: Depth=1
	s_and_saveexec_b64 s[12:13], s[18:19]
	s_cbranch_execz .LBB193_103
; %bb.102:                              ;   in Loop: Header=BB193_101 Depth=1
	s_ashr_i32 s11, s10, 31
	v_lshl_add_u64 v[4:5], s[10:11], 4, v[134:135]
	flat_load_dwordx4 v[4:7], v[4:5]
	s_waitcnt vmcnt(0) lgkmcnt(0)
	ds_write2_b64 v141, v[4:5], v[6:7] offset1:1
.LBB193_103:                            ;   in Loop: Header=BB193_101 Depth=1
	s_or_b64 exec, exec, s[12:13]
	s_waitcnt lgkmcnt(0)
	s_barrier
	flat_load_dwordx4 v[4:7], v[8:9]
	v_lshl_add_u64 v[12:13], v[8:9], 0, s[0:1]
	flat_load_dwordx4 v[8:11], v[12:13]
	v_lshl_add_u64 v[16:17], v[12:13], 0, s[0:1]
	;; [unrolled: 2-line block ×3, first 2 shown]
	flat_load_dwordx4 v[16:19], v[28:29]
	ds_read_b128 v[24:27], v142
	ds_read_b128 v[20:23], v146
	v_lshl_add_u64 v[36:37], v[28:29], 0, s[8:9]
	s_waitcnt vmcnt(0) lgkmcnt(0)
	v_mul_f64 v[28:29], v[6:7], v[26:27]
	v_mul_f64 v[30:31], v[4:5], v[26:27]
	v_fma_f64 v[28:29], v[4:5], v[24:25], -v[28:29]
	v_fmac_f64_e32 v[30:31], v[6:7], v[24:25]
	v_mul_f64 v[34:35], v[10:11], v[26:27]
	v_mul_f64 v[32:33], v[8:9], v[26:27]
	ds_write_b128 v147, v[28:31]
	v_fma_f64 v[30:31], v[8:9], v[24:25], -v[34:35]
	v_fmac_f64_e32 v[32:33], v[10:11], v[24:25]
	v_mul_f64 v[28:29], v[14:15], v[26:27]
	v_mul_f64 v[34:35], v[12:13], v[26:27]
	ds_read_b128 v[40:43], v146 offset:16
	ds_write_b128 v147, v[30:33] offset:1072
	v_fma_f64 v[32:33], v[12:13], v[24:25], -v[28:29]
	v_fmac_f64_e32 v[34:35], v[14:15], v[24:25]
	v_mul_f64 v[30:31], v[18:19], v[26:27]
	v_mul_f64 v[28:29], v[16:17], v[26:27]
	ds_read_b128 v[44:47], v146 offset:32
	ds_write_b128 v147, v[32:35] offset:2144
	v_fma_f64 v[26:27], v[16:17], v[24:25], -v[30:31]
	v_fmac_f64_e32 v[28:29], v[18:19], v[24:25]
	v_lshl_add_u64 v[32:33], v[36:37], 0, s[0:1]
	ds_read_b128 v[48:51], v146 offset:48
	ds_write_b128 v147, v[26:29] offset:3216
	s_waitcnt lgkmcnt(0)
	s_barrier
	ds_read_b128 v[128:131], v145
	ds_read_b128 v[124:127], v145 offset:16
	ds_read_b128 v[120:123], v145 offset:32
	;; [unrolled: 1-line block ×3, first 2 shown]
	s_waitcnt lgkmcnt(0)
	s_barrier
	flat_load_dwordx4 v[24:27], v[36:37]
	flat_load_dwordx4 v[28:31], v[32:33]
	v_lshl_add_u64 v[32:33], v[32:33], 0, s[0:1]
	v_lshl_add_u64 v[56:57], v[32:33], 0, s[0:1]
	flat_load_dwordx4 v[36:39], v[32:33]
	ds_read_b128 v[52:55], v142
	ds_read_b128 v[68:71], v146 offset:256
	flat_load_dwordx4 v[32:35], v[56:57]
	v_lshl_add_u64 v[88:89], v[56:57], 0, s[8:9]
	v_add_f64 v[128:129], v[128:129], 0
	v_add_f64 v[130:131], v[130:131], 0
	;; [unrolled: 1-line block ×8, first 2 shown]
	s_waitcnt vmcnt(0) lgkmcnt(0)
	v_mul_f64 v[58:59], v[26:27], v[54:55]
	v_mul_f64 v[56:57], v[24:25], v[54:55]
	;; [unrolled: 1-line block ×6, first 2 shown]
	v_fmac_f64_e32 v[56:57], v[26:27], v[52:53]
	v_mul_f64 v[72:73], v[34:35], v[54:55]
	v_mul_f64 v[86:87], v[32:33], v[54:55]
	v_fma_f64 v[54:55], v[24:25], v[52:53], -v[58:59]
	v_fma_f64 v[58:59], v[28:29], v[52:53], -v[62:63]
	v_fmac_f64_e32 v[60:61], v[30:31], v[52:53]
	ds_write_b128 v147, v[54:57]
	v_fma_f64 v[62:63], v[36:37], v[52:53], -v[66:67]
	v_fmac_f64_e32 v[64:65], v[38:39], v[52:53]
	ds_read_b128 v[80:83], v146 offset:272
	ds_write_b128 v147, v[58:61] offset:1072
	v_fma_f64 v[84:85], v[32:33], v[52:53], -v[72:73]
	v_fmac_f64_e32 v[86:87], v[34:35], v[52:53]
	ds_read_b128 v[76:79], v146 offset:288
	ds_write_b128 v147, v[62:65] offset:2144
	v_lshl_add_u64 v[52:53], v[88:89], 0, s[0:1]
	ds_read_b128 v[72:75], v146 offset:304
	ds_write_b128 v147, v[84:87] offset:3216
	s_waitcnt lgkmcnt(0)
	s_barrier
	ds_read_b128 v[150:153], v145
	ds_read_b128 v[154:157], v145 offset:16
	ds_read_b128 v[158:161], v145 offset:32
	;; [unrolled: 1-line block ×3, first 2 shown]
	s_waitcnt lgkmcnt(0)
	s_barrier
	flat_load_dwordx4 v[60:63], v[52:53]
	v_lshl_add_u64 v[52:53], v[52:53], 0, s[0:1]
	flat_load_dwordx4 v[64:67], v[88:89]
	v_lshl_add_u64 v[88:89], v[52:53], 0, s[0:1]
	flat_load_dwordx4 v[56:59], v[52:53]
	ds_read_b128 v[84:87], v142
	ds_read_b128 v[100:103], v146 offset:512
	flat_load_dwordx4 v[52:55], v[88:89]
	v_lshl_add_u64 v[98:99], v[88:89], 0, s[8:9]
	v_add_f64 v[104:105], v[150:151], 0
	v_add_f64 v[106:107], v[152:153], 0
	;; [unrolled: 1-line block ×8, first 2 shown]
	s_waitcnt vmcnt(0) lgkmcnt(0)
	v_mul_f64 v[94:95], v[62:63], v[86:87]
	v_mul_f64 v[92:93], v[60:61], v[86:87]
	;; [unrolled: 1-line block ×6, first 2 shown]
	v_fmac_f64_e32 v[88:89], v[66:67], v[84:85]
	v_mul_f64 v[110:111], v[54:55], v[86:87]
	v_mul_f64 v[168:169], v[52:53], v[86:87]
	v_fma_f64 v[86:87], v[64:65], v[84:85], -v[90:91]
	v_fma_f64 v[90:91], v[60:61], v[84:85], -v[94:95]
	v_fmac_f64_e32 v[92:93], v[62:63], v[84:85]
	ds_write_b128 v147, v[86:89]
	v_fma_f64 v[94:95], v[56:57], v[84:85], -v[108:109]
	v_fmac_f64_e32 v[96:97], v[58:59], v[84:85]
	ds_read_b128 v[116:119], v146 offset:528
	ds_write_b128 v147, v[90:93] offset:1072
	v_lshl_add_u64 v[92:93], v[98:99], 0, s[0:1]
	v_fma_f64 v[166:167], v[52:53], v[84:85], -v[110:111]
	v_fmac_f64_e32 v[168:169], v[54:55], v[84:85]
	ds_read_b128 v[112:115], v146 offset:544
	ds_write_b128 v147, v[94:97] offset:2144
	v_lshl_add_u64 v[96:97], v[92:93], 0, s[0:1]
	ds_read_b128 v[108:111], v146 offset:560
	ds_write_b128 v147, v[166:169] offset:3216
	s_waitcnt lgkmcnt(0)
	s_barrier
	ds_read_b128 v[166:169], v145
	ds_read_b128 v[170:173], v145 offset:16
	ds_read_b128 v[174:177], v145 offset:32
	;; [unrolled: 1-line block ×3, first 2 shown]
	s_waitcnt lgkmcnt(0)
	s_barrier
	flat_load_dwordx4 v[84:87], v[98:99]
	v_lshl_add_u64 v[138:139], v[96:97], 0, s[0:1]
	flat_load_dwordx4 v[88:91], v[92:93]
	v_add_f64 v[124:125], v[166:167], 0
	flat_load_dwordx4 v[92:95], v[96:97]
	v_add_f64 v[126:127], v[168:169], 0
	flat_load_dwordx4 v[96:99], v[138:139]
	ds_read_b128 v[120:123], v142
	ds_read_b128 v[104:107], v146 offset:768
	v_add_f64 v[124:125], v[124:125], v[170:171]
	v_add_f64 v[126:127], v[126:127], v[172:173]
	v_add_f64 v[124:125], v[124:125], v[174:175]
	v_add_f64 v[126:127], v[126:127], v[176:177]
	v_add_f64 v[154:155], v[124:125], v[178:179]
	v_add_f64 v[156:157], v[126:127], v[180:181]
	s_waitcnt vmcnt(0) lgkmcnt(0)
	v_mul_f64 v[126:127], v[86:87], v[122:123]
	v_mul_f64 v[124:125], v[84:85], v[122:123]
	;; [unrolled: 1-line block ×8, first 2 shown]
	v_fma_f64 v[122:123], v[84:85], v[120:121], -v[126:127]
	v_fmac_f64_e32 v[124:125], v[86:87], v[120:121]
	v_fma_f64 v[126:127], v[88:89], v[120:121], -v[130:131]
	v_fmac_f64_e32 v[128:129], v[90:91], v[120:121]
	ds_write_b128 v147, v[122:125]
	v_fma_f64 v[158:159], v[92:93], v[120:121], -v[158:159]
	v_fmac_f64_e32 v[160:161], v[94:95], v[120:121]
	v_fma_f64 v[162:163], v[96:97], v[120:121], -v[162:163]
	v_fmac_f64_e32 v[164:165], v[98:99], v[120:121]
	ds_read_b128 v[120:123], v146 offset:784
	ds_write_b128 v147, v[126:129] offset:1072
	ds_read_b128 v[124:127], v146 offset:800
	ds_write_b128 v147, v[158:161] offset:2144
	;; [unrolled: 2-line block ×3, first 2 shown]
	s_waitcnt lgkmcnt(0)
	s_barrier
	ds_read_b128 v[158:161], v145
	ds_read_b128 v[162:165], v145 offset:16
	ds_read_b128 v[166:169], v145 offset:32
	;; [unrolled: 1-line block ×3, first 2 shown]
	s_waitcnt lgkmcnt(0)
	s_barrier
	ds_write_b128 v148, v[182:185]
	ds_write_b128 v148, v[150:153] offset:256
	ds_write_b128 v148, v[154:157] offset:512
	v_add_f64 v[150:151], v[158:159], 0
	v_add_f64 v[152:153], v[160:161], 0
	;; [unrolled: 1-line block ×8, first 2 shown]
	ds_write_b128 v148, v[150:153] offset:768
	s_waitcnt lgkmcnt(0)
	s_barrier
	s_and_saveexec_b64 s[12:13], s[4:5]
	s_cbranch_execz .LBB193_100
; %bb.104:                              ;   in Loop: Header=BB193_101 Depth=1
	ds_read_b128 v[150:153], v143
	ds_read_b128 v[154:157], v143 offset:16
	ds_read_b128 v[158:161], v143 offset:32
	;; [unrolled: 1-line block ×3, first 2 shown]
	s_waitcnt lgkmcnt(2)
	v_add_f64 v[150:151], v[154:155], v[150:151]
	v_add_f64 v[154:155], v[156:157], v[152:153]
	s_waitcnt lgkmcnt(1)
	v_add_f64 v[156:157], v[150:151], v[158:159]
	ds_read_b128 v[150:153], v143 offset:64
	v_add_f64 v[158:159], v[154:155], v[160:161]
	s_waitcnt lgkmcnt(1)
	v_add_f64 v[160:161], v[156:157], v[162:163]
	ds_read_b128 v[154:157], v143 offset:80
	;; [unrolled: 4-line block ×9, first 2 shown]
	v_add_f64 v[152:153], v[162:163], v[152:153]
	s_waitcnt lgkmcnt(1)
	v_add_f64 v[154:155], v[150:151], v[154:155]
	v_add_f64 v[162:163], v[152:153], v[156:157]
	ds_read_b128 v[150:153], v143 offset:208
	s_waitcnt lgkmcnt(1)
	v_add_f64 v[164:165], v[154:155], v[158:159]
	ds_read_b128 v[154:157], v143 offset:224
	v_add_f64 v[162:163], v[162:163], v[160:161]
	ds_read_b128 v[158:161], v144
	s_waitcnt lgkmcnt(2)
	v_add_f64 v[150:151], v[164:165], v[150:151]
	v_add_f64 v[152:153], v[162:163], v[152:153]
	s_waitcnt lgkmcnt(1)
	v_add_f64 v[150:151], v[150:151], v[154:155]
	v_add_f64 v[152:153], v[152:153], v[156:157]
	;; [unrolled: 3-line block ×3, first 2 shown]
	v_lshl_add_u64 v[154:155], v[136:137], 4, s[6:7]
	global_store_dwordx4 v[154:155], v[150:153], off
	s_branch .LBB193_100
.LBB193_105:
	s_movk_i32 s0, 0x430
	v_mad_u32_u24 v4, v133, s0, v140
	s_or_b64 s[0:1], s[16:17], vcc
	s_xor_b64 s[0:1], s[0:1], -1
	ds_write_b128 v4, v[0:3]
	s_waitcnt lgkmcnt(0)
	s_barrier
	s_and_saveexec_b64 s[2:3], s[0:1]
	s_cbranch_execz .LBB193_107
; %bb.106:
	ds_read_b128 v[0:3], v140 offset:1072
	ds_read_b128 v[4:7], v140
	ds_read_b128 v[8:11], v140 offset:2144
	ds_read_b128 v[12:15], v140 offset:3216
	v_ashrrev_i32_e32 v133, 31, v132
	s_waitcnt lgkmcnt(2)
	v_add_f64 v[0:1], v[0:1], v[4:5]
	v_add_f64 v[2:3], v[2:3], v[6:7]
	s_waitcnt lgkmcnt(1)
	v_add_f64 v[0:1], v[0:1], v[8:9]
	v_add_f64 v[2:3], v[2:3], v[10:11]
	;; [unrolled: 3-line block ×3, first 2 shown]
	v_lshl_add_u64 v[4:5], v[132:133], 4, s[6:7]
	global_store_dwordx4 v[4:5], v[0:3], off
.LBB193_107:
	s_endpgm
	.section	.rodata,"a",@progbits
	.p2align	6, 0x0
	.amdhsa_kernel _ZL26rocblas_hemvn_kernel_lowerILb0ELi64ELi4ELi33ELi32ELi16EiPK19rocblas_complex_numIdEPKS3_PS1_EviT6_lT7_lT5_lS8_lS9_lS7_lT8_i
		.amdhsa_group_segment_fixed_size 19200
		.amdhsa_private_segment_fixed_size 0
		.amdhsa_kernarg_size 376
		.amdhsa_user_sgpr_count 2
		.amdhsa_user_sgpr_dispatch_ptr 0
		.amdhsa_user_sgpr_queue_ptr 0
		.amdhsa_user_sgpr_kernarg_segment_ptr 1
		.amdhsa_user_sgpr_dispatch_id 0
		.amdhsa_user_sgpr_kernarg_preload_length 0
		.amdhsa_user_sgpr_kernarg_preload_offset 0
		.amdhsa_user_sgpr_private_segment_size 0
		.amdhsa_uses_dynamic_stack 0
		.amdhsa_enable_private_segment 0
		.amdhsa_system_sgpr_workgroup_id_x 1
		.amdhsa_system_sgpr_workgroup_id_y 0
		.amdhsa_system_sgpr_workgroup_id_z 1
		.amdhsa_system_sgpr_workgroup_info 0
		.amdhsa_system_vgpr_workitem_id 1
		.amdhsa_next_free_vgpr 186
		.amdhsa_next_free_sgpr 41
		.amdhsa_accum_offset 188
		.amdhsa_reserve_vcc 1
		.amdhsa_float_round_mode_32 0
		.amdhsa_float_round_mode_16_64 0
		.amdhsa_float_denorm_mode_32 3
		.amdhsa_float_denorm_mode_16_64 3
		.amdhsa_dx10_clamp 1
		.amdhsa_ieee_mode 1
		.amdhsa_fp16_overflow 0
		.amdhsa_tg_split 0
		.amdhsa_exception_fp_ieee_invalid_op 0
		.amdhsa_exception_fp_denorm_src 0
		.amdhsa_exception_fp_ieee_div_zero 0
		.amdhsa_exception_fp_ieee_overflow 0
		.amdhsa_exception_fp_ieee_underflow 0
		.amdhsa_exception_fp_ieee_inexact 0
		.amdhsa_exception_int_div_zero 0
	.end_amdhsa_kernel
	.section	.text._ZL26rocblas_hemvn_kernel_lowerILb0ELi64ELi4ELi33ELi32ELi16EiPK19rocblas_complex_numIdEPKS3_PS1_EviT6_lT7_lT5_lS8_lS9_lS7_lT8_i,"axG",@progbits,_ZL26rocblas_hemvn_kernel_lowerILb0ELi64ELi4ELi33ELi32ELi16EiPK19rocblas_complex_numIdEPKS3_PS1_EviT6_lT7_lT5_lS8_lS9_lS7_lT8_i,comdat
.Lfunc_end193:
	.size	_ZL26rocblas_hemvn_kernel_lowerILb0ELi64ELi4ELi33ELi32ELi16EiPK19rocblas_complex_numIdEPKS3_PS1_EviT6_lT7_lT5_lS8_lS9_lS7_lT8_i, .Lfunc_end193-_ZL26rocblas_hemvn_kernel_lowerILb0ELi64ELi4ELi33ELi32ELi16EiPK19rocblas_complex_numIdEPKS3_PS1_EviT6_lT7_lT5_lS8_lS9_lS7_lT8_i
                                        ; -- End function
	.section	.AMDGPU.csdata,"",@progbits
; Kernel info:
; codeLenInByte = 8908
; NumSgprs: 47
; NumVgprs: 186
; NumAgprs: 0
; TotalNumVgprs: 186
; ScratchSize: 0
; MemoryBound: 0
; FloatMode: 240
; IeeeMode: 1
; LDSByteSize: 19200 bytes/workgroup (compile time only)
; SGPRBlocks: 5
; VGPRBlocks: 23
; NumSGPRsForWavesPerEU: 47
; NumVGPRsForWavesPerEU: 186
; AccumOffset: 188
; Occupancy: 2
; WaveLimiterHint : 1
; COMPUTE_PGM_RSRC2:SCRATCH_EN: 0
; COMPUTE_PGM_RSRC2:USER_SGPR: 2
; COMPUTE_PGM_RSRC2:TRAP_HANDLER: 0
; COMPUTE_PGM_RSRC2:TGID_X_EN: 1
; COMPUTE_PGM_RSRC2:TGID_Y_EN: 0
; COMPUTE_PGM_RSRC2:TGID_Z_EN: 1
; COMPUTE_PGM_RSRC2:TIDIG_COMP_CNT: 1
; COMPUTE_PGM_RSRC3_GFX90A:ACCUM_OFFSET: 46
; COMPUTE_PGM_RSRC3_GFX90A:TG_SPLIT: 0
	.section	.text._ZL26rocblas_hemvn_kernel_lowerILb0ELi64ELi4ELi33ELi32ELi16El19rocblas_complex_numIdEPKPKS1_PS1_EviT6_lT7_lT5_lS8_lS9_lS7_lT8_i,"axG",@progbits,_ZL26rocblas_hemvn_kernel_lowerILb0ELi64ELi4ELi33ELi32ELi16El19rocblas_complex_numIdEPKPKS1_PS1_EviT6_lT7_lT5_lS8_lS9_lS7_lT8_i,comdat
	.globl	_ZL26rocblas_hemvn_kernel_lowerILb0ELi64ELi4ELi33ELi32ELi16El19rocblas_complex_numIdEPKPKS1_PS1_EviT6_lT7_lT5_lS8_lS9_lS7_lT8_i ; -- Begin function _ZL26rocblas_hemvn_kernel_lowerILb0ELi64ELi4ELi33ELi32ELi16El19rocblas_complex_numIdEPKPKS1_PS1_EviT6_lT7_lT5_lS8_lS9_lS7_lT8_i
	.p2align	8
	.type	_ZL26rocblas_hemvn_kernel_lowerILb0ELi64ELi4ELi33ELi32ELi16El19rocblas_complex_numIdEPKPKS1_PS1_EviT6_lT7_lT5_lS8_lS9_lS7_lT8_i,@function
_ZL26rocblas_hemvn_kernel_lowerILb0ELi64ELi4ELi33ELi32ELi16El19rocblas_complex_numIdEPKPKS1_PS1_EviT6_lT7_lT5_lS8_lS9_lS7_lT8_i: ; @_ZL26rocblas_hemvn_kernel_lowerILb0ELi64ELi4ELi33ELi32ELi16El19rocblas_complex_numIdEPKPKS1_PS1_EviT6_lT7_lT5_lS8_lS9_lS7_lT8_i
; %bb.0:
	s_load_dwordx2 s[4:5], s[0:1], 0x94
	s_add_u32 s14, s0, 0x88
	s_mov_b32 s26, s3
	s_addc_u32 s15, s1, 0
	s_waitcnt lgkmcnt(0)
	s_and_b32 s3, s5, 0xffff
	s_lshr_b32 s5, s4, 16
	s_and_b32 s4, s4, 0xffff
	s_mul_i32 s4, s5, s4
	s_mul_i32 s4, s4, s3
	s_cmpk_lg_i32 s4, 0x100
	s_cbranch_scc1 .LBB194_107
; %bb.1:
	s_load_dwordx4 s[16:19], s[0:1], 0x8
	s_load_dwordx4 s[4:7], s[0:1], 0x20
	s_load_dwordx2 s[24:25], s[0:1], 0x30
	s_mov_b64 s[8:9], 0
	s_waitcnt lgkmcnt(0)
	v_cmp_neq_f64_e64 s[10:11], s[16:17], 0
	v_cmp_neq_f64_e64 s[12:13], s[18:19], 0
	s_or_b64 s[16:17], s[10:11], s[12:13]
	s_and_b64 vcc, exec, s[16:17]
	s_cbranch_vccnz .LBB194_3
; %bb.2:
	s_load_dwordx4 s[8:11], s[0:1], 0x60
	s_mov_b64 s[12:13], 0
	s_waitcnt lgkmcnt(0)
	v_cmp_neq_f64_e64 s[8:9], s[8:9], 1.0
	v_cmp_neq_f64_e64 s[10:11], s[10:11], 0
	s_or_b64 s[8:9], s[8:9], s[10:11]
	s_cbranch_execz .LBB194_4
	s_branch .LBB194_5
.LBB194_3:
	s_mov_b64 s[12:13], -1
.LBB194_4:
	s_mov_b32 s27, 0
	s_lshl_b64 s[8:9], s[26:27], 3
	s_add_u32 s4, s4, s8
	s_addc_u32 s5, s5, s9
	s_load_dwordx2 s[4:5], s[4:5], 0x0
	s_lshl_b64 s[6:7], s[6:7], 4
	s_mov_b64 s[8:9], -1
	s_waitcnt lgkmcnt(0)
	s_add_u32 s12, s4, s6
	s_addc_u32 s13, s5, s7
.LBB194_5:
	s_andn2_b64 vcc, exec, s[8:9]
	s_cbranch_vccnz .LBB194_107
; %bb.6:
	s_load_dwordx4 s[8:11], s[0:1], 0x40
	s_load_dwordx2 s[22:23], s[0:1], 0x50
	v_cndmask_b32_e64 v1, 0, 1, s[16:17]
	v_cmp_ne_u32_e64 s[4:5], 1, v1
	s_andn2_b64 vcc, exec, s[16:17]
	s_mov_b64 s[6:7], 0
	s_cbranch_vccnz .LBB194_8
; %bb.7:
	s_mov_b32 s27, 0
	s_lshl_b64 s[6:7], s[26:27], 3
	s_waitcnt lgkmcnt(0)
	s_add_u32 s6, s8, s6
	s_addc_u32 s7, s9, s7
	s_load_dwordx2 s[6:7], s[6:7], 0x0
	s_lshl_b64 s[8:9], s[10:11], 4
	s_waitcnt lgkmcnt(0)
	s_add_u32 s6, s6, s8
	s_addc_u32 s7, s7, s9
.LBB194_8:
	s_and_b64 vcc, exec, s[4:5]
	s_cbranch_vccnz .LBB194_107
; %bb.9:
	s_load_dword s27, s[14:15], 0x0
	s_load_dword s3, s[0:1], 0x0
	v_and_b32_e32 v42, 0x3ff, v0
	s_lshl_b32 s30, s2, 6
	v_add_u32_e32 v132, s30, v42
	s_waitcnt lgkmcnt(0)
	s_add_i32 s4, s27, -1
	s_ashr_i32 s33, s3, 31
	s_lshr_b32 s5, s33, 26
	s_add_i32 s5, s3, s5
	s_andn2_b32 s5, s5, 63
	s_sub_i32 s5, s3, s5
	s_cmp_eq_u32 s2, s4
	v_ashrrev_i32_e32 v133, 31, v132
	v_bfe_u32 v142, v0, 10, 10
	s_cselect_b32 s28, s5, 0
	v_mul_lo_u32 v2, v133, s22
	v_mul_lo_u32 v3, v132, s23
	v_mad_u64_u32 v[0:1], s[4:5], v132, s22, 0
	v_add3_u32 v1, v1, v3, v2
	v_lshl_add_u64 v[36:37], v[0:1], 4, s[6:7]
	v_cmp_ne_u32_e64 s[4:5], 0, v142
	v_cmp_eq_u32_e64 s[18:19], 0, v142
	s_and_saveexec_b64 s[6:7], s[18:19]
	s_cbranch_execz .LBB194_14
; %bb.10:
	s_cmp_lg_u32 s28, 0
	s_cselect_b64 s[8:9], -1, 0
	v_cmp_le_i32_e32 vcc, s28, v42
	v_mov_b32_e32 v0, 0x4700
	s_and_b64 s[8:9], s[8:9], vcc
	v_lshl_add_u32 v0, v42, 4, v0
	s_and_saveexec_b64 s[10:11], s[8:9]
	s_xor_b64 s[8:9], exec, s[10:11]
	s_cbranch_execz .LBB194_12
; %bb.11:
	v_mov_b32_e32 v2, 0
	v_mov_b32_e32 v3, v2
	;; [unrolled: 1-line block ×4, first 2 shown]
	ds_write_b128 v0, v[2:5]
                                        ; implicit-def: $vgpr0
.LBB194_12:
	s_andn2_saveexec_b64 s[8:9], s[8:9]
	s_cbranch_execz .LBB194_14
; %bb.13:
	flat_load_dwordx4 v[2:5], v[36:37]
	s_waitcnt vmcnt(0) lgkmcnt(0)
	ds_write2_b64 v0, v[2:3], v[4:5] offset1:1
.LBB194_14:
	s_or_b64 exec, exec, s[6:7]
	s_ashr_i32 s31, s30, 31
	v_lshl_add_u32 v43, v142, 6, v42
	s_lshl_b64 s[6:7], s[30:31], 4
	v_and_b32_e32 v4, 31, v42
	v_lshrrev_b32_e32 v10, 5, v43
	s_add_u32 s8, s12, s6
	v_mov_b32_e32 v5, 0
	s_addc_u32 s9, s13, s7
	v_mad_u64_u32 v[38:39], s[6:7], v10, s24, v[4:5]
	v_mov_b32_e32 v0, v39
	v_mad_u64_u32 v[0:1], s[6:7], v10, s25, v[0:1]
	s_mul_i32 s6, s30, s25
	s_mul_hi_u32 s7, s30, s24
	s_add_i32 s6, s7, s6
	s_mul_i32 s7, s31, s24
	s_add_i32 s7, s6, s7
	s_mul_i32 s6, s30, s24
	s_lshl_b64 s[34:35], s[6:7], 4
	s_add_u32 s6, s34, s8
	s_addc_u32 s7, s35, s9
	s_cmp_lg_u32 s28, 0
	v_mov_b32_e32 v39, v0
	s_cselect_b64 s[36:37], -1, 0
	s_cmp_eq_u32 s28, 0
	v_lshl_add_u64 v[6:7], v[38:39], 4, s[6:7]
	s_cselect_b64 s[20:21], -1, 0
	s_and_b64 vcc, exec, s[36:37]
	s_cbranch_vccnz .LBB194_16
; %bb.15:
	flat_load_dwordx4 v[0:3], v[6:7]
	v_mul_u32_u24_e32 v5, 33, v10
	s_lshl_b64 s[6:7], s[24:25], 7
	v_add_lshl_u32 v5, v5, v4, 4
	v_lshl_add_u64 v[8:9], v[6:7], 0, s[6:7]
	v_add_u32_e32 v11, 0x1080, v5
	s_mul_i32 s8, s25, 0x180
	s_waitcnt vmcnt(0) lgkmcnt(0)
	ds_write2_b64 v5, v[0:1], v[2:3] offset1:1
	flat_load_dwordx4 v[0:3], v[8:9]
	v_lshl_add_u64 v[8:9], v[8:9], 0, s[6:7]
	s_waitcnt vmcnt(0) lgkmcnt(0)
	ds_write2_b64 v11, v[0:1], v[2:3] offset1:1
	flat_load_dwordx4 v[0:3], v[8:9]
	v_mov_b32_e32 v8, 0x180
	v_mad_u64_u32 v[8:9], s[6:7], s24, v8, v[6:7]
	v_add_u32_e32 v11, 0x2100, v5
	v_add_u32_e32 v9, s8, v9
	v_add_u32_e32 v5, 0x3180, v5
	s_waitcnt vmcnt(0) lgkmcnt(0)
	ds_write2_b64 v11, v[0:1], v[2:3] offset1:1
	flat_load_dwordx4 v[0:3], v[8:9]
	s_waitcnt vmcnt(0) lgkmcnt(0)
	ds_write2_b64 v5, v[0:1], v[2:3] offset1:1
	s_cbranch_execz .LBB194_17
	s_branch .LBB194_34
.LBB194_16:
.LBB194_17:
	v_lshlrev_b32_e32 v0, 4, v4
	v_sub_co_u32_e32 v2, vcc, v6, v0
	s_ashr_i32 s29, s28, 31
	s_nop 0
	v_subbrev_co_u32_e32 v3, vcc, 0, v7, vcc
	v_lshl_add_u64 v[2:3], s[28:29], 4, v[2:3]
	v_lshl_add_u64 v[2:3], v[2:3], 0, -16
	v_cmp_gt_i32_e32 vcc, s28, v4
	v_mul_u32_u24_e32 v1, 33, v10
	v_cmp_le_i32_e64 s[6:7], s28, v10
	v_cndmask_b32_e32 v3, v3, v7, vcc
	v_cndmask_b32_e32 v2, v2, v6, vcc
	v_add_lshl_u32 v1, v1, v4, 4
	s_and_saveexec_b64 s[8:9], s[6:7]
	s_xor_b64 s[6:7], exec, s[8:9]
	s_cbranch_execz .LBB194_19
; %bb.18:
	v_mov_b32_e32 v12, 0
	v_mov_b32_e32 v13, v12
	;; [unrolled: 1-line block ×4, first 2 shown]
	ds_write_b128 v1, v[12:15]
.LBB194_19:
	s_andn2_saveexec_b64 s[6:7], s[6:7]
	s_cbranch_execz .LBB194_21
; %bb.20:
	flat_load_dwordx4 v[12:15], v[2:3]
	s_waitcnt vmcnt(0) lgkmcnt(0)
	ds_write2_b64 v1, v[12:13], v[14:15] offset1:1
.LBB194_21:
	s_or_b64 exec, exec, s[6:7]
	v_add_u32_e32 v5, 8, v10
	v_cmp_le_i32_e64 s[6:7], s28, v5
	s_and_saveexec_b64 s[8:9], s[6:7]
	s_xor_b64 s[6:7], exec, s[8:9]
	s_cbranch_execz .LBB194_23
; %bb.22:
	v_mul_u32_u24_e32 v5, 33, v5
	v_mov_b32_e32 v12, 0
	v_add_lshl_u32 v5, v5, v4, 4
	v_mov_b32_e32 v13, v12
	v_mov_b32_e32 v14, v12
	;; [unrolled: 1-line block ×3, first 2 shown]
	ds_write_b128 v5, v[12:15]
.LBB194_23:
	s_andn2_saveexec_b64 s[6:7], s[6:7]
	s_cbranch_execz .LBB194_25
; %bb.24:
	s_lshl_b64 s[8:9], s[24:25], 7
	v_lshl_add_u64 v[8:9], v[2:3], 0, s[8:9]
	flat_load_dwordx4 v[12:15], v[8:9]
	v_add_u32_e32 v5, 0x1080, v1
	s_waitcnt vmcnt(0) lgkmcnt(0)
	ds_write2_b64 v5, v[12:13], v[14:15] offset1:1
.LBB194_25:
	s_or_b64 exec, exec, s[6:7]
	v_add_u32_e32 v5, 16, v10
	v_cmp_le_i32_e64 s[6:7], s28, v5
	s_and_saveexec_b64 s[8:9], s[6:7]
	s_xor_b64 s[6:7], exec, s[8:9]
	s_cbranch_execz .LBB194_27
; %bb.26:
	v_mov_b32_e32 v12, 0
	v_mov_b32_e32 v13, v12
	;; [unrolled: 1-line block ×4, first 2 shown]
	ds_write_b128 v1, v[12:15] offset:8448
.LBB194_27:
	s_andn2_saveexec_b64 s[6:7], s[6:7]
	s_cbranch_execz .LBB194_29
; %bb.28:
	s_lshl_b64 s[8:9], s[24:25], 8
	v_lshl_add_u64 v[8:9], v[2:3], 0, s[8:9]
	flat_load_dwordx4 v[12:15], v[8:9]
	v_add_u32_e32 v5, 0x2100, v1
	s_waitcnt vmcnt(0) lgkmcnt(0)
	ds_write2_b64 v5, v[12:13], v[14:15] offset1:1
.LBB194_29:
	s_or_b64 exec, exec, s[6:7]
	v_add_u32_e32 v5, 24, v10
	v_cmp_le_i32_e64 s[6:7], s28, v5
	s_and_saveexec_b64 s[8:9], s[6:7]
	s_xor_b64 s[6:7], exec, s[8:9]
	s_cbranch_execz .LBB194_31
; %bb.30:
	v_mov_b32_e32 v12, 0
	v_mov_b32_e32 v13, v12
	;; [unrolled: 1-line block ×4, first 2 shown]
	ds_write_b128 v1, v[12:15] offset:12672
                                        ; implicit-def: $vgpr1
.LBB194_31:
	s_andn2_saveexec_b64 s[6:7], s[6:7]
	s_cbranch_execz .LBB194_33
; %bb.32:
	v_mov_b32_e32 v5, 0x180
	v_mad_u64_u32 v[8:9], s[8:9], s24, v5, v[2:3]
	s_mul_i32 s8, s25, 0x180
	s_nop 0
	v_add_u32_e32 v9, s8, v9
	flat_load_dwordx4 v[12:15], v[8:9]
	v_add_u32_e32 v1, 0x3180, v1
	s_waitcnt vmcnt(0) lgkmcnt(0)
	ds_write2_b64 v1, v[12:13], v[14:15] offset1:1
.LBB194_33:
	s_or_b64 exec, exec, s[6:7]
	v_mov_b32_e32 v1, 0
	v_lshl_add_u64 v[0:1], v[2:3], 0, v[0:1]
	s_lshl_b64 s[6:7], s[28:29], 4
	v_mov_b32_e32 v2, s7
	v_subrev_co_u32_e64 v0, s[6:7], s6, v0
	s_nop 1
	v_subb_co_u32_e64 v1, s[6:7], v1, v2, s[6:7]
	v_lshl_add_u64 v[0:1], v[0:1], 0, 16
	v_cndmask_b32_e32 v7, v1, v7, vcc
	v_cndmask_b32_e32 v6, v0, v6, vcc
.LBB194_34:
	v_lshlrev_b32_e32 v0, 2, v10
	v_mul_u32_u24_e32 v44, 33, v4
	v_cmp_lt_u32_e64 s[8:9], v0, v4
	v_add_lshl_u32 v5, v0, v44, 4
	s_waitcnt lgkmcnt(0)
	s_barrier
	s_and_saveexec_b64 s[6:7], s[8:9]
	s_cbranch_execz .LBB194_36
; %bb.35:
	v_mul_u32_u24_e32 v1, 0x84, v10
	v_add_lshl_u32 v1, v1, v4, 4
	ds_read_b128 v[12:15], v1
	s_waitcnt lgkmcnt(0)
	ds_write_b128 v5, v[12:15]
.LBB194_36:
	s_or_b64 exec, exec, s[6:7]
	v_or_b32_e32 v1, 1, v0
	v_cmp_lt_u32_e64 s[10:11], v1, v4
	s_and_saveexec_b64 s[6:7], s[10:11]
	s_cbranch_execz .LBB194_38
; %bb.37:
	v_mul_u32_u24_e32 v1, 33, v1
	v_add_lshl_u32 v1, v1, v4, 4
	ds_read_b128 v[12:15], v1
	s_waitcnt lgkmcnt(0)
	ds_write_b128 v5, v[12:15] offset:16
.LBB194_38:
	s_or_b64 exec, exec, s[6:7]
	v_or_b32_e32 v1, 2, v0
	v_cmp_lt_u32_e64 s[12:13], v1, v4
	s_and_saveexec_b64 s[6:7], s[12:13]
	s_cbranch_execz .LBB194_40
; %bb.39:
	v_mul_u32_u24_e32 v1, 33, v1
	v_add_lshl_u32 v1, v1, v4, 4
	ds_read_b128 v[12:15], v1
	s_waitcnt lgkmcnt(0)
	ds_write_b128 v5, v[12:15] offset:32
.LBB194_40:
	s_or_b64 exec, exec, s[6:7]
	v_or_b32_e32 v1, 3, v0
	v_cmp_lt_u32_e64 s[14:15], v1, v4
	v_mad_u32_u24 v1, v1, 33, v4
	v_lshlrev_b32_e32 v11, 4, v1
	s_and_saveexec_b64 s[6:7], s[14:15]
	s_cbranch_execz .LBB194_42
; %bb.41:
	ds_read_b128 v[12:15], v11
	s_waitcnt lgkmcnt(0)
	ds_write_b128 v5, v[12:15] offset:48
.LBB194_42:
	s_or_b64 exec, exec, s[6:7]
	v_mul_u32_u24_e32 v1, 0x84, v10
	v_lshlrev_b32_e32 v14, 4, v0
	s_waitcnt lgkmcnt(0)
	s_barrier
	v_add_lshl_u32 v13, v1, v4, 4
	ds_read_b128 v[0:3], v14 offset:18176
	ds_read_b128 v[16:19], v13
	ds_read_b128 v[20:23], v14 offset:18192
	ds_read_b128 v[24:27], v14 offset:18208
	v_add_u32_e32 v12, 0xfffffbe0, v11
	ds_read_b128 v[28:31], v12
	ds_read_b128 v[32:35], v12 offset:528
	s_waitcnt lgkmcnt(4)
	v_mul_f64 v[8:9], v[2:3], v[18:19]
	v_fma_f64 v[8:9], v[0:1], v[16:17], -v[8:9]
	v_mul_f64 v[0:1], v[0:1], v[18:19]
	v_fmac_f64_e32 v[0:1], v[2:3], v[16:17]
	s_waitcnt lgkmcnt(1)
	v_mul_f64 v[16:17], v[20:21], v[30:31]
	v_add_f64 v[2:3], v[8:9], 0
	v_add_f64 v[0:1], v[0:1], 0
	v_mul_f64 v[8:9], v[22:23], v[30:31]
	v_fmac_f64_e32 v[16:17], v[22:23], v[28:29]
	v_fma_f64 v[8:9], v[20:21], v[28:29], -v[8:9]
	v_add_f64 v[20:21], v[0:1], v[16:17]
	s_waitcnt lgkmcnt(0)
	v_mul_f64 v[0:1], v[26:27], v[34:35]
	v_add_f64 v[8:9], v[2:3], v[8:9]
	v_fma_f64 v[22:23], v[24:25], v[32:33], -v[0:1]
	ds_read_b128 v[0:3], v14 offset:18224
	ds_read_b128 v[16:19], v11
	v_mul_f64 v[24:25], v[24:25], v[34:35]
	v_fmac_f64_e32 v[24:25], v[26:27], v[32:33]
	v_add_f64 v[8:9], v[8:9], v[22:23]
	v_add_f64 v[20:21], v[20:21], v[24:25]
	s_waitcnt lgkmcnt(0)
	v_mul_f64 v[22:23], v[2:3], v[18:19]
	v_mul_f64 v[18:19], v[0:1], v[18:19]
	v_fma_f64 v[22:23], v[0:1], v[16:17], -v[22:23]
	v_fmac_f64_e32 v[18:19], v[2:3], v[16:17]
	v_add_f64 v[0:1], v[8:9], v[22:23]
	v_add_f64 v[2:3], v[20:21], v[18:19]
	v_add_lshl_u32 v45, v10, v44, 4
	s_barrier
	ds_write_b128 v45, v[0:3]
	v_mov_b64_e32 v[0:1], 0
	v_cmp_gt_u32_e64 s[6:7], 32, v43
	v_mov_b64_e32 v[2:3], v[0:1]
	s_waitcnt lgkmcnt(0)
	s_barrier
	s_and_saveexec_b64 s[16:17], s[6:7]
	s_cbranch_execz .LBB194_44
; %bb.43:
	v_lshlrev_b32_e32 v15, 4, v44
	ds_read_b128 v[0:3], v15
	ds_read_b128 v[16:19], v15 offset:16
	ds_read_b128 v[20:23], v15 offset:32
	;; [unrolled: 1-line block ×3, first 2 shown]
	s_waitcnt lgkmcnt(2)
	v_add_f64 v[0:1], v[16:17], v[0:1]
	v_add_f64 v[8:9], v[18:19], v[2:3]
	s_waitcnt lgkmcnt(1)
	v_add_f64 v[16:17], v[0:1], v[20:21]
	ds_read_b128 v[0:3], v15 offset:64
	v_add_f64 v[8:9], v[8:9], v[22:23]
	s_waitcnt lgkmcnt(1)
	v_add_f64 v[20:21], v[16:17], v[24:25]
	ds_read_b128 v[16:19], v15 offset:80
	v_add_f64 v[8:9], v[8:9], v[26:27]
	s_waitcnt lgkmcnt(1)
	v_add_f64 v[24:25], v[20:21], v[0:1]
	ds_read_b128 v[20:23], v15 offset:96
	v_add_f64 v[8:9], v[8:9], v[2:3]
	ds_read_b128 v[0:3], v15 offset:112
	s_waitcnt lgkmcnt(2)
	v_add_f64 v[16:17], v[24:25], v[16:17]
	v_add_f64 v[8:9], v[8:9], v[18:19]
	s_waitcnt lgkmcnt(1)
	v_add_f64 v[16:17], v[16:17], v[20:21]
	v_add_f64 v[8:9], v[8:9], v[22:23]
	;; [unrolled: 3-line block ×3, first 2 shown]
.LBB194_44:
	s_or_b64 exec, exec, s[16:17]
	s_lshl_b64 s[16:17], s[24:25], 9
	v_lshl_add_u64 v[8:9], v[6:7], 0, s[16:17]
	s_mov_b64 s[38:39], 0x200
	v_cndmask_b32_e64 v6, 0, 1, s[20:21]
	v_cmp_ne_u32_e64 s[16:17], 1, v6
	s_andn2_b64 vcc, exec, s[20:21]
	v_lshl_add_u64 v[6:7], v[8:9], 0, s[38:39]
	s_barrier
	s_cbranch_vccnz .LBB194_46
; %bb.45:
	flat_load_dwordx4 v[16:19], v[6:7]
	v_mul_u32_u24_e32 v15, 33, v10
	s_lshl_b64 s[20:21], s[24:25], 7
	v_add_lshl_u32 v15, v15, v4, 4
	v_lshl_add_u64 v[20:21], v[8:9], 0, s[20:21]
	v_add_u32_e32 v22, 0x1080, v15
	s_mul_i32 s29, s25, 0x180
	s_waitcnt vmcnt(0) lgkmcnt(0)
	ds_write2_b64 v15, v[16:17], v[18:19] offset1:1
	flat_load_dwordx4 v[16:19], v[20:21] offset:512
	v_lshl_add_u64 v[20:21], v[20:21], 0, s[20:21]
	s_waitcnt vmcnt(0) lgkmcnt(0)
	ds_write2_b64 v22, v[16:17], v[18:19] offset1:1
	flat_load_dwordx4 v[16:19], v[20:21] offset:512
	v_mov_b32_e32 v20, 0x180
	v_mad_u64_u32 v[8:9], s[20:21], s24, v20, v[8:9]
	v_add_u32_e32 v20, 0x2100, v15
	v_add_u32_e32 v9, s29, v9
	s_waitcnt vmcnt(0) lgkmcnt(0)
	ds_write2_b64 v20, v[16:17], v[18:19] offset1:1
	flat_load_dwordx4 v[16:19], v[8:9] offset:512
	v_add_u32_e32 v8, 0x3180, v15
	s_waitcnt vmcnt(0) lgkmcnt(0)
	ds_write2_b64 v8, v[16:17], v[18:19] offset1:1
	s_cbranch_execz .LBB194_47
	s_branch .LBB194_64
.LBB194_46:
.LBB194_47:
	v_or_b32_e32 v15, 32, v4
	v_lshlrev_b32_e32 v8, 4, v15
	v_sub_co_u32_e32 v8, vcc, v6, v8
	s_ashr_i32 s29, s28, 31
	s_nop 0
	v_subbrev_co_u32_e32 v9, vcc, 0, v7, vcc
	v_lshl_add_u64 v[8:9], s[28:29], 4, v[8:9]
	v_lshl_add_u64 v[8:9], v[8:9], 0, -16
	v_cmp_gt_i32_e32 vcc, s28, v15
	s_sub_i32 s38, s28, 32
	v_mul_u32_u24_e32 v15, 33, v10
	v_cndmask_b32_e32 v9, v9, v7, vcc
	v_cndmask_b32_e32 v8, v8, v6, vcc
	v_cmp_le_i32_e64 s[20:21], s38, v10
	v_add_lshl_u32 v15, v15, v4, 4
	s_and_saveexec_b64 s[40:41], s[20:21]
	s_xor_b64 s[20:21], exec, s[40:41]
	s_cbranch_execz .LBB194_49
; %bb.48:
	v_mov_b32_e32 v16, 0
	v_mov_b32_e32 v17, v16
	;; [unrolled: 1-line block ×4, first 2 shown]
	ds_write_b128 v15, v[16:19]
.LBB194_49:
	s_andn2_saveexec_b64 s[20:21], s[20:21]
	s_cbranch_execz .LBB194_51
; %bb.50:
	flat_load_dwordx4 v[16:19], v[8:9]
	s_waitcnt vmcnt(0) lgkmcnt(0)
	ds_write2_b64 v15, v[16:17], v[18:19] offset1:1
.LBB194_51:
	s_or_b64 exec, exec, s[20:21]
	v_add_u32_e32 v16, 8, v10
	v_cmp_le_i32_e64 s[20:21], s38, v16
	s_and_saveexec_b64 s[40:41], s[20:21]
	s_xor_b64 s[20:21], exec, s[40:41]
	s_cbranch_execz .LBB194_53
; %bb.52:
	v_mul_u32_u24_e32 v16, 33, v16
	v_add_lshl_u32 v20, v16, v4, 4
	v_mov_b32_e32 v16, 0
	v_mov_b32_e32 v17, v16
	;; [unrolled: 1-line block ×4, first 2 shown]
	ds_write_b128 v20, v[16:19]
.LBB194_53:
	s_andn2_saveexec_b64 s[20:21], s[20:21]
	s_cbranch_execz .LBB194_55
; %bb.54:
	s_lshl_b64 s[40:41], s[24:25], 7
	v_lshl_add_u64 v[16:17], v[8:9], 0, s[40:41]
	flat_load_dwordx4 v[16:19], v[16:17]
	v_add_u32_e32 v20, 0x1080, v15
	s_waitcnt vmcnt(0) lgkmcnt(0)
	ds_write2_b64 v20, v[16:17], v[18:19] offset1:1
.LBB194_55:
	s_or_b64 exec, exec, s[20:21]
	v_add_u32_e32 v16, 16, v10
	v_cmp_le_i32_e64 s[20:21], s38, v16
	s_and_saveexec_b64 s[40:41], s[20:21]
	s_xor_b64 s[20:21], exec, s[40:41]
	s_cbranch_execz .LBB194_57
; %bb.56:
	v_mov_b32_e32 v16, 0
	v_mov_b32_e32 v17, v16
	;; [unrolled: 1-line block ×4, first 2 shown]
	ds_write_b128 v15, v[16:19] offset:8448
.LBB194_57:
	s_andn2_saveexec_b64 s[20:21], s[20:21]
	s_cbranch_execz .LBB194_59
; %bb.58:
	s_lshl_b64 s[40:41], s[24:25], 8
	v_lshl_add_u64 v[16:17], v[8:9], 0, s[40:41]
	flat_load_dwordx4 v[16:19], v[16:17]
	v_add_u32_e32 v20, 0x2100, v15
	s_waitcnt vmcnt(0) lgkmcnt(0)
	ds_write2_b64 v20, v[16:17], v[18:19] offset1:1
.LBB194_59:
	s_or_b64 exec, exec, s[20:21]
	v_add_u32_e32 v16, 24, v10
	v_cmp_le_i32_e64 s[20:21], s38, v16
	s_and_saveexec_b64 s[38:39], s[20:21]
	s_xor_b64 s[20:21], exec, s[38:39]
	s_cbranch_execz .LBB194_61
; %bb.60:
	v_mov_b32_e32 v16, 0
	v_mov_b32_e32 v17, v16
	;; [unrolled: 1-line block ×4, first 2 shown]
	ds_write_b128 v15, v[16:19] offset:12672
                                        ; implicit-def: $vgpr15
.LBB194_61:
	s_andn2_saveexec_b64 s[20:21], s[20:21]
	s_cbranch_execz .LBB194_63
; %bb.62:
	v_mov_b32_e32 v16, 0x180
	v_mad_u64_u32 v[16:17], s[38:39], s24, v16, v[8:9]
	s_mul_i32 s38, s25, 0x180
	s_nop 0
	v_add_u32_e32 v17, s38, v17
	flat_load_dwordx4 v[16:19], v[16:17]
	v_add_u32_e32 v15, 0x3180, v15
	s_waitcnt vmcnt(0) lgkmcnt(0)
	ds_write2_b64 v15, v[16:17], v[18:19] offset1:1
.LBB194_63:
	s_or_b64 exec, exec, s[20:21]
	v_lshlrev_b32_e32 v16, 4, v4
	v_mov_b32_e32 v17, 0
	v_lshl_add_u64 v[8:9], v[8:9], 0, v[16:17]
	s_lshl_b64 s[20:21], s[28:29], 4
	v_mov_b32_e32 v15, s21
	v_subrev_co_u32_e64 v8, s[20:21], s20, v8
	s_nop 1
	v_subb_co_u32_e64 v9, s[20:21], v9, v15, s[20:21]
	s_mov_b64 s[20:21], 0x210
	s_nop 0
	v_lshl_add_u64 v[8:9], v[8:9], 0, s[20:21]
	v_cndmask_b32_e32 v7, v9, v7, vcc
	v_cndmask_b32_e32 v6, v8, v6, vcc
.LBB194_64:
	v_add_u32_e32 v8, 0x4700, v14
	v_add_u32_e32 v9, 0x210, v12
	s_lshl_b64 s[20:21], s[24:25], 5
	s_waitcnt lgkmcnt(0)
	s_barrier
	s_and_saveexec_b64 s[38:39], s[8:9]
	s_cbranch_execnz .LBB194_73
; %bb.65:
	s_or_b64 exec, exec, s[38:39]
	s_and_saveexec_b64 s[8:9], s[10:11]
	s_cbranch_execnz .LBB194_74
.LBB194_66:
	s_or_b64 exec, exec, s[8:9]
	s_and_saveexec_b64 s[8:9], s[12:13]
	s_cbranch_execnz .LBB194_75
.LBB194_67:
	s_or_b64 exec, exec, s[8:9]
	s_and_saveexec_b64 s[8:9], s[14:15]
	s_cbranch_execz .LBB194_69
.LBB194_68:
	ds_read_b128 v[14:17], v11
	s_waitcnt lgkmcnt(0)
	ds_write_b128 v5, v[14:17] offset:48
.LBB194_69:
	s_or_b64 exec, exec, s[8:9]
	s_waitcnt lgkmcnt(0)
	s_barrier
	ds_read_b128 v[14:17], v8 offset:512
	ds_read_b128 v[18:21], v13
	ds_read_b128 v[22:25], v8 offset:528
	ds_read_b128 v[26:29], v8 offset:544
	v_cmp_eq_u32_e64 s[8:9], 1, v10
	s_waitcnt lgkmcnt(2)
	v_mul_f64 v[30:31], v[16:17], v[20:21]
	v_fma_f64 v[34:35], v[14:15], v[18:19], -v[30:31]
	ds_read_b128 v[30:33], v8 offset:560
	ds_read_b128 v[46:49], v12
	v_mul_f64 v[14:15], v[14:15], v[20:21]
	v_fmac_f64_e32 v[14:15], v[16:17], v[18:19]
	v_add_f64 v[18:19], v[14:15], 0
	v_add_f64 v[16:17], v[34:35], 0
	s_waitcnt lgkmcnt(0)
	v_mul_f64 v[14:15], v[24:25], v[48:49]
	v_fma_f64 v[20:21], v[22:23], v[46:47], -v[14:15]
	v_mul_f64 v[22:23], v[22:23], v[48:49]
	ds_read_b128 v[12:15], v12 offset:528
	v_fmac_f64_e32 v[22:23], v[24:25], v[46:47]
	v_add_f64 v[20:21], v[16:17], v[20:21]
	v_add_f64 v[22:23], v[18:19], v[22:23]
	ds_read_b128 v[16:19], v11
	s_waitcnt lgkmcnt(1)
	v_mul_f64 v[24:25], v[28:29], v[14:15]
	v_fma_f64 v[24:25], v[26:27], v[12:13], -v[24:25]
	v_mul_f64 v[14:15], v[26:27], v[14:15]
	v_fmac_f64_e32 v[14:15], v[28:29], v[12:13]
	v_add_f64 v[12:13], v[20:21], v[24:25]
	s_waitcnt lgkmcnt(0)
	v_mul_f64 v[20:21], v[32:33], v[18:19]
	v_mul_f64 v[18:19], v[30:31], v[18:19]
	v_add_f64 v[14:15], v[22:23], v[14:15]
	v_fma_f64 v[20:21], v[30:31], v[16:17], -v[20:21]
	v_fmac_f64_e32 v[18:19], v[32:33], v[16:17]
	v_add_f64 v[12:13], v[12:13], v[20:21]
	v_add_f64 v[14:15], v[14:15], v[18:19]
	s_barrier
	ds_write_b128 v45, v[12:15]
	s_waitcnt lgkmcnt(0)
	s_barrier
	s_and_saveexec_b64 s[10:11], s[8:9]
	s_cbranch_execz .LBB194_71
; %bb.70:
	v_lshlrev_b32_e32 v9, 4, v44
	ds_read_b128 v[0:3], v9
	ds_read_b128 v[12:15], v9 offset:16
	ds_read_b128 v[16:19], v9 offset:32
	;; [unrolled: 1-line block ×3, first 2 shown]
	s_waitcnt lgkmcnt(2)
	v_add_f64 v[0:1], v[12:13], v[0:1]
	v_add_f64 v[12:13], v[14:15], v[2:3]
	s_waitcnt lgkmcnt(1)
	v_add_f64 v[14:15], v[0:1], v[16:17]
	ds_read_b128 v[0:3], v9 offset:64
	v_add_f64 v[12:13], v[12:13], v[18:19]
	s_waitcnt lgkmcnt(1)
	v_add_f64 v[16:17], v[14:15], v[20:21]
	v_add_f64 v[20:21], v[12:13], v[22:23]
	ds_read_b128 v[12:15], v9 offset:80
	s_waitcnt lgkmcnt(1)
	v_add_f64 v[22:23], v[16:17], v[0:1]
	ds_read_b128 v[16:19], v9 offset:96
	v_add_f64 v[20:21], v[20:21], v[2:3]
	ds_read_b128 v[0:3], v9 offset:112
	s_waitcnt lgkmcnt(2)
	v_add_f64 v[12:13], v[22:23], v[12:13]
	v_add_f64 v[14:15], v[20:21], v[14:15]
	s_waitcnt lgkmcnt(1)
	v_add_f64 v[12:13], v[12:13], v[16:17]
	v_add_f64 v[14:15], v[14:15], v[18:19]
	;; [unrolled: 3-line block ×3, first 2 shown]
.LBB194_71:
	s_or_b64 exec, exec, s[10:11]
	s_lshl_b64 s[10:11], s[20:21], 4
	v_mov_b32_e32 v9, s11
	v_subrev_co_u32_e64 v40, s[10:11], s10, v6
	s_and_b64 vcc, exec, s[16:17]
	s_nop 0
	v_subb_co_u32_e64 v41, s[10:11], v7, v9, s[10:11]
	s_barrier
	s_cbranch_vccnz .LBB194_76
; %bb.72:
	flat_load_dwordx4 v[12:15], v[40:41]
	v_mad_u32_u24 v9, v10, 33, v4
	s_lshl_b64 s[10:11], s[24:25], 7
	v_lshlrev_b32_e32 v20, 4, v9
	v_lshl_add_u64 v[6:7], v[40:41], 0, s[10:11]
	v_add_u32_e32 v11, 0x1080, v20
	s_mul_i32 s12, s25, 0x180
	s_waitcnt vmcnt(0) lgkmcnt(0)
	ds_write2_b64 v20, v[12:13], v[14:15] offset1:1
	flat_load_dwordx4 v[12:15], v[6:7]
	v_lshl_add_u64 v[6:7], v[6:7], 0, s[10:11]
	s_waitcnt vmcnt(0) lgkmcnt(0)
	ds_write2_b64 v11, v[12:13], v[14:15] offset1:1
	flat_load_dwordx4 v[12:15], v[6:7]
	v_mov_b32_e32 v6, 0x180
	v_mad_u64_u32 v[6:7], s[10:11], s24, v6, v[40:41]
	v_add_u32_e32 v11, 0x2100, v20
	v_add_u32_e32 v7, s12, v7
	s_waitcnt vmcnt(0) lgkmcnt(0)
	ds_write2_b64 v11, v[12:13], v[14:15] offset1:1
	flat_load_dwordx4 v[16:19], v[6:7]
	v_add_u32_e32 v11, 8, v10
	v_add_u32_e32 v12, 16, v10
	;; [unrolled: 1-line block ×7, first 2 shown]
	s_waitcnt vmcnt(0) lgkmcnt(0)
	ds_write2_b64 v15, v[16:17], v[18:19] offset1:1
	s_cbranch_execz .LBB194_77
	s_branch .LBB194_94
.LBB194_73:
	ds_read_b128 v[14:17], v13
	s_waitcnt lgkmcnt(0)
	ds_write_b128 v5, v[14:17]
	s_or_b64 exec, exec, s[38:39]
	s_and_saveexec_b64 s[8:9], s[10:11]
	s_cbranch_execz .LBB194_66
.LBB194_74:
	ds_read_b128 v[14:17], v12
	s_waitcnt lgkmcnt(0)
	ds_write_b128 v5, v[14:17] offset:16
	s_or_b64 exec, exec, s[8:9]
	s_and_saveexec_b64 s[8:9], s[12:13]
	s_cbranch_execz .LBB194_67
.LBB194_75:
	ds_read_b128 v[14:17], v9
	s_waitcnt lgkmcnt(0)
	ds_write_b128 v5, v[14:17] offset:32
	s_or_b64 exec, exec, s[8:9]
	s_and_saveexec_b64 s[8:9], s[14:15]
	s_cbranch_execnz .LBB194_68
	s_branch .LBB194_69
.LBB194_76:
                                        ; implicit-def: $vgpr9
                                        ; implicit-def: $vgpr11
                                        ; implicit-def: $vgpr7
                                        ; implicit-def: $vgpr12
                                        ; implicit-def: $vgpr6
                                        ; implicit-def: $vgpr13
                                        ; implicit-def: $vgpr14
.LBB194_77:
	v_or_b32_e32 v9, 32, v4
	v_lshlrev_b32_e32 v6, 4, v9
	v_sub_co_u32_e32 v6, vcc, v40, v6
	s_ashr_i32 s29, s28, 31
	s_nop 0
	v_subbrev_co_u32_e32 v7, vcc, 0, v41, vcc
	v_lshl_add_u64 v[6:7], s[28:29], 4, v[6:7]
	v_lshl_add_u64 v[6:7], v[6:7], 0, -16
	v_cmp_gt_i32_e32 vcc, s28, v9
	v_mad_u32_u24 v9, v10, 33, v4
	v_cmp_le_i32_e64 s[10:11], s28, v10
	v_cndmask_b32_e32 v7, v7, v41, vcc
	v_cndmask_b32_e32 v6, v6, v40, vcc
	v_lshlrev_b32_e32 v15, 4, v9
	s_and_saveexec_b64 s[12:13], s[10:11]
	s_xor_b64 s[10:11], exec, s[12:13]
	s_cbranch_execz .LBB194_79
; %bb.78:
	v_mov_b32_e32 v16, 0
	v_mov_b32_e32 v17, v16
	;; [unrolled: 1-line block ×4, first 2 shown]
	ds_write_b128 v15, v[16:19]
.LBB194_79:
	s_andn2_saveexec_b64 s[10:11], s[10:11]
	s_cbranch_execz .LBB194_81
; %bb.80:
	flat_load_dwordx4 v[16:19], v[6:7]
	s_waitcnt vmcnt(0) lgkmcnt(0)
	ds_write2_b64 v15, v[16:17], v[18:19] offset1:1
.LBB194_81:
	s_or_b64 exec, exec, s[10:11]
	v_add_u32_e32 v11, 8, v10
	v_cmp_le_i32_e64 s[10:11], s28, v11
	s_and_saveexec_b64 s[12:13], s[10:11]
	s_xor_b64 s[10:11], exec, s[12:13]
	s_cbranch_execz .LBB194_83
; %bb.82:
	v_mul_u32_u24_e32 v12, 33, v11
	v_mov_b32_e32 v16, 0
	v_add_lshl_u32 v12, v12, v4, 4
	v_mov_b32_e32 v17, v16
	v_mov_b32_e32 v18, v16
	;; [unrolled: 1-line block ×3, first 2 shown]
	ds_write_b128 v12, v[16:19]
.LBB194_83:
	s_andn2_saveexec_b64 s[10:11], s[10:11]
	s_cbranch_execz .LBB194_85
; %bb.84:
	s_lshl_b64 s[12:13], s[24:25], 7
	v_lshl_add_u64 v[12:13], v[6:7], 0, s[12:13]
	flat_load_dwordx4 v[16:19], v[12:13]
	v_add_u32_e32 v12, 0x1080, v15
	s_waitcnt vmcnt(0) lgkmcnt(0)
	ds_write2_b64 v12, v[16:17], v[18:19] offset1:1
.LBB194_85:
	s_or_b64 exec, exec, s[10:11]
	v_add_u32_e32 v12, 16, v10
	v_cmp_le_i32_e64 s[10:11], s28, v12
	s_and_saveexec_b64 s[12:13], s[10:11]
	s_xor_b64 s[10:11], exec, s[12:13]
	s_cbranch_execz .LBB194_87
; %bb.86:
	v_mul_u32_u24_e32 v13, 33, v12
	v_mov_b32_e32 v16, 0
	v_add_lshl_u32 v13, v13, v4, 4
	v_mov_b32_e32 v17, v16
	v_mov_b32_e32 v18, v16
	;; [unrolled: 1-line block ×3, first 2 shown]
	ds_write_b128 v13, v[16:19]
.LBB194_87:
	s_andn2_saveexec_b64 s[10:11], s[10:11]
	s_cbranch_execz .LBB194_89
; %bb.88:
	s_lshl_b64 s[12:13], s[24:25], 8
	v_lshl_add_u64 v[16:17], v[6:7], 0, s[12:13]
	flat_load_dwordx4 v[16:19], v[16:17]
	v_add_u32_e32 v13, 0x2100, v15
	s_waitcnt vmcnt(0) lgkmcnt(0)
	ds_write2_b64 v13, v[16:17], v[18:19] offset1:1
.LBB194_89:
	s_or_b64 exec, exec, s[10:11]
	v_add_u32_e32 v13, 24, v10
	v_cmp_le_i32_e64 s[10:11], s28, v13
                                        ; implicit-def: $vgpr14
	s_and_saveexec_b64 s[12:13], s[10:11]
	s_xor_b64 s[10:11], exec, s[12:13]
	s_cbranch_execz .LBB194_91
; %bb.90:
	v_mov_b32_e32 v16, 0
	v_add_u32_e32 v14, 0x318, v9
	v_mov_b32_e32 v17, v16
	v_mov_b32_e32 v18, v16
	;; [unrolled: 1-line block ×3, first 2 shown]
	ds_write_b128 v15, v[16:19] offset:12672
                                        ; implicit-def: $vgpr15
.LBB194_91:
	s_andn2_saveexec_b64 s[10:11], s[10:11]
	s_cbranch_execz .LBB194_93
; %bb.92:
	v_mov_b32_e32 v14, 0x180
	v_mad_u64_u32 v[16:17], s[12:13], s24, v14, v[6:7]
	s_mul_i32 s12, s25, 0x180
	s_nop 0
	v_add_u32_e32 v17, s12, v17
	flat_load_dwordx4 v[16:19], v[16:17]
	v_add_u32_e32 v14, 0x318, v9
	v_add_u32_e32 v15, 0x3180, v15
	s_waitcnt vmcnt(0) lgkmcnt(0)
	ds_write2_b64 v15, v[16:17], v[18:19] offset1:1
.LBB194_93:
	s_or_b64 exec, exec, s[10:11]
	v_lshlrev_b32_e32 v16, 4, v4
	v_mov_b32_e32 v17, 0
	v_lshl_add_u64 v[6:7], v[6:7], 0, v[16:17]
	s_lshl_b64 s[10:11], s[28:29], 4
	v_mov_b32_e32 v4, s11
	v_subrev_co_u32_e64 v6, s[10:11], s10, v6
	s_nop 1
	v_subb_co_u32_e64 v7, s[10:11], v7, v4, s[10:11]
	s_mov_b64 s[10:11], 0x210
	s_nop 0
	v_lshl_add_u64 v[6:7], v[6:7], 0, s[10:11]
	v_cndmask_b32_e32 v41, v7, v41, vcc
	v_cndmask_b32_e32 v40, v6, v40, vcc
	v_add_u32_e32 v7, 0x108, v9
	v_add_u32_e32 v6, 0x210, v9
.LBB194_94:
	v_lshlrev_b32_e32 v4, 4, v9
	v_lshlrev_b32_e32 v9, 4, v10
	s_waitcnt lgkmcnt(0)
	s_barrier
	ds_read_b128 v[46:49], v9 offset:18176
	ds_read_b128 v[50:53], v4
	v_lshlrev_b32_e32 v4, 4, v7
	v_lshlrev_b32_e32 v7, 4, v11
	ds_read_b128 v[54:57], v7 offset:18176
	ds_read_b128 v[58:61], v4
	v_lshlrev_b32_e32 v4, 4, v6
	v_lshlrev_b32_e32 v6, 4, v12
	ds_read_b128 v[62:65], v6 offset:18176
	ds_read_b128 v[66:69], v4
	v_lshlrev_b32_e32 v6, 4, v13
	s_waitcnt lgkmcnt(4)
	v_mul_f64 v[10:11], v[48:49], v[52:53]
	v_lshlrev_b32_e32 v4, 4, v14
	ds_read_b128 v[70:73], v6 offset:18176
	ds_read_b128 v[74:77], v4
	v_fma_f64 v[10:11], v[46:47], v[50:51], -v[10:11]
	s_waitcnt lgkmcnt(4)
	v_mul_f64 v[16:17], v[56:57], v[60:61]
	v_add_f64 v[10:11], v[10:11], 0
	v_fma_f64 v[16:17], v[54:55], v[58:59], -v[16:17]
	v_add_f64 v[6:7], v[10:11], v[16:17]
	s_waitcnt lgkmcnt(2)
	v_mul_f64 v[10:11], v[64:65], v[68:69]
	v_fma_f64 v[10:11], v[62:63], v[66:67], -v[10:11]
	v_add_f64 v[6:7], v[6:7], v[10:11]
	s_waitcnt lgkmcnt(0)
	v_mul_f64 v[10:11], v[72:73], v[76:77]
	v_fma_f64 v[10:11], v[70:71], v[74:75], -v[10:11]
	v_add_f64 v[78:79], v[6:7], v[10:11]
	ds_read_b128 v[28:31], v5
	ds_read_b128 v[20:23], v5 offset:16
	ds_read_b128 v[12:15], v5 offset:32
	;; [unrolled: 1-line block ×7, first 2 shown]
	v_mul_f64 v[46:47], v[46:47], v[52:53]
	v_fmac_f64_e32 v[46:47], v[48:49], v[50:51]
	v_mul_f64 v[48:49], v[54:55], v[60:61]
	v_add_f64 v[46:47], v[46:47], 0
	v_fmac_f64_e32 v[48:49], v[56:57], v[58:59]
	v_add_f64 v[46:47], v[46:47], v[48:49]
	v_mul_f64 v[48:49], v[62:63], v[68:69]
	v_fmac_f64_e32 v[48:49], v[64:65], v[66:67]
	v_add_f64 v[46:47], v[46:47], v[48:49]
	v_mul_f64 v[48:49], v[70:71], v[76:77]
	v_fmac_f64_e32 v[48:49], v[72:73], v[74:75]
	v_add_f64 v[80:81], v[46:47], v[48:49]
	s_waitcnt lgkmcnt(0)
	s_barrier
	ds_write_b128 v45, v[78:81]
	s_waitcnt lgkmcnt(0)
	s_barrier
	s_and_saveexec_b64 s[10:11], s[8:9]
	s_cbranch_execz .LBB194_96
; %bb.95:
	v_lshlrev_b32_e32 v62, 4, v44
	ds_read_b128 v[46:49], v62
	ds_read_b128 v[50:53], v62 offset:16
	ds_read_b128 v[54:57], v62 offset:32
	ds_read_b128 v[58:61], v62 offset:48
	s_waitcnt lgkmcnt(3)
	v_add_f64 v[0:1], v[0:1], v[46:47]
	v_add_f64 v[2:3], v[2:3], v[48:49]
	s_waitcnt lgkmcnt(2)
	v_add_f64 v[0:1], v[0:1], v[50:51]
	v_add_f64 v[46:47], v[2:3], v[52:53]
	s_waitcnt lgkmcnt(1)
	v_add_f64 v[48:49], v[0:1], v[54:55]
	ds_read_b128 v[0:3], v62 offset:64
	v_add_f64 v[46:47], v[46:47], v[56:57]
	s_waitcnt lgkmcnt(1)
	v_add_f64 v[50:51], v[48:49], v[58:59]
	v_add_f64 v[54:55], v[46:47], v[60:61]
	ds_read_b128 v[46:49], v62 offset:80
	s_waitcnt lgkmcnt(1)
	v_add_f64 v[56:57], v[50:51], v[0:1]
	ds_read_b128 v[50:53], v62 offset:96
	v_add_f64 v[54:55], v[54:55], v[2:3]
	ds_read_b128 v[0:3], v62 offset:112
	s_waitcnt lgkmcnt(2)
	v_add_f64 v[46:47], v[56:57], v[46:47]
	v_add_f64 v[48:49], v[54:55], v[48:49]
	s_waitcnt lgkmcnt(1)
	v_add_f64 v[46:47], v[46:47], v[50:51]
	v_add_f64 v[48:49], v[48:49], v[52:53]
	;; [unrolled: 3-line block ×3, first 2 shown]
.LBB194_96:
	s_or_b64 exec, exec, s[10:11]
	v_mul_f64 v[46:47], v[30:31], v[34:35]
	v_fma_f64 v[46:47], v[28:29], v[32:33], -v[46:47]
	v_mul_f64 v[28:29], v[28:29], v[34:35]
	v_fmac_f64_e32 v[28:29], v[30:31], v[32:33]
	v_mul_f64 v[32:33], v[22:23], v[26:27]
	v_fma_f64 v[32:33], v[20:21], v[24:25], -v[32:33]
	v_mul_f64 v[20:21], v[20:21], v[26:27]
	v_fmac_f64_e32 v[20:21], v[22:23], v[24:25]
	v_mul_f64 v[24:25], v[14:15], v[18:19]
	v_add_f64 v[30:31], v[46:47], 0
	v_add_f64 v[28:29], v[28:29], 0
	v_fma_f64 v[24:25], v[12:13], v[16:17], -v[24:25]
	v_mul_f64 v[12:13], v[12:13], v[18:19]
	v_add_f64 v[22:23], v[30:31], v[32:33]
	v_add_f64 v[20:21], v[28:29], v[20:21]
	v_fmac_f64_e32 v[12:13], v[14:15], v[16:17]
	v_mul_f64 v[16:17], v[6:7], v[10:11]
	v_mul_f64 v[10:11], v[4:5], v[10:11]
	v_add_f64 v[14:15], v[22:23], v[24:25]
	v_add_f64 v[12:13], v[20:21], v[12:13]
	v_fma_f64 v[16:17], v[4:5], v[8:9], -v[16:17]
	v_fmac_f64_e32 v[10:11], v[6:7], v[8:9]
	v_add_f64 v[4:5], v[14:15], v[16:17]
	v_add_f64 v[6:7], v[12:13], v[10:11]
	s_barrier
	ds_write_b128 v45, v[4:7]
	s_waitcnt lgkmcnt(0)
	s_barrier
	s_and_saveexec_b64 s[8:9], s[6:7]
	s_cbranch_execz .LBB194_98
; %bb.97:
	v_lshlrev_b32_e32 v20, 4, v44
	ds_read_b128 v[4:7], v20
	ds_read_b128 v[8:11], v20 offset:16
	ds_read_b128 v[12:15], v20 offset:32
	;; [unrolled: 1-line block ×3, first 2 shown]
	s_waitcnt lgkmcnt(3)
	v_add_f64 v[0:1], v[0:1], v[4:5]
	v_add_f64 v[2:3], v[2:3], v[6:7]
	s_waitcnt lgkmcnt(2)
	v_add_f64 v[0:1], v[0:1], v[8:9]
	v_add_f64 v[4:5], v[2:3], v[10:11]
	s_waitcnt lgkmcnt(1)
	v_add_f64 v[6:7], v[0:1], v[12:13]
	ds_read_b128 v[0:3], v20 offset:64
	v_add_f64 v[4:5], v[4:5], v[14:15]
	s_waitcnt lgkmcnt(1)
	v_add_f64 v[8:9], v[6:7], v[16:17]
	v_add_f64 v[12:13], v[4:5], v[18:19]
	ds_read_b128 v[4:7], v20 offset:80
	s_waitcnt lgkmcnt(1)
	v_add_f64 v[14:15], v[8:9], v[0:1]
	ds_read_b128 v[8:11], v20 offset:96
	v_add_f64 v[12:13], v[12:13], v[2:3]
	ds_read_b128 v[0:3], v20 offset:112
	s_waitcnt lgkmcnt(2)
	v_add_f64 v[4:5], v[14:15], v[4:5]
	v_add_f64 v[6:7], v[12:13], v[6:7]
	s_waitcnt lgkmcnt(1)
	v_add_f64 v[4:5], v[4:5], v[8:9]
	v_add_f64 v[6:7], v[6:7], v[10:11]
	;; [unrolled: 3-line block ×3, first 2 shown]
.LBB194_98:
	s_or_b64 exec, exec, s[8:9]
	s_load_dwordx2 s[0:1], s[0:1], 0x78
	s_mul_hi_u32 s6, s3, s26
	s_mul_i32 s33, s33, s26
	s_add_i32 s6, s6, s33
	s_mul_i32 s8, s3, s26
	s_mul_i32 s6, s6, s27
	s_mul_hi_u32 s7, s8, s27
	s_add_i32 s7, s7, s6
	s_mul_i32 s6, s8, s27
	s_lshl_b64 s[6:7], s[6:7], 4
	s_waitcnt lgkmcnt(0)
	s_add_u32 s6, s0, s6
	s_mul_i32 s0, s2, s3
	s_addc_u32 s7, s1, s7
	s_ashr_i32 s1, s0, 31
	s_lshl_b64 s[0:1], s[0:1], 4
	s_add_u32 s6, s6, s0
	v_cmp_le_i32_e32 vcc, s28, v42
	s_addc_u32 s7, s7, s1
	s_and_b64 vcc, s[36:37], vcc
	s_cmp_lt_i32 s2, 1
	v_lshlrev_b32_e32 v134, 4, v42
	s_barrier
	s_cbranch_scc1 .LBB194_105
; %bb.99:
	s_mul_i32 s0, s30, s23
	s_mul_hi_u32 s1, s30, s22
	s_add_i32 s0, s1, s0
	s_mul_i32 s1, s31, s22
	s_add_i32 s1, s0, s1
	s_mul_i32 s0, s30, s22
	s_lshl_b64 s[0:1], s[0:1], 4
	v_mov_b32_e32 v4, s1
	v_subrev_co_u32_e64 v136, s[0:1], s0, v36
	v_lshlrev_b32_e32 v9, 2, v142
	s_nop 0
	v_subb_co_u32_e64 v137, s[0:1], v37, v4, s[0:1]
	v_mov_b32_e32 v4, s35
	v_subrev_co_u32_e64 v6, s[0:1], s34, v40
	s_ashr_i32 s29, s28, 31
	s_nop 0
	v_subb_co_u32_e64 v7, s[0:1], v41, v4, s[0:1]
	v_lshlrev_b64 v[4:5], 4, v[38:39]
	v_sub_co_u32_e64 v4, s[0:1], v6, v4
	v_mov_b32_e32 v139, 0
	s_nop 0
	v_subb_co_u32_e64 v5, s[0:1], v7, v5, s[0:1]
	v_mad_u64_u32 v[6:7], s[0:1], v9, s24, 0
	v_mov_b32_e32 v8, v7
	v_mad_u64_u32 v[8:9], s[0:1], v9, s25, v[8:9]
	v_mov_b32_e32 v7, v8
	s_movk_i32 s0, 0xfe00
	v_lshl_add_u64 v[4:5], v[6:7], 4, v[4:5]
	s_mov_b32 s1, -1
	v_lshl_add_u64 v[4:5], v[4:5], 0, s[0:1]
	v_lshl_add_u64 v[6:7], s[28:29], 4, v[4:5]
	v_mov_b32_e32 v135, v139
	v_lshl_add_u64 v[6:7], v[6:7], 0, -16
	v_lshl_add_u64 v[4:5], v[4:5], 0, v[134:135]
	v_cndmask_b32_e32 v8, v4, v6, vcc
	v_and_b32_e32 v4, 48, v42
	v_and_b32_e32 v10, 15, v42
	v_cndmask_b32_e32 v9, v5, v7, vcc
	v_lshlrev_b32_e32 v5, 4, v4
	s_movk_i32 s3, 0x430
	v_mad_u32_u24 v144, v10, s3, v5
	v_or_b32_e32 v5, 0xf0, v134
	v_mad_u32_u24 v145, v10, s3, v5
	v_lshlrev_b32_e32 v5, 2, v43
	v_and_b32_e32 v5, 0x7ffc0, v5
	v_mad_u32_u24 v146, v10, s3, v5
	v_mov_b32_e32 v5, 0x4300
	v_lshl_add_u32 v147, v142, 6, v5
	v_and_b32_e32 v5, 0x1fff0, v43
	s_movk_i32 s8, 0x10c0
	v_mad_u32_u24 v149, v10, s3, v5
	s_mul_i32 s3, s25, 0xd0
	s_mul_hi_u32 s10, s24, 0xd0
	v_add_u32_e32 v135, 0x4300, v134
	v_add_u32_e32 v143, 0x4700, v134
	v_cmp_gt_u32_e64 s[0:1], 64, v43
	v_mad_u32_u24 v148, v142, s8, v134
	s_lshl_b64 s[8:9], s[24:25], 4
	s_add_i32 s11, s10, s3
	s_mul_i32 s10, s24, 0xd0
	v_or_b32_e32 v150, v4, v10
	s_mov_b32 s3, 0
	s_branch .LBB194_101
.LBB194_100:                            ;   in Loop: Header=BB194_101 Depth=1
	s_or_b64 exec, exec, s[12:13]
	v_mul_f64 v[152:153], v[6:7], v[22:23]
	v_fma_f64 v[152:153], v[4:5], v[20:21], -v[152:153]
	v_mul_f64 v[4:5], v[4:5], v[22:23]
	v_mul_f64 v[22:23], v[10:11], v[42:43]
	v_add_f64 v[0:1], v[0:1], v[152:153]
	v_fma_f64 v[22:23], v[8:9], v[40:41], -v[22:23]
	v_add_f64 v[0:1], v[0:1], v[22:23]
	v_mul_f64 v[22:23], v[14:15], v[46:47]
	v_fma_f64 v[22:23], v[12:13], v[44:45], -v[22:23]
	v_add_f64 v[0:1], v[0:1], v[22:23]
	v_mul_f64 v[22:23], v[18:19], v[50:51]
	v_fmac_f64_e32 v[4:5], v[6:7], v[20:21]
	v_fma_f64 v[22:23], v[16:17], v[48:49], -v[22:23]
	v_add_f64 v[2:3], v[2:3], v[4:5]
	v_mul_f64 v[4:5], v[26:27], v[70:71]
	v_add_f64 v[0:1], v[0:1], v[22:23]
	v_fma_f64 v[4:5], v[24:25], v[68:69], -v[4:5]
	v_add_f64 v[0:1], v[0:1], v[4:5]
	v_mul_f64 v[4:5], v[30:31], v[82:83]
	v_fma_f64 v[4:5], v[28:29], v[80:81], -v[4:5]
	v_add_f64 v[0:1], v[0:1], v[4:5]
	v_mul_f64 v[4:5], v[38:39], v[78:79]
	;; [unrolled: 3-line block ×3, first 2 shown]
	v_fma_f64 v[4:5], v[32:33], v[72:73], -v[4:5]
	v_mul_f64 v[8:9], v[8:9], v[42:43]
	v_add_f64 v[0:1], v[0:1], v[4:5]
	v_mul_f64 v[4:5], v[66:67], v[102:103]
	v_mul_f64 v[12:13], v[12:13], v[46:47]
	v_fmac_f64_e32 v[8:9], v[10:11], v[40:41]
	v_fma_f64 v[4:5], v[64:65], v[100:101], -v[4:5]
	v_mul_f64 v[16:17], v[16:17], v[50:51]
	v_add_f64 v[2:3], v[2:3], v[8:9]
	v_fmac_f64_e32 v[12:13], v[14:15], v[44:45]
	v_add_f64 v[0:1], v[0:1], v[4:5]
	v_mul_f64 v[4:5], v[62:63], v[118:119]
	v_add_f64 v[2:3], v[2:3], v[12:13]
	v_fmac_f64_e32 v[16:17], v[18:19], v[48:49]
	v_mul_f64 v[6:7], v[24:25], v[70:71]
	v_fma_f64 v[4:5], v[60:61], v[116:117], -v[4:5]
	v_add_f64 v[2:3], v[2:3], v[16:17]
	v_mul_f64 v[8:9], v[28:29], v[82:83]
	v_fmac_f64_e32 v[6:7], v[26:27], v[68:69]
	v_add_f64 v[0:1], v[0:1], v[4:5]
	v_mul_f64 v[4:5], v[58:59], v[114:115]
	v_mul_f64 v[10:11], v[36:37], v[78:79]
	v_add_f64 v[2:3], v[2:3], v[6:7]
	v_fmac_f64_e32 v[8:9], v[30:31], v[80:81]
	v_fma_f64 v[4:5], v[56:57], v[112:113], -v[4:5]
	v_mul_f64 v[12:13], v[32:33], v[74:75]
	v_add_f64 v[2:3], v[2:3], v[8:9]
	v_fmac_f64_e32 v[10:11], v[38:39], v[76:77]
	v_add_f64 v[0:1], v[0:1], v[4:5]
	v_mul_f64 v[4:5], v[54:55], v[110:111]
	v_add_f64 v[2:3], v[2:3], v[10:11]
	v_fmac_f64_e32 v[12:13], v[34:35], v[72:73]
	v_mul_f64 v[6:7], v[64:65], v[102:103]
	v_fma_f64 v[4:5], v[52:53], v[108:109], -v[4:5]
	v_add_f64 v[2:3], v[2:3], v[12:13]
	v_mul_f64 v[8:9], v[60:61], v[118:119]
	v_add_f64 v[0:1], v[0:1], v[4:5]
	v_fmac_f64_e32 v[6:7], v[66:67], v[100:101]
	v_mul_f64 v[4:5], v[86:87], v[106:107]
	v_mul_f64 v[10:11], v[56:57], v[114:115]
	v_add_f64 v[2:3], v[2:3], v[6:7]
	v_fmac_f64_e32 v[8:9], v[62:63], v[116:117]
	v_fma_f64 v[4:5], v[84:85], v[104:105], -v[4:5]
	v_mul_f64 v[12:13], v[52:53], v[110:111]
	v_add_f64 v[2:3], v[2:3], v[8:9]
	v_fmac_f64_e32 v[10:11], v[58:59], v[112:113]
	v_add_f64 v[0:1], v[0:1], v[4:5]
	v_mul_f64 v[4:5], v[90:91], v[122:123]
	v_add_f64 v[2:3], v[2:3], v[10:11]
	v_fmac_f64_e32 v[12:13], v[54:55], v[108:109]
	v_mul_f64 v[6:7], v[84:85], v[106:107]
	v_fma_f64 v[4:5], v[88:89], v[120:121], -v[4:5]
	v_add_f64 v[2:3], v[2:3], v[12:13]
	v_mul_f64 v[8:9], v[88:89], v[122:123]
	v_add_f64 v[0:1], v[0:1], v[4:5]
	v_mul_f64 v[4:5], v[94:95], v[126:127]
	v_fmac_f64_e32 v[6:7], v[86:87], v[104:105]
	v_fma_f64 v[4:5], v[92:93], v[124:125], -v[4:5]
	v_mul_f64 v[10:11], v[92:93], v[126:127]
	v_fmac_f64_e32 v[8:9], v[90:91], v[120:121]
	v_add_f64 v[2:3], v[2:3], v[6:7]
	v_add_f64 v[0:1], v[0:1], v[4:5]
	v_mul_f64 v[4:5], v[98:99], v[130:131]
	v_mul_f64 v[12:13], v[96:97], v[130:131]
	v_fmac_f64_e32 v[10:11], v[94:95], v[124:125]
	v_add_f64 v[2:3], v[2:3], v[8:9]
	v_fma_f64 v[4:5], v[96:97], v[128:129], -v[4:5]
	v_fmac_f64_e32 v[12:13], v[98:99], v[128:129]
	v_add_f64 v[2:3], v[2:3], v[10:11]
	s_add_i32 s3, s3, 64
	s_add_i32 s2, s2, -1
	v_add_f64 v[0:1], v[0:1], v[4:5]
	v_add_f64 v[2:3], v[2:3], v[12:13]
	s_cmp_eq_u32 s2, 0
	v_lshl_add_u64 v[8:9], v[140:141], 0, s[10:11]
	s_barrier
	s_cbranch_scc1 .LBB194_105
.LBB194_101:                            ; =>This Inner Loop Header: Depth=1
	s_and_saveexec_b64 s[12:13], s[18:19]
	s_cbranch_execz .LBB194_103
; %bb.102:                              ;   in Loop: Header=BB194_101 Depth=1
	s_mul_i32 s14, s3, s23
	s_mul_hi_u32 s15, s3, s22
	s_add_i32 s15, s15, s14
	s_mul_i32 s14, s3, s22
	v_lshl_add_u64 v[4:5], s[14:15], 4, v[136:137]
	flat_load_dwordx4 v[4:7], v[4:5]
	s_waitcnt vmcnt(0) lgkmcnt(0)
	ds_write2_b64 v135, v[4:5], v[6:7] offset1:1
.LBB194_103:                            ;   in Loop: Header=BB194_101 Depth=1
	s_or_b64 exec, exec, s[12:13]
	s_waitcnt lgkmcnt(0)
	s_barrier
	flat_load_dwordx4 v[4:7], v[8:9]
	v_lshl_add_u64 v[12:13], v[8:9], 0, s[8:9]
	flat_load_dwordx4 v[8:11], v[12:13]
	v_lshl_add_u64 v[16:17], v[12:13], 0, s[8:9]
	;; [unrolled: 2-line block ×3, first 2 shown]
	flat_load_dwordx4 v[16:19], v[28:29]
	ds_read_b128 v[24:27], v143
	ds_read_b128 v[20:23], v147
	v_lshl_add_u64 v[36:37], v[28:29], 0, s[10:11]
	s_waitcnt vmcnt(0) lgkmcnt(0)
	v_mul_f64 v[28:29], v[6:7], v[26:27]
	v_mul_f64 v[30:31], v[4:5], v[26:27]
	v_fma_f64 v[28:29], v[4:5], v[24:25], -v[28:29]
	v_fmac_f64_e32 v[30:31], v[6:7], v[24:25]
	v_mul_f64 v[34:35], v[10:11], v[26:27]
	v_mul_f64 v[32:33], v[8:9], v[26:27]
	ds_write_b128 v148, v[28:31]
	v_fma_f64 v[30:31], v[8:9], v[24:25], -v[34:35]
	v_fmac_f64_e32 v[32:33], v[10:11], v[24:25]
	v_mul_f64 v[28:29], v[14:15], v[26:27]
	v_mul_f64 v[34:35], v[12:13], v[26:27]
	ds_read_b128 v[40:43], v147 offset:16
	ds_write_b128 v148, v[30:33] offset:1072
	v_fma_f64 v[32:33], v[12:13], v[24:25], -v[28:29]
	v_fmac_f64_e32 v[34:35], v[14:15], v[24:25]
	v_mul_f64 v[30:31], v[18:19], v[26:27]
	v_mul_f64 v[28:29], v[16:17], v[26:27]
	ds_read_b128 v[44:47], v147 offset:32
	ds_write_b128 v148, v[32:35] offset:2144
	v_fma_f64 v[26:27], v[16:17], v[24:25], -v[30:31]
	v_fmac_f64_e32 v[28:29], v[18:19], v[24:25]
	v_lshl_add_u64 v[32:33], v[36:37], 0, s[8:9]
	ds_read_b128 v[48:51], v147 offset:48
	ds_write_b128 v148, v[26:29] offset:3216
	s_waitcnt lgkmcnt(0)
	s_barrier
	ds_read_b128 v[128:131], v146
	ds_read_b128 v[124:127], v146 offset:16
	ds_read_b128 v[120:123], v146 offset:32
	;; [unrolled: 1-line block ×3, first 2 shown]
	s_waitcnt lgkmcnt(0)
	s_barrier
	flat_load_dwordx4 v[24:27], v[36:37]
	flat_load_dwordx4 v[28:31], v[32:33]
	v_lshl_add_u64 v[32:33], v[32:33], 0, s[8:9]
	v_lshl_add_u64 v[56:57], v[32:33], 0, s[8:9]
	flat_load_dwordx4 v[36:39], v[32:33]
	ds_read_b128 v[52:55], v143
	ds_read_b128 v[68:71], v147 offset:256
	flat_load_dwordx4 v[32:35], v[56:57]
	v_lshl_add_u64 v[88:89], v[56:57], 0, s[10:11]
	v_add_f64 v[128:129], v[128:129], 0
	v_add_f64 v[130:131], v[130:131], 0
	;; [unrolled: 1-line block ×8, first 2 shown]
	s_waitcnt vmcnt(0) lgkmcnt(0)
	v_mul_f64 v[58:59], v[26:27], v[54:55]
	v_mul_f64 v[56:57], v[24:25], v[54:55]
	;; [unrolled: 1-line block ×6, first 2 shown]
	v_fmac_f64_e32 v[56:57], v[26:27], v[52:53]
	v_mul_f64 v[72:73], v[34:35], v[54:55]
	v_mul_f64 v[86:87], v[32:33], v[54:55]
	v_fma_f64 v[54:55], v[24:25], v[52:53], -v[58:59]
	v_fma_f64 v[58:59], v[28:29], v[52:53], -v[62:63]
	v_fmac_f64_e32 v[60:61], v[30:31], v[52:53]
	ds_write_b128 v148, v[54:57]
	v_fma_f64 v[62:63], v[36:37], v[52:53], -v[66:67]
	v_fmac_f64_e32 v[64:65], v[38:39], v[52:53]
	ds_read_b128 v[80:83], v147 offset:272
	ds_write_b128 v148, v[58:61] offset:1072
	v_fma_f64 v[84:85], v[32:33], v[52:53], -v[72:73]
	v_fmac_f64_e32 v[86:87], v[34:35], v[52:53]
	ds_read_b128 v[76:79], v147 offset:288
	ds_write_b128 v148, v[62:65] offset:2144
	v_lshl_add_u64 v[52:53], v[88:89], 0, s[8:9]
	ds_read_b128 v[72:75], v147 offset:304
	ds_write_b128 v148, v[84:87] offset:3216
	s_waitcnt lgkmcnt(0)
	s_barrier
	ds_read_b128 v[152:155], v146
	ds_read_b128 v[156:159], v146 offset:16
	ds_read_b128 v[160:163], v146 offset:32
	;; [unrolled: 1-line block ×3, first 2 shown]
	s_waitcnt lgkmcnt(0)
	s_barrier
	flat_load_dwordx4 v[60:63], v[52:53]
	v_lshl_add_u64 v[52:53], v[52:53], 0, s[8:9]
	flat_load_dwordx4 v[64:67], v[88:89]
	v_lshl_add_u64 v[88:89], v[52:53], 0, s[8:9]
	flat_load_dwordx4 v[56:59], v[52:53]
	ds_read_b128 v[84:87], v143
	ds_read_b128 v[100:103], v147 offset:512
	flat_load_dwordx4 v[52:55], v[88:89]
	v_lshl_add_u64 v[98:99], v[88:89], 0, s[10:11]
	v_add_f64 v[104:105], v[152:153], 0
	v_add_f64 v[106:107], v[154:155], 0
	;; [unrolled: 1-line block ×8, first 2 shown]
	s_waitcnt vmcnt(0) lgkmcnt(0)
	v_mul_f64 v[94:95], v[62:63], v[86:87]
	v_mul_f64 v[92:93], v[60:61], v[86:87]
	;; [unrolled: 1-line block ×6, first 2 shown]
	v_fmac_f64_e32 v[88:89], v[66:67], v[84:85]
	v_mul_f64 v[110:111], v[54:55], v[86:87]
	v_mul_f64 v[170:171], v[52:53], v[86:87]
	v_fma_f64 v[86:87], v[64:65], v[84:85], -v[90:91]
	v_fma_f64 v[90:91], v[60:61], v[84:85], -v[94:95]
	v_fmac_f64_e32 v[92:93], v[62:63], v[84:85]
	ds_write_b128 v148, v[86:89]
	v_fma_f64 v[94:95], v[56:57], v[84:85], -v[108:109]
	v_fmac_f64_e32 v[96:97], v[58:59], v[84:85]
	ds_read_b128 v[116:119], v147 offset:528
	ds_write_b128 v148, v[90:93] offset:1072
	v_lshl_add_u64 v[92:93], v[98:99], 0, s[8:9]
	v_fma_f64 v[168:169], v[52:53], v[84:85], -v[110:111]
	v_fmac_f64_e32 v[170:171], v[54:55], v[84:85]
	ds_read_b128 v[112:115], v147 offset:544
	ds_write_b128 v148, v[94:97] offset:2144
	v_lshl_add_u64 v[96:97], v[92:93], 0, s[8:9]
	ds_read_b128 v[108:111], v147 offset:560
	ds_write_b128 v148, v[168:171] offset:3216
	s_waitcnt lgkmcnt(0)
	s_barrier
	ds_read_b128 v[168:171], v146
	ds_read_b128 v[172:175], v146 offset:16
	ds_read_b128 v[176:179], v146 offset:32
	;; [unrolled: 1-line block ×3, first 2 shown]
	s_waitcnt lgkmcnt(0)
	s_barrier
	flat_load_dwordx4 v[84:87], v[98:99]
	v_lshl_add_u64 v[140:141], v[96:97], 0, s[8:9]
	flat_load_dwordx4 v[88:91], v[92:93]
	v_add_f64 v[124:125], v[168:169], 0
	flat_load_dwordx4 v[92:95], v[96:97]
	v_add_f64 v[126:127], v[170:171], 0
	flat_load_dwordx4 v[96:99], v[140:141]
	ds_read_b128 v[120:123], v143
	ds_read_b128 v[104:107], v147 offset:768
	v_add_f64 v[124:125], v[124:125], v[172:173]
	v_add_f64 v[126:127], v[126:127], v[174:175]
	;; [unrolled: 1-line block ×6, first 2 shown]
	s_waitcnt vmcnt(0) lgkmcnt(0)
	v_mul_f64 v[126:127], v[86:87], v[122:123]
	v_mul_f64 v[124:125], v[84:85], v[122:123]
	v_mul_f64 v[130:131], v[90:91], v[122:123]
	v_mul_f64 v[128:129], v[88:89], v[122:123]
	v_mul_f64 v[160:161], v[94:95], v[122:123]
	v_mul_f64 v[162:163], v[92:93], v[122:123]
	v_mul_f64 v[164:165], v[98:99], v[122:123]
	v_mul_f64 v[166:167], v[96:97], v[122:123]
	v_fma_f64 v[122:123], v[84:85], v[120:121], -v[126:127]
	v_fmac_f64_e32 v[124:125], v[86:87], v[120:121]
	v_fma_f64 v[126:127], v[88:89], v[120:121], -v[130:131]
	v_fmac_f64_e32 v[128:129], v[90:91], v[120:121]
	ds_write_b128 v148, v[122:125]
	v_fma_f64 v[160:161], v[92:93], v[120:121], -v[160:161]
	v_fmac_f64_e32 v[162:163], v[94:95], v[120:121]
	v_fma_f64 v[164:165], v[96:97], v[120:121], -v[164:165]
	v_fmac_f64_e32 v[166:167], v[98:99], v[120:121]
	ds_read_b128 v[120:123], v147 offset:784
	ds_write_b128 v148, v[126:129] offset:1072
	ds_read_b128 v[124:127], v147 offset:800
	ds_write_b128 v148, v[160:163] offset:2144
	;; [unrolled: 2-line block ×3, first 2 shown]
	s_waitcnt lgkmcnt(0)
	s_barrier
	ds_read_b128 v[160:163], v146
	ds_read_b128 v[164:167], v146 offset:16
	ds_read_b128 v[168:171], v146 offset:32
	;; [unrolled: 1-line block ×3, first 2 shown]
	s_waitcnt lgkmcnt(0)
	s_barrier
	ds_write_b128 v149, v[184:187]
	ds_write_b128 v149, v[152:155] offset:256
	ds_write_b128 v149, v[156:159] offset:512
	v_add_f64 v[152:153], v[160:161], 0
	v_add_f64 v[154:155], v[162:163], 0
	;; [unrolled: 1-line block ×8, first 2 shown]
	ds_write_b128 v149, v[152:155] offset:768
	s_waitcnt lgkmcnt(0)
	s_barrier
	s_and_saveexec_b64 s[12:13], s[0:1]
	s_cbranch_execz .LBB194_100
; %bb.104:                              ;   in Loop: Header=BB194_101 Depth=1
	ds_read_b128 v[152:155], v144
	ds_read_b128 v[156:159], v144 offset:16
	ds_read_b128 v[160:163], v144 offset:32
	;; [unrolled: 1-line block ×3, first 2 shown]
	v_add_u32_e32 v138, s3, v150
	s_waitcnt lgkmcnt(2)
	v_add_f64 v[152:153], v[156:157], v[152:153]
	v_add_f64 v[156:157], v[158:159], v[154:155]
	s_waitcnt lgkmcnt(1)
	v_add_f64 v[158:159], v[152:153], v[160:161]
	ds_read_b128 v[152:155], v144 offset:64
	v_add_f64 v[160:161], v[156:157], v[162:163]
	s_waitcnt lgkmcnt(1)
	v_add_f64 v[162:163], v[158:159], v[164:165]
	ds_read_b128 v[156:159], v144 offset:80
	;; [unrolled: 4-line block ×9, first 2 shown]
	v_add_f64 v[154:155], v[164:165], v[154:155]
	s_waitcnt lgkmcnt(1)
	v_add_f64 v[156:157], v[152:153], v[156:157]
	v_add_f64 v[164:165], v[154:155], v[158:159]
	ds_read_b128 v[152:155], v144 offset:208
	s_waitcnt lgkmcnt(1)
	v_add_f64 v[166:167], v[156:157], v[160:161]
	ds_read_b128 v[156:159], v144 offset:224
	v_add_f64 v[164:165], v[164:165], v[162:163]
	ds_read_b128 v[160:163], v145
	s_waitcnt lgkmcnt(2)
	v_add_f64 v[152:153], v[166:167], v[152:153]
	v_add_f64 v[154:155], v[164:165], v[154:155]
	s_waitcnt lgkmcnt(1)
	v_add_f64 v[152:153], v[152:153], v[156:157]
	v_add_f64 v[154:155], v[154:155], v[158:159]
	;; [unrolled: 3-line block ×3, first 2 shown]
	v_lshl_add_u64 v[156:157], v[138:139], 4, s[6:7]
	global_store_dwordx4 v[156:157], v[152:155], off
	s_branch .LBB194_100
.LBB194_105:
	s_movk_i32 s0, 0x430
	v_mad_u32_u24 v4, v142, s0, v134
	s_or_b64 s[0:1], s[4:5], vcc
	s_xor_b64 s[0:1], s[0:1], -1
	ds_write_b128 v4, v[0:3]
	s_waitcnt lgkmcnt(0)
	s_barrier
	s_and_saveexec_b64 s[2:3], s[0:1]
	s_cbranch_execz .LBB194_107
; %bb.106:
	ds_read_b128 v[0:3], v134 offset:1072
	ds_read_b128 v[4:7], v134
	ds_read_b128 v[8:11], v134 offset:2144
	ds_read_b128 v[12:15], v134 offset:3216
	s_waitcnt lgkmcnt(2)
	v_add_f64 v[0:1], v[0:1], v[4:5]
	v_add_f64 v[2:3], v[2:3], v[6:7]
	s_waitcnt lgkmcnt(1)
	v_add_f64 v[0:1], v[0:1], v[8:9]
	v_add_f64 v[2:3], v[2:3], v[10:11]
	;; [unrolled: 3-line block ×3, first 2 shown]
	v_lshl_add_u64 v[4:5], v[132:133], 4, s[6:7]
	global_store_dwordx4 v[4:5], v[0:3], off
.LBB194_107:
	s_endpgm
	.section	.rodata,"a",@progbits
	.p2align	6, 0x0
	.amdhsa_kernel _ZL26rocblas_hemvn_kernel_lowerILb0ELi64ELi4ELi33ELi32ELi16El19rocblas_complex_numIdEPKPKS1_PS1_EviT6_lT7_lT5_lS8_lS9_lS7_lT8_i
		.amdhsa_group_segment_fixed_size 19200
		.amdhsa_private_segment_fixed_size 0
		.amdhsa_kernarg_size 392
		.amdhsa_user_sgpr_count 2
		.amdhsa_user_sgpr_dispatch_ptr 0
		.amdhsa_user_sgpr_queue_ptr 0
		.amdhsa_user_sgpr_kernarg_segment_ptr 1
		.amdhsa_user_sgpr_dispatch_id 0
		.amdhsa_user_sgpr_kernarg_preload_length 0
		.amdhsa_user_sgpr_kernarg_preload_offset 0
		.amdhsa_user_sgpr_private_segment_size 0
		.amdhsa_uses_dynamic_stack 0
		.amdhsa_enable_private_segment 0
		.amdhsa_system_sgpr_workgroup_id_x 1
		.amdhsa_system_sgpr_workgroup_id_y 0
		.amdhsa_system_sgpr_workgroup_id_z 1
		.amdhsa_system_sgpr_workgroup_info 0
		.amdhsa_system_vgpr_workitem_id 1
		.amdhsa_next_free_vgpr 188
		.amdhsa_next_free_sgpr 42
		.amdhsa_accum_offset 188
		.amdhsa_reserve_vcc 1
		.amdhsa_float_round_mode_32 0
		.amdhsa_float_round_mode_16_64 0
		.amdhsa_float_denorm_mode_32 3
		.amdhsa_float_denorm_mode_16_64 3
		.amdhsa_dx10_clamp 1
		.amdhsa_ieee_mode 1
		.amdhsa_fp16_overflow 0
		.amdhsa_tg_split 0
		.amdhsa_exception_fp_ieee_invalid_op 0
		.amdhsa_exception_fp_denorm_src 0
		.amdhsa_exception_fp_ieee_div_zero 0
		.amdhsa_exception_fp_ieee_overflow 0
		.amdhsa_exception_fp_ieee_underflow 0
		.amdhsa_exception_fp_ieee_inexact 0
		.amdhsa_exception_int_div_zero 0
	.end_amdhsa_kernel
	.section	.text._ZL26rocblas_hemvn_kernel_lowerILb0ELi64ELi4ELi33ELi32ELi16El19rocblas_complex_numIdEPKPKS1_PS1_EviT6_lT7_lT5_lS8_lS9_lS7_lT8_i,"axG",@progbits,_ZL26rocblas_hemvn_kernel_lowerILb0ELi64ELi4ELi33ELi32ELi16El19rocblas_complex_numIdEPKPKS1_PS1_EviT6_lT7_lT5_lS8_lS9_lS7_lT8_i,comdat
.Lfunc_end194:
	.size	_ZL26rocblas_hemvn_kernel_lowerILb0ELi64ELi4ELi33ELi32ELi16El19rocblas_complex_numIdEPKPKS1_PS1_EviT6_lT7_lT5_lS8_lS9_lS7_lT8_i, .Lfunc_end194-_ZL26rocblas_hemvn_kernel_lowerILb0ELi64ELi4ELi33ELi32ELi16El19rocblas_complex_numIdEPKPKS1_PS1_EviT6_lT7_lT5_lS8_lS9_lS7_lT8_i
                                        ; -- End function
	.section	.AMDGPU.csdata,"",@progbits
; Kernel info:
; codeLenInByte = 8948
; NumSgprs: 48
; NumVgprs: 188
; NumAgprs: 0
; TotalNumVgprs: 188
; ScratchSize: 0
; MemoryBound: 0
; FloatMode: 240
; IeeeMode: 1
; LDSByteSize: 19200 bytes/workgroup (compile time only)
; SGPRBlocks: 5
; VGPRBlocks: 23
; NumSGPRsForWavesPerEU: 48
; NumVGPRsForWavesPerEU: 188
; AccumOffset: 188
; Occupancy: 2
; WaveLimiterHint : 0
; COMPUTE_PGM_RSRC2:SCRATCH_EN: 0
; COMPUTE_PGM_RSRC2:USER_SGPR: 2
; COMPUTE_PGM_RSRC2:TRAP_HANDLER: 0
; COMPUTE_PGM_RSRC2:TGID_X_EN: 1
; COMPUTE_PGM_RSRC2:TGID_Y_EN: 0
; COMPUTE_PGM_RSRC2:TGID_Z_EN: 1
; COMPUTE_PGM_RSRC2:TIDIG_COMP_CNT: 1
; COMPUTE_PGM_RSRC3_GFX90A:ACCUM_OFFSET: 46
; COMPUTE_PGM_RSRC3_GFX90A:TG_SPLIT: 0
	.section	.text._ZL26rocblas_hemvn_kernel_lowerILb0ELi64ELi4ELi33ELi32ELi16Ei19rocblas_complex_numIdEPKPKS1_PS1_EviT6_lT7_lT5_lS8_lS9_lS7_lT8_i,"axG",@progbits,_ZL26rocblas_hemvn_kernel_lowerILb0ELi64ELi4ELi33ELi32ELi16Ei19rocblas_complex_numIdEPKPKS1_PS1_EviT6_lT7_lT5_lS8_lS9_lS7_lT8_i,comdat
	.globl	_ZL26rocblas_hemvn_kernel_lowerILb0ELi64ELi4ELi33ELi32ELi16Ei19rocblas_complex_numIdEPKPKS1_PS1_EviT6_lT7_lT5_lS8_lS9_lS7_lT8_i ; -- Begin function _ZL26rocblas_hemvn_kernel_lowerILb0ELi64ELi4ELi33ELi32ELi16Ei19rocblas_complex_numIdEPKPKS1_PS1_EviT6_lT7_lT5_lS8_lS9_lS7_lT8_i
	.p2align	8
	.type	_ZL26rocblas_hemvn_kernel_lowerILb0ELi64ELi4ELi33ELi32ELi16Ei19rocblas_complex_numIdEPKPKS1_PS1_EviT6_lT7_lT5_lS8_lS9_lS7_lT8_i,@function
_ZL26rocblas_hemvn_kernel_lowerILb0ELi64ELi4ELi33ELi32ELi16Ei19rocblas_complex_numIdEPKPKS1_PS1_EviT6_lT7_lT5_lS8_lS9_lS7_lT8_i: ; @_ZL26rocblas_hemvn_kernel_lowerILb0ELi64ELi4ELi33ELi32ELi16Ei19rocblas_complex_numIdEPKPKS1_PS1_EviT6_lT7_lT5_lS8_lS9_lS7_lT8_i
; %bb.0:
	s_load_dwordx2 s[4:5], s[0:1], 0x94
	s_add_u32 s8, s0, 0x88
	s_mov_b32 s22, s3
	s_addc_u32 s9, s1, 0
	s_waitcnt lgkmcnt(0)
	s_and_b32 s3, s5, 0xffff
	s_lshr_b32 s5, s4, 16
	s_and_b32 s4, s4, 0xffff
	s_mul_i32 s4, s5, s4
	s_mul_i32 s4, s4, s3
	s_cmpk_lg_i32 s4, 0x100
	s_cbranch_scc1 .LBB195_107
; %bb.1:
	s_load_dwordx4 s[12:15], s[0:1], 0x8
	s_mov_b64 s[4:5], 0
	s_waitcnt lgkmcnt(0)
	v_cmp_neq_f64_e64 s[6:7], s[12:13], 0
	v_cmp_neq_f64_e64 s[10:11], s[14:15], 0
	s_or_b64 s[10:11], s[6:7], s[10:11]
	s_and_b64 vcc, exec, s[10:11]
	s_cbranch_vccnz .LBB195_3
; %bb.2:
	s_load_dwordx4 s[12:15], s[0:1], 0x60
	s_mov_b64 s[6:7], 0
	s_waitcnt lgkmcnt(0)
	v_cmp_neq_f64_e64 s[4:5], s[12:13], 1.0
	v_cmp_neq_f64_e64 s[12:13], s[14:15], 0
	s_or_b64 s[4:5], s[4:5], s[12:13]
	s_cbranch_execz .LBB195_4
	s_branch .LBB195_5
.LBB195_3:
	s_mov_b64 s[6:7], -1
.LBB195_4:
	s_load_dwordx4 s[4:7], s[0:1], 0x20
	s_mov_b32 s23, 0
	s_lshl_b64 s[12:13], s[22:23], 3
	s_waitcnt lgkmcnt(0)
	s_add_u32 s4, s4, s12
	s_addc_u32 s5, s5, s13
	s_load_dwordx2 s[4:5], s[4:5], 0x0
	s_lshl_b64 s[6:7], s[6:7], 4
	s_waitcnt lgkmcnt(0)
	s_add_u32 s6, s4, s6
	s_addc_u32 s7, s5, s7
	s_mov_b64 s[4:5], -1
.LBB195_5:
	s_andn2_b64 vcc, exec, s[4:5]
	s_cbranch_vccnz .LBB195_107
; %bb.6:
	v_cndmask_b32_e64 v1, 0, 1, s[10:11]
	v_cmp_ne_u32_e64 s[4:5], 1, v1
	s_andn2_b64 vcc, exec, s[10:11]
	s_mov_b64 s[10:11], 0
	s_cbranch_vccnz .LBB195_8
; %bb.7:
	s_load_dwordx4 s[12:15], s[0:1], 0x40
	s_mov_b32 s23, 0
	s_lshl_b64 s[10:11], s[22:23], 3
	s_waitcnt lgkmcnt(0)
	s_add_u32 s10, s12, s10
	s_addc_u32 s11, s13, s11
	s_load_dwordx2 s[10:11], s[10:11], 0x0
	s_lshl_b64 s[12:13], s[14:15], 4
	s_waitcnt lgkmcnt(0)
	s_add_u32 s10, s10, s12
	s_addc_u32 s11, s11, s13
.LBB195_8:
	s_and_b64 vcc, exec, s[4:5]
	s_cbranch_vccnz .LBB195_107
; %bb.9:
	s_load_dword s33, s[8:9], 0x0
	s_load_dword s23, s[0:1], 0x0
	;; [unrolled: 1-line block ×3, first 2 shown]
	v_and_b32_e32 v42, 0x3ff, v0
	s_lshl_b32 s28, s2, 6
	v_add_u32_e32 v132, s28, v42
	s_waitcnt lgkmcnt(0)
	s_ashr_i32 s38, s23, 31
	s_lshr_b32 s5, s38, 26
	s_add_i32 s5, s23, s5
	s_andn2_b32 s5, s5, 63
	v_bfe_u32 v133, v0, 10, 10
	s_add_i32 s4, s33, -1
	s_sub_i32 s5, s23, s5
	v_mul_lo_u32 v0, v132, s3
	s_cmp_eq_u32 s2, s4
	v_ashrrev_i32_e32 v1, 31, v0
	s_cselect_b32 s24, s5, 0
	v_lshl_add_u64 v[36:37], v[0:1], 4, s[10:11]
	v_cmp_ne_u32_e64 s[4:5], 0, v133
	v_cmp_eq_u32_e64 s[18:19], 0, v133
	s_and_saveexec_b64 s[8:9], s[18:19]
	s_cbranch_execz .LBB195_14
; %bb.10:
	s_cmp_lg_u32 s24, 0
	s_cselect_b64 s[10:11], -1, 0
	v_cmp_le_i32_e32 vcc, s24, v42
	v_mov_b32_e32 v0, 0x4700
	s_and_b64 s[10:11], s[10:11], vcc
	v_lshl_add_u32 v0, v42, 4, v0
	s_and_saveexec_b64 s[12:13], s[10:11]
	s_xor_b64 s[10:11], exec, s[12:13]
	s_cbranch_execz .LBB195_12
; %bb.11:
	v_mov_b32_e32 v2, 0
	v_mov_b32_e32 v3, v2
	;; [unrolled: 1-line block ×4, first 2 shown]
	ds_write_b128 v0, v[2:5]
                                        ; implicit-def: $vgpr0
.LBB195_12:
	s_andn2_saveexec_b64 s[10:11], s[10:11]
	s_cbranch_execz .LBB195_14
; %bb.13:
	flat_load_dwordx4 v[2:5], v[36:37]
	s_waitcnt vmcnt(0) lgkmcnt(0)
	ds_write2_b64 v0, v[2:3], v[4:5] offset1:1
.LBB195_14:
	s_or_b64 exec, exec, s[8:9]
	s_load_dword s26, s[0:1], 0x30
	s_ashr_i32 s29, s28, 31
	v_lshl_add_u32 v43, v133, 6, v42
	s_lshl_b64 s[8:9], s[28:29], 4
	v_and_b32_e32 v4, 31, v42
	v_lshrrev_b32_e32 v5, 5, v43
	s_add_u32 s8, s6, s8
	s_addc_u32 s9, s7, s9
	s_waitcnt lgkmcnt(0)
	v_mad_u64_u32 v[38:39], s[6:7], v5, s26, v[4:5]
	s_mul_i32 s6, s28, s26
	s_ashr_i32 s7, s6, 31
	s_lshl_b64 s[30:31], s[6:7], 4
	s_add_u32 s6, s30, s8
	s_addc_u32 s7, s31, s9
	s_cmp_lg_u32 s24, 0
	v_ashrrev_i32_e32 v39, 31, v38
	s_cselect_b64 s[34:35], -1, 0
	s_cmp_eq_u32 s24, 0
	v_lshl_add_u64 v[6:7], v[38:39], 4, s[6:7]
	s_cselect_b64 s[20:21], -1, 0
	s_and_b64 vcc, exec, s[34:35]
	s_cbranch_vccnz .LBB195_16
; %bb.15:
	flat_load_dwordx4 v[0:3], v[6:7]
	v_mul_u32_u24_e32 v8, 33, v5
	s_lshl_b32 s6, s26, 3
	v_add_lshl_u32 v10, v8, v4, 4
	s_ashr_i32 s7, s6, 31
	v_lshl_add_u64 v[8:9], s[6:7], 4, v[6:7]
	s_ashr_i32 s27, s26, 31
	s_lshl_b64 s[6:7], s[26:27], 7
	v_add_u32_e32 v11, 0x1080, v10
	s_waitcnt vmcnt(0) lgkmcnt(0)
	ds_write2_b64 v10, v[0:1], v[2:3] offset1:1
	flat_load_dwordx4 v[0:3], v[8:9]
	v_lshl_add_u64 v[8:9], v[8:9], 0, s[6:7]
	s_waitcnt vmcnt(0) lgkmcnt(0)
	ds_write2_b64 v11, v[0:1], v[2:3] offset1:1
	flat_load_dwordx4 v[0:3], v[8:9]
	v_add_u32_e32 v11, 0x2100, v10
	v_lshl_add_u64 v[8:9], v[8:9], 0, s[6:7]
	s_waitcnt vmcnt(0) lgkmcnt(0)
	ds_write2_b64 v11, v[0:1], v[2:3] offset1:1
	flat_load_dwordx4 v[0:3], v[8:9]
	v_add_u32_e32 v8, 0x3180, v10
	s_waitcnt vmcnt(0) lgkmcnt(0)
	ds_write2_b64 v8, v[0:1], v[2:3] offset1:1
	s_cbranch_execz .LBB195_17
	s_branch .LBB195_34
.LBB195_16:
.LBB195_17:
	v_lshlrev_b32_e32 v0, 4, v4
	v_sub_co_u32_e32 v2, vcc, v6, v0
	s_ashr_i32 s25, s24, 31
	s_nop 0
	v_subbrev_co_u32_e32 v3, vcc, 0, v7, vcc
	v_lshl_add_u64 v[2:3], s[24:25], 4, v[2:3]
	v_lshl_add_u64 v[2:3], v[2:3], 0, -16
	v_cmp_gt_i32_e32 vcc, s24, v4
	v_mul_u32_u24_e32 v1, 33, v5
	v_cmp_le_i32_e64 s[6:7], s24, v5
	v_cndmask_b32_e32 v3, v3, v7, vcc
	v_cndmask_b32_e32 v2, v2, v6, vcc
	v_add_lshl_u32 v1, v1, v4, 4
	s_and_saveexec_b64 s[8:9], s[6:7]
	s_xor_b64 s[6:7], exec, s[8:9]
	s_cbranch_execz .LBB195_19
; %bb.18:
	v_mov_b32_e32 v8, 0
	v_mov_b32_e32 v9, v8
	;; [unrolled: 1-line block ×4, first 2 shown]
	ds_write_b128 v1, v[8:11]
.LBB195_19:
	s_andn2_saveexec_b64 s[6:7], s[6:7]
	s_cbranch_execz .LBB195_21
; %bb.20:
	flat_load_dwordx4 v[8:11], v[2:3]
	s_waitcnt vmcnt(0) lgkmcnt(0)
	ds_write2_b64 v1, v[8:9], v[10:11] offset1:1
.LBB195_21:
	s_or_b64 exec, exec, s[6:7]
	v_add_u32_e32 v8, 8, v5
	v_cmp_le_i32_e64 s[6:7], s24, v8
	s_and_saveexec_b64 s[8:9], s[6:7]
	s_xor_b64 s[6:7], exec, s[8:9]
	s_cbranch_execz .LBB195_23
; %bb.22:
	v_mul_u32_u24_e32 v8, 33, v8
	v_add_lshl_u32 v12, v8, v4, 4
	v_mov_b32_e32 v8, 0
	v_mov_b32_e32 v9, v8
	;; [unrolled: 1-line block ×4, first 2 shown]
	ds_write_b128 v12, v[8:11]
.LBB195_23:
	s_andn2_saveexec_b64 s[6:7], s[6:7]
	s_cbranch_execz .LBB195_25
; %bb.24:
	s_lshl_b32 s8, s26, 3
	s_ashr_i32 s9, s8, 31
	v_lshl_add_u64 v[8:9], s[8:9], 4, v[2:3]
	flat_load_dwordx4 v[8:11], v[8:9]
	v_add_u32_e32 v12, 0x1080, v1
	s_waitcnt vmcnt(0) lgkmcnt(0)
	ds_write2_b64 v12, v[8:9], v[10:11] offset1:1
.LBB195_25:
	s_or_b64 exec, exec, s[6:7]
	v_add_u32_e32 v8, 16, v5
	v_cmp_le_i32_e64 s[6:7], s24, v8
	s_and_saveexec_b64 s[8:9], s[6:7]
	s_xor_b64 s[6:7], exec, s[8:9]
	s_cbranch_execz .LBB195_27
; %bb.26:
	v_mul_u32_u24_e32 v8, 33, v8
	v_add_lshl_u32 v12, v8, v4, 4
	v_mov_b32_e32 v8, 0
	v_mov_b32_e32 v9, v8
	;; [unrolled: 1-line block ×4, first 2 shown]
	ds_write_b128 v12, v[8:11]
.LBB195_27:
	s_andn2_saveexec_b64 s[6:7], s[6:7]
	s_cbranch_execz .LBB195_29
; %bb.28:
	s_lshl_b32 s8, s26, 4
	s_ashr_i32 s9, s8, 31
	v_lshl_add_u64 v[8:9], s[8:9], 4, v[2:3]
	flat_load_dwordx4 v[8:11], v[8:9]
	v_add_u32_e32 v12, 0x2100, v1
	s_waitcnt vmcnt(0) lgkmcnt(0)
	ds_write2_b64 v12, v[8:9], v[10:11] offset1:1
.LBB195_29:
	s_or_b64 exec, exec, s[6:7]
	v_add_u32_e32 v8, 24, v5
	v_cmp_le_i32_e64 s[6:7], s24, v8
	s_and_saveexec_b64 s[8:9], s[6:7]
	s_xor_b64 s[6:7], exec, s[8:9]
	s_cbranch_execz .LBB195_31
; %bb.30:
	v_mov_b32_e32 v8, 0
	v_mov_b32_e32 v9, v8
	;; [unrolled: 1-line block ×4, first 2 shown]
	ds_write_b128 v1, v[8:11] offset:12672
                                        ; implicit-def: $vgpr1
.LBB195_31:
	s_andn2_saveexec_b64 s[6:7], s[6:7]
	s_cbranch_execz .LBB195_33
; %bb.32:
	s_mul_i32 s8, s26, 24
	s_ashr_i32 s9, s8, 31
	v_lshl_add_u64 v[8:9], s[8:9], 4, v[2:3]
	flat_load_dwordx4 v[8:11], v[8:9]
	v_add_u32_e32 v1, 0x3180, v1
	s_waitcnt vmcnt(0) lgkmcnt(0)
	ds_write2_b64 v1, v[8:9], v[10:11] offset1:1
.LBB195_33:
	s_or_b64 exec, exec, s[6:7]
	v_mov_b32_e32 v1, 0
	v_lshl_add_u64 v[0:1], v[2:3], 0, v[0:1]
	s_lshl_b64 s[6:7], s[24:25], 4
	v_mov_b32_e32 v2, s7
	v_subrev_co_u32_e64 v0, s[6:7], s6, v0
	s_nop 1
	v_subb_co_u32_e64 v1, s[6:7], v1, v2, s[6:7]
	v_lshl_add_u64 v[0:1], v[0:1], 0, 16
	v_cndmask_b32_e32 v7, v1, v7, vcc
	v_cndmask_b32_e32 v6, v0, v6, vcc
.LBB195_34:
	v_lshlrev_b32_e32 v0, 2, v5
	v_mul_u32_u24_e32 v44, 33, v4
	v_cmp_lt_u32_e64 s[8:9], v0, v4
	v_add_lshl_u32 v10, v0, v44, 4
	s_waitcnt lgkmcnt(0)
	s_barrier
	s_and_saveexec_b64 s[6:7], s[8:9]
	s_cbranch_execz .LBB195_36
; %bb.35:
	v_mul_u32_u24_e32 v1, 0x84, v5
	v_add_lshl_u32 v1, v1, v4, 4
	ds_read_b128 v[12:15], v1
	s_waitcnt lgkmcnt(0)
	ds_write_b128 v10, v[12:15]
.LBB195_36:
	s_or_b64 exec, exec, s[6:7]
	v_or_b32_e32 v1, 1, v0
	v_cmp_lt_u32_e64 s[10:11], v1, v4
	s_and_saveexec_b64 s[6:7], s[10:11]
	s_cbranch_execz .LBB195_38
; %bb.37:
	v_mul_u32_u24_e32 v1, 33, v1
	v_add_lshl_u32 v1, v1, v4, 4
	ds_read_b128 v[12:15], v1
	s_waitcnt lgkmcnt(0)
	ds_write_b128 v10, v[12:15] offset:16
.LBB195_38:
	s_or_b64 exec, exec, s[6:7]
	v_or_b32_e32 v1, 2, v0
	v_cmp_lt_u32_e64 s[12:13], v1, v4
	s_and_saveexec_b64 s[6:7], s[12:13]
	s_cbranch_execz .LBB195_40
; %bb.39:
	v_mul_u32_u24_e32 v1, 33, v1
	v_add_lshl_u32 v1, v1, v4, 4
	ds_read_b128 v[12:15], v1
	s_waitcnt lgkmcnt(0)
	ds_write_b128 v10, v[12:15] offset:32
.LBB195_40:
	s_or_b64 exec, exec, s[6:7]
	v_or_b32_e32 v1, 3, v0
	v_cmp_lt_u32_e64 s[14:15], v1, v4
	v_mad_u32_u24 v1, v1, 33, v4
	v_lshlrev_b32_e32 v11, 4, v1
	s_and_saveexec_b64 s[6:7], s[14:15]
	s_cbranch_execz .LBB195_42
; %bb.41:
	ds_read_b128 v[12:15], v11
	s_waitcnt lgkmcnt(0)
	ds_write_b128 v10, v[12:15] offset:48
.LBB195_42:
	s_or_b64 exec, exec, s[6:7]
	v_mul_u32_u24_e32 v1, 0x84, v5
	v_lshlrev_b32_e32 v14, 4, v0
	s_waitcnt lgkmcnt(0)
	s_barrier
	v_add_lshl_u32 v13, v1, v4, 4
	ds_read_b128 v[0:3], v14 offset:18176
	ds_read_b128 v[16:19], v13
	ds_read_b128 v[20:23], v14 offset:18192
	ds_read_b128 v[24:27], v14 offset:18208
	v_add_u32_e32 v12, 0xfffffbe0, v11
	ds_read_b128 v[28:31], v12
	ds_read_b128 v[32:35], v12 offset:528
	s_waitcnt lgkmcnt(4)
	v_mul_f64 v[8:9], v[2:3], v[18:19]
	v_fma_f64 v[8:9], v[0:1], v[16:17], -v[8:9]
	v_mul_f64 v[0:1], v[0:1], v[18:19]
	v_fmac_f64_e32 v[0:1], v[2:3], v[16:17]
	s_waitcnt lgkmcnt(1)
	v_mul_f64 v[16:17], v[20:21], v[30:31]
	v_add_f64 v[2:3], v[8:9], 0
	v_add_f64 v[0:1], v[0:1], 0
	v_mul_f64 v[8:9], v[22:23], v[30:31]
	v_fmac_f64_e32 v[16:17], v[22:23], v[28:29]
	v_fma_f64 v[8:9], v[20:21], v[28:29], -v[8:9]
	v_add_f64 v[20:21], v[0:1], v[16:17]
	s_waitcnt lgkmcnt(0)
	v_mul_f64 v[0:1], v[26:27], v[34:35]
	v_add_f64 v[8:9], v[2:3], v[8:9]
	v_fma_f64 v[22:23], v[24:25], v[32:33], -v[0:1]
	ds_read_b128 v[0:3], v14 offset:18224
	ds_read_b128 v[16:19], v11
	v_mul_f64 v[24:25], v[24:25], v[34:35]
	v_fmac_f64_e32 v[24:25], v[26:27], v[32:33]
	v_add_f64 v[8:9], v[8:9], v[22:23]
	v_add_f64 v[20:21], v[20:21], v[24:25]
	s_waitcnt lgkmcnt(0)
	v_mul_f64 v[22:23], v[2:3], v[18:19]
	v_mul_f64 v[18:19], v[0:1], v[18:19]
	v_fma_f64 v[22:23], v[0:1], v[16:17], -v[22:23]
	v_fmac_f64_e32 v[18:19], v[2:3], v[16:17]
	v_add_f64 v[0:1], v[8:9], v[22:23]
	v_add_f64 v[2:3], v[20:21], v[18:19]
	v_add_lshl_u32 v45, v5, v44, 4
	s_barrier
	ds_write_b128 v45, v[0:3]
	v_mov_b64_e32 v[0:1], 0
	v_cmp_gt_u32_e64 s[6:7], 32, v43
	v_mov_b64_e32 v[2:3], v[0:1]
	s_waitcnt lgkmcnt(0)
	s_barrier
	s_and_saveexec_b64 s[16:17], s[6:7]
	s_cbranch_execz .LBB195_44
; %bb.43:
	v_lshlrev_b32_e32 v15, 4, v44
	ds_read_b128 v[0:3], v15
	ds_read_b128 v[16:19], v15 offset:16
	ds_read_b128 v[20:23], v15 offset:32
	ds_read_b128 v[24:27], v15 offset:48
	s_waitcnt lgkmcnt(2)
	v_add_f64 v[0:1], v[16:17], v[0:1]
	v_add_f64 v[8:9], v[18:19], v[2:3]
	s_waitcnt lgkmcnt(1)
	v_add_f64 v[16:17], v[0:1], v[20:21]
	ds_read_b128 v[0:3], v15 offset:64
	v_add_f64 v[8:9], v[8:9], v[22:23]
	s_waitcnt lgkmcnt(1)
	v_add_f64 v[20:21], v[16:17], v[24:25]
	ds_read_b128 v[16:19], v15 offset:80
	;; [unrolled: 4-line block ×3, first 2 shown]
	v_add_f64 v[8:9], v[8:9], v[2:3]
	ds_read_b128 v[0:3], v15 offset:112
	s_waitcnt lgkmcnt(2)
	v_add_f64 v[16:17], v[24:25], v[16:17]
	v_add_f64 v[8:9], v[8:9], v[18:19]
	s_waitcnt lgkmcnt(1)
	v_add_f64 v[16:17], v[16:17], v[20:21]
	v_add_f64 v[8:9], v[8:9], v[22:23]
	;; [unrolled: 3-line block ×3, first 2 shown]
.LBB195_44:
	s_or_b64 exec, exec, s[16:17]
	s_lshl_b32 s36, s26, 5
	s_ashr_i32 s37, s36, 31
	v_lshl_add_u64 v[8:9], s[36:37], 4, v[6:7]
	s_mov_b64 s[40:41], 0x200
	v_cndmask_b32_e64 v6, 0, 1, s[20:21]
	v_cmp_ne_u32_e64 s[16:17], 1, v6
	s_andn2_b64 vcc, exec, s[20:21]
	v_lshl_add_u64 v[6:7], v[8:9], 0, s[40:41]
	s_barrier
	s_cbranch_vccnz .LBB195_46
; %bb.45:
	flat_load_dwordx4 v[16:19], v[6:7]
	v_mul_u32_u24_e32 v15, 33, v5
	s_lshl_b32 s20, s26, 3
	v_add_lshl_u32 v15, v15, v4, 4
	s_ashr_i32 s21, s20, 31
	v_lshl_add_u64 v[8:9], s[20:21], 4, v[8:9]
	s_ashr_i32 s27, s26, 31
	s_lshl_b64 s[20:21], s[26:27], 7
	v_add_u32_e32 v20, 0x1080, v15
	s_waitcnt vmcnt(0) lgkmcnt(0)
	ds_write2_b64 v15, v[16:17], v[18:19] offset1:1
	flat_load_dwordx4 v[16:19], v[8:9] offset:512
	v_lshl_add_u64 v[8:9], v[8:9], 0, s[20:21]
	s_waitcnt vmcnt(0) lgkmcnt(0)
	ds_write2_b64 v20, v[16:17], v[18:19] offset1:1
	flat_load_dwordx4 v[16:19], v[8:9] offset:512
	v_add_u32_e32 v20, 0x2100, v15
	v_lshl_add_u64 v[8:9], v[8:9], 0, s[20:21]
	s_waitcnt vmcnt(0) lgkmcnt(0)
	ds_write2_b64 v20, v[16:17], v[18:19] offset1:1
	flat_load_dwordx4 v[16:19], v[8:9] offset:512
	v_add_u32_e32 v8, 0x3180, v15
	s_waitcnt vmcnt(0) lgkmcnt(0)
	ds_write2_b64 v8, v[16:17], v[18:19] offset1:1
	s_cbranch_execz .LBB195_47
	s_branch .LBB195_64
.LBB195_46:
.LBB195_47:
	v_or_b32_e32 v15, 32, v4
	v_lshlrev_b32_e32 v8, 4, v15
	v_sub_co_u32_e32 v8, vcc, v6, v8
	s_ashr_i32 s25, s24, 31
	s_nop 0
	v_subbrev_co_u32_e32 v9, vcc, 0, v7, vcc
	v_lshl_add_u64 v[8:9], s[24:25], 4, v[8:9]
	v_lshl_add_u64 v[8:9], v[8:9], 0, -16
	v_cmp_gt_i32_e32 vcc, s24, v15
	s_sub_i32 s27, s24, 32
	v_mul_u32_u24_e32 v15, 33, v5
	v_cndmask_b32_e32 v9, v9, v7, vcc
	v_cndmask_b32_e32 v8, v8, v6, vcc
	v_cmp_le_i32_e64 s[20:21], s27, v5
	v_add_lshl_u32 v15, v15, v4, 4
	s_and_saveexec_b64 s[40:41], s[20:21]
	s_xor_b64 s[20:21], exec, s[40:41]
	s_cbranch_execz .LBB195_49
; %bb.48:
	v_mov_b32_e32 v16, 0
	v_mov_b32_e32 v17, v16
	;; [unrolled: 1-line block ×4, first 2 shown]
	ds_write_b128 v15, v[16:19]
.LBB195_49:
	s_andn2_saveexec_b64 s[20:21], s[20:21]
	s_cbranch_execz .LBB195_51
; %bb.50:
	flat_load_dwordx4 v[16:19], v[8:9]
	s_waitcnt vmcnt(0) lgkmcnt(0)
	ds_write2_b64 v15, v[16:17], v[18:19] offset1:1
.LBB195_51:
	s_or_b64 exec, exec, s[20:21]
	v_add_u32_e32 v16, 8, v5
	v_cmp_le_i32_e64 s[20:21], s27, v16
	s_and_saveexec_b64 s[40:41], s[20:21]
	s_xor_b64 s[20:21], exec, s[40:41]
	s_cbranch_execz .LBB195_53
; %bb.52:
	v_mul_u32_u24_e32 v16, 33, v16
	v_add_lshl_u32 v20, v16, v4, 4
	v_mov_b32_e32 v16, 0
	v_mov_b32_e32 v17, v16
	;; [unrolled: 1-line block ×4, first 2 shown]
	ds_write_b128 v20, v[16:19]
.LBB195_53:
	s_andn2_saveexec_b64 s[20:21], s[20:21]
	s_cbranch_execz .LBB195_55
; %bb.54:
	s_lshl_b32 s40, s26, 3
	s_ashr_i32 s41, s40, 31
	v_lshl_add_u64 v[16:17], s[40:41], 4, v[8:9]
	flat_load_dwordx4 v[16:19], v[16:17]
	v_add_u32_e32 v20, 0x1080, v15
	s_waitcnt vmcnt(0) lgkmcnt(0)
	ds_write2_b64 v20, v[16:17], v[18:19] offset1:1
.LBB195_55:
	s_or_b64 exec, exec, s[20:21]
	v_add_u32_e32 v16, 16, v5
	v_cmp_le_i32_e64 s[20:21], s27, v16
	s_and_saveexec_b64 s[40:41], s[20:21]
	s_xor_b64 s[20:21], exec, s[40:41]
	s_cbranch_execz .LBB195_57
; %bb.56:
	v_mul_u32_u24_e32 v16, 33, v16
	v_add_lshl_u32 v20, v16, v4, 4
	v_mov_b32_e32 v16, 0
	v_mov_b32_e32 v17, v16
	;; [unrolled: 1-line block ×4, first 2 shown]
	ds_write_b128 v20, v[16:19]
.LBB195_57:
	s_andn2_saveexec_b64 s[20:21], s[20:21]
	s_cbranch_execz .LBB195_59
; %bb.58:
	s_lshl_b32 s40, s26, 4
	s_ashr_i32 s41, s40, 31
	v_lshl_add_u64 v[16:17], s[40:41], 4, v[8:9]
	flat_load_dwordx4 v[16:19], v[16:17]
	v_add_u32_e32 v20, 0x2100, v15
	s_waitcnt vmcnt(0) lgkmcnt(0)
	ds_write2_b64 v20, v[16:17], v[18:19] offset1:1
.LBB195_59:
	s_or_b64 exec, exec, s[20:21]
	v_add_u32_e32 v16, 24, v5
	v_cmp_le_i32_e64 s[20:21], s27, v16
	s_and_saveexec_b64 s[40:41], s[20:21]
	s_xor_b64 s[20:21], exec, s[40:41]
	s_cbranch_execz .LBB195_61
; %bb.60:
	v_mov_b32_e32 v16, 0
	v_mov_b32_e32 v17, v16
	;; [unrolled: 1-line block ×4, first 2 shown]
	ds_write_b128 v15, v[16:19] offset:12672
                                        ; implicit-def: $vgpr15
.LBB195_61:
	s_andn2_saveexec_b64 s[20:21], s[20:21]
	s_cbranch_execz .LBB195_63
; %bb.62:
	s_mul_i32 s40, s26, 24
	s_ashr_i32 s41, s40, 31
	v_lshl_add_u64 v[16:17], s[40:41], 4, v[8:9]
	flat_load_dwordx4 v[16:19], v[16:17]
	v_add_u32_e32 v15, 0x3180, v15
	s_waitcnt vmcnt(0) lgkmcnt(0)
	ds_write2_b64 v15, v[16:17], v[18:19] offset1:1
.LBB195_63:
	s_or_b64 exec, exec, s[20:21]
	v_lshlrev_b32_e32 v16, 4, v4
	v_mov_b32_e32 v17, 0
	v_lshl_add_u64 v[8:9], v[8:9], 0, v[16:17]
	s_lshl_b64 s[20:21], s[24:25], 4
	v_mov_b32_e32 v15, s21
	v_subrev_co_u32_e64 v8, s[20:21], s20, v8
	s_nop 1
	v_subb_co_u32_e64 v9, s[20:21], v9, v15, s[20:21]
	s_mov_b64 s[20:21], 0x210
	s_nop 0
	v_lshl_add_u64 v[8:9], v[8:9], 0, s[20:21]
	v_cndmask_b32_e32 v7, v9, v7, vcc
	v_cndmask_b32_e32 v6, v8, v6, vcc
.LBB195_64:
	v_add_u32_e32 v8, 0x4700, v14
	v_add_u32_e32 v9, 0x210, v12
	s_waitcnt lgkmcnt(0)
	s_barrier
	s_and_saveexec_b64 s[20:21], s[8:9]
	s_cbranch_execnz .LBB195_73
; %bb.65:
	s_or_b64 exec, exec, s[20:21]
	s_and_saveexec_b64 s[8:9], s[10:11]
	s_cbranch_execnz .LBB195_74
.LBB195_66:
	s_or_b64 exec, exec, s[8:9]
	s_and_saveexec_b64 s[8:9], s[12:13]
	s_cbranch_execnz .LBB195_75
.LBB195_67:
	s_or_b64 exec, exec, s[8:9]
	s_and_saveexec_b64 s[8:9], s[14:15]
	s_cbranch_execz .LBB195_69
.LBB195_68:
	ds_read_b128 v[14:17], v11
	s_waitcnt lgkmcnt(0)
	ds_write_b128 v10, v[14:17] offset:48
.LBB195_69:
	s_or_b64 exec, exec, s[8:9]
	s_waitcnt lgkmcnt(0)
	s_barrier
	ds_read_b128 v[14:17], v8 offset:512
	ds_read_b128 v[18:21], v13
	ds_read_b128 v[22:25], v8 offset:528
	ds_read_b128 v[26:29], v8 offset:544
	v_cmp_eq_u32_e64 s[8:9], 1, v5
	s_waitcnt lgkmcnt(2)
	v_mul_f64 v[30:31], v[16:17], v[20:21]
	v_fma_f64 v[34:35], v[14:15], v[18:19], -v[30:31]
	ds_read_b128 v[30:33], v8 offset:560
	ds_read_b128 v[46:49], v12
	v_mul_f64 v[14:15], v[14:15], v[20:21]
	v_fmac_f64_e32 v[14:15], v[16:17], v[18:19]
	v_add_f64 v[18:19], v[14:15], 0
	v_add_f64 v[16:17], v[34:35], 0
	s_waitcnt lgkmcnt(0)
	v_mul_f64 v[14:15], v[24:25], v[48:49]
	v_fma_f64 v[20:21], v[22:23], v[46:47], -v[14:15]
	v_mul_f64 v[22:23], v[22:23], v[48:49]
	ds_read_b128 v[12:15], v12 offset:528
	v_fmac_f64_e32 v[22:23], v[24:25], v[46:47]
	v_add_f64 v[20:21], v[16:17], v[20:21]
	v_add_f64 v[22:23], v[18:19], v[22:23]
	ds_read_b128 v[16:19], v11
	s_waitcnt lgkmcnt(1)
	v_mul_f64 v[24:25], v[28:29], v[14:15]
	v_fma_f64 v[24:25], v[26:27], v[12:13], -v[24:25]
	v_mul_f64 v[14:15], v[26:27], v[14:15]
	v_fmac_f64_e32 v[14:15], v[28:29], v[12:13]
	v_add_f64 v[12:13], v[20:21], v[24:25]
	s_waitcnt lgkmcnt(0)
	v_mul_f64 v[20:21], v[32:33], v[18:19]
	v_mul_f64 v[18:19], v[30:31], v[18:19]
	v_add_f64 v[14:15], v[22:23], v[14:15]
	v_fma_f64 v[20:21], v[30:31], v[16:17], -v[20:21]
	v_fmac_f64_e32 v[18:19], v[32:33], v[16:17]
	v_add_f64 v[12:13], v[12:13], v[20:21]
	v_add_f64 v[14:15], v[14:15], v[18:19]
	s_barrier
	ds_write_b128 v45, v[12:15]
	s_waitcnt lgkmcnt(0)
	s_barrier
	s_and_saveexec_b64 s[10:11], s[8:9]
	s_cbranch_execz .LBB195_71
; %bb.70:
	v_lshlrev_b32_e32 v9, 4, v44
	ds_read_b128 v[0:3], v9
	ds_read_b128 v[12:15], v9 offset:16
	ds_read_b128 v[16:19], v9 offset:32
	;; [unrolled: 1-line block ×3, first 2 shown]
	s_waitcnt lgkmcnt(2)
	v_add_f64 v[0:1], v[12:13], v[0:1]
	v_add_f64 v[12:13], v[14:15], v[2:3]
	s_waitcnt lgkmcnt(1)
	v_add_f64 v[14:15], v[0:1], v[16:17]
	ds_read_b128 v[0:3], v9 offset:64
	v_add_f64 v[12:13], v[12:13], v[18:19]
	s_waitcnt lgkmcnt(1)
	v_add_f64 v[16:17], v[14:15], v[20:21]
	v_add_f64 v[20:21], v[12:13], v[22:23]
	ds_read_b128 v[12:15], v9 offset:80
	s_waitcnt lgkmcnt(1)
	v_add_f64 v[22:23], v[16:17], v[0:1]
	ds_read_b128 v[16:19], v9 offset:96
	v_add_f64 v[20:21], v[20:21], v[2:3]
	ds_read_b128 v[0:3], v9 offset:112
	s_waitcnt lgkmcnt(2)
	v_add_f64 v[12:13], v[22:23], v[12:13]
	v_add_f64 v[14:15], v[20:21], v[14:15]
	s_waitcnt lgkmcnt(1)
	v_add_f64 v[12:13], v[12:13], v[16:17]
	v_add_f64 v[14:15], v[14:15], v[18:19]
	;; [unrolled: 3-line block ×3, first 2 shown]
.LBB195_71:
	s_or_b64 exec, exec, s[10:11]
	s_lshl_b64 s[10:11], s[36:37], 4
	v_mov_b32_e32 v9, s11
	v_subrev_co_u32_e64 v40, s[10:11], s10, v6
	s_and_b64 vcc, exec, s[16:17]
	s_nop 0
	v_subb_co_u32_e64 v41, s[10:11], v7, v9, s[10:11]
	s_barrier
	s_cbranch_vccnz .LBB195_76
; %bb.72:
	flat_load_dwordx4 v[12:15], v[40:41]
	v_mad_u32_u24 v9, v5, 33, v4
	s_lshl_b32 s10, s26, 3
	v_lshlrev_b32_e32 v20, 4, v9
	s_ashr_i32 s11, s10, 31
	v_lshl_add_u64 v[6:7], s[10:11], 4, v[40:41]
	s_ashr_i32 s27, s26, 31
	s_lshl_b64 s[10:11], s[26:27], 7
	v_add_u32_e32 v11, 0x1080, v20
	s_waitcnt vmcnt(0) lgkmcnt(0)
	ds_write2_b64 v20, v[12:13], v[14:15] offset1:1
	flat_load_dwordx4 v[12:15], v[6:7]
	v_lshl_add_u64 v[6:7], v[6:7], 0, s[10:11]
	s_waitcnt vmcnt(0) lgkmcnt(0)
	ds_write2_b64 v11, v[12:13], v[14:15] offset1:1
	flat_load_dwordx4 v[12:15], v[6:7]
	v_add_u32_e32 v11, 0x2100, v20
	v_lshl_add_u64 v[6:7], v[6:7], 0, s[10:11]
	s_waitcnt vmcnt(0) lgkmcnt(0)
	ds_write2_b64 v11, v[12:13], v[14:15] offset1:1
	flat_load_dwordx4 v[16:19], v[6:7]
	v_add_u32_e32 v11, 8, v5
	v_add_u32_e32 v12, 16, v5
	;; [unrolled: 1-line block ×7, first 2 shown]
	s_waitcnt vmcnt(0) lgkmcnt(0)
	ds_write2_b64 v15, v[16:17], v[18:19] offset1:1
	s_cbranch_execz .LBB195_77
	s_branch .LBB195_94
.LBB195_73:
	ds_read_b128 v[14:17], v13
	s_waitcnt lgkmcnt(0)
	ds_write_b128 v10, v[14:17]
	s_or_b64 exec, exec, s[20:21]
	s_and_saveexec_b64 s[8:9], s[10:11]
	s_cbranch_execz .LBB195_66
.LBB195_74:
	ds_read_b128 v[14:17], v12
	s_waitcnt lgkmcnt(0)
	ds_write_b128 v10, v[14:17] offset:16
	s_or_b64 exec, exec, s[8:9]
	s_and_saveexec_b64 s[8:9], s[12:13]
	s_cbranch_execz .LBB195_67
.LBB195_75:
	ds_read_b128 v[14:17], v9
	s_waitcnt lgkmcnt(0)
	ds_write_b128 v10, v[14:17] offset:32
	s_or_b64 exec, exec, s[8:9]
	s_and_saveexec_b64 s[8:9], s[14:15]
	s_cbranch_execnz .LBB195_68
	s_branch .LBB195_69
.LBB195_76:
                                        ; implicit-def: $vgpr9
                                        ; implicit-def: $vgpr11
                                        ; implicit-def: $vgpr7
                                        ; implicit-def: $vgpr12
                                        ; implicit-def: $vgpr6
                                        ; implicit-def: $vgpr13
                                        ; implicit-def: $vgpr14
.LBB195_77:
	v_or_b32_e32 v9, 32, v4
	v_lshlrev_b32_e32 v6, 4, v9
	v_sub_co_u32_e32 v6, vcc, v40, v6
	s_ashr_i32 s25, s24, 31
	s_nop 0
	v_subbrev_co_u32_e32 v7, vcc, 0, v41, vcc
	v_lshl_add_u64 v[6:7], s[24:25], 4, v[6:7]
	v_lshl_add_u64 v[6:7], v[6:7], 0, -16
	v_cmp_gt_i32_e32 vcc, s24, v9
	v_mad_u32_u24 v9, v5, 33, v4
	v_cmp_le_i32_e64 s[10:11], s24, v5
	v_cndmask_b32_e32 v7, v7, v41, vcc
	v_cndmask_b32_e32 v6, v6, v40, vcc
	v_lshlrev_b32_e32 v15, 4, v9
	s_and_saveexec_b64 s[12:13], s[10:11]
	s_xor_b64 s[10:11], exec, s[12:13]
	s_cbranch_execz .LBB195_79
; %bb.78:
	v_mov_b32_e32 v16, 0
	v_mov_b32_e32 v17, v16
	;; [unrolled: 1-line block ×4, first 2 shown]
	ds_write_b128 v15, v[16:19]
.LBB195_79:
	s_andn2_saveexec_b64 s[10:11], s[10:11]
	s_cbranch_execz .LBB195_81
; %bb.80:
	flat_load_dwordx4 v[16:19], v[6:7]
	s_waitcnt vmcnt(0) lgkmcnt(0)
	ds_write2_b64 v15, v[16:17], v[18:19] offset1:1
.LBB195_81:
	s_or_b64 exec, exec, s[10:11]
	v_add_u32_e32 v11, 8, v5
	v_cmp_le_i32_e64 s[10:11], s24, v11
	s_and_saveexec_b64 s[12:13], s[10:11]
	s_xor_b64 s[10:11], exec, s[12:13]
	s_cbranch_execz .LBB195_83
; %bb.82:
	v_mul_u32_u24_e32 v12, 33, v11
	v_mov_b32_e32 v16, 0
	v_add_lshl_u32 v12, v12, v4, 4
	v_mov_b32_e32 v17, v16
	v_mov_b32_e32 v18, v16
	;; [unrolled: 1-line block ×3, first 2 shown]
	ds_write_b128 v12, v[16:19]
.LBB195_83:
	s_andn2_saveexec_b64 s[10:11], s[10:11]
	s_cbranch_execz .LBB195_85
; %bb.84:
	s_lshl_b32 s12, s26, 3
	s_ashr_i32 s13, s12, 31
	v_lshl_add_u64 v[12:13], s[12:13], 4, v[6:7]
	flat_load_dwordx4 v[16:19], v[12:13]
	v_add_u32_e32 v12, 0x1080, v15
	s_waitcnt vmcnt(0) lgkmcnt(0)
	ds_write2_b64 v12, v[16:17], v[18:19] offset1:1
.LBB195_85:
	s_or_b64 exec, exec, s[10:11]
	v_add_u32_e32 v12, 16, v5
	v_cmp_le_i32_e64 s[10:11], s24, v12
	s_and_saveexec_b64 s[12:13], s[10:11]
	s_xor_b64 s[10:11], exec, s[12:13]
	s_cbranch_execz .LBB195_87
; %bb.86:
	v_mul_u32_u24_e32 v13, 33, v12
	v_mov_b32_e32 v16, 0
	v_add_lshl_u32 v13, v13, v4, 4
	v_mov_b32_e32 v17, v16
	v_mov_b32_e32 v18, v16
	;; [unrolled: 1-line block ×3, first 2 shown]
	ds_write_b128 v13, v[16:19]
.LBB195_87:
	s_andn2_saveexec_b64 s[10:11], s[10:11]
	s_cbranch_execz .LBB195_89
; %bb.88:
	s_lshl_b32 s12, s26, 4
	s_ashr_i32 s13, s12, 31
	v_lshl_add_u64 v[16:17], s[12:13], 4, v[6:7]
	flat_load_dwordx4 v[16:19], v[16:17]
	v_add_u32_e32 v13, 0x2100, v15
	s_waitcnt vmcnt(0) lgkmcnt(0)
	ds_write2_b64 v13, v[16:17], v[18:19] offset1:1
.LBB195_89:
	s_or_b64 exec, exec, s[10:11]
	v_add_u32_e32 v13, 24, v5
	v_cmp_le_i32_e64 s[10:11], s24, v13
                                        ; implicit-def: $vgpr14
	s_and_saveexec_b64 s[12:13], s[10:11]
	s_xor_b64 s[10:11], exec, s[12:13]
	s_cbranch_execz .LBB195_91
; %bb.90:
	v_mad_u32_u24 v14, v13, 33, v4
	v_mov_b32_e32 v16, 0
	v_lshlrev_b32_e32 v15, 4, v14
	v_mov_b32_e32 v17, v16
	v_mov_b32_e32 v18, v16
	;; [unrolled: 1-line block ×3, first 2 shown]
	ds_write_b128 v15, v[16:19]
                                        ; implicit-def: $vgpr15
.LBB195_91:
	s_andn2_saveexec_b64 s[10:11], s[10:11]
	s_cbranch_execz .LBB195_93
; %bb.92:
	s_mul_i32 s12, s26, 24
	s_ashr_i32 s13, s12, 31
	v_lshl_add_u64 v[16:17], s[12:13], 4, v[6:7]
	flat_load_dwordx4 v[16:19], v[16:17]
	v_add_u32_e32 v14, 0x318, v9
	v_add_u32_e32 v15, 0x3180, v15
	s_waitcnt vmcnt(0) lgkmcnt(0)
	ds_write2_b64 v15, v[16:17], v[18:19] offset1:1
.LBB195_93:
	s_or_b64 exec, exec, s[10:11]
	v_lshlrev_b32_e32 v16, 4, v4
	v_mov_b32_e32 v17, 0
	v_lshl_add_u64 v[6:7], v[6:7], 0, v[16:17]
	s_lshl_b64 s[10:11], s[24:25], 4
	v_mov_b32_e32 v4, s11
	v_subrev_co_u32_e64 v6, s[10:11], s10, v6
	s_nop 1
	v_subb_co_u32_e64 v7, s[10:11], v7, v4, s[10:11]
	s_mov_b64 s[10:11], 0x210
	s_nop 0
	v_lshl_add_u64 v[6:7], v[6:7], 0, s[10:11]
	v_cndmask_b32_e32 v41, v7, v41, vcc
	v_cndmask_b32_e32 v40, v6, v40, vcc
	v_add_u32_e32 v7, 0x108, v9
	v_add_u32_e32 v6, 0x210, v9
.LBB195_94:
	v_lshlrev_b32_e32 v5, 4, v5
	s_waitcnt lgkmcnt(0)
	s_barrier
	v_lshlrev_b32_e32 v4, 4, v9
	ds_read_b128 v[46:49], v5 offset:18176
	ds_read_b128 v[50:53], v4
	v_lshlrev_b32_e32 v5, 4, v11
	v_lshlrev_b32_e32 v4, 4, v7
	ds_read_b128 v[54:57], v5 offset:18176
	ds_read_b128 v[58:61], v4
	v_lshlrev_b32_e32 v7, 4, v12
	;; [unrolled: 4-line block ×3, first 2 shown]
	v_lshlrev_b32_e32 v6, 4, v14
	ds_read_b128 v[70:73], v7 offset:18176
	ds_read_b128 v[74:77], v6
	s_waitcnt lgkmcnt(6)
	v_mul_f64 v[4:5], v[48:49], v[52:53]
	v_fma_f64 v[4:5], v[46:47], v[50:51], -v[4:5]
	s_waitcnt lgkmcnt(4)
	v_mul_f64 v[16:17], v[56:57], v[60:61]
	v_add_f64 v[4:5], v[4:5], 0
	v_fma_f64 v[16:17], v[54:55], v[58:59], -v[16:17]
	s_waitcnt lgkmcnt(2)
	v_mul_f64 v[6:7], v[64:65], v[68:69]
	v_add_f64 v[4:5], v[4:5], v[16:17]
	v_fma_f64 v[6:7], v[62:63], v[66:67], -v[6:7]
	v_add_f64 v[4:5], v[4:5], v[6:7]
	s_waitcnt lgkmcnt(0)
	v_mul_f64 v[6:7], v[72:73], v[76:77]
	v_fma_f64 v[6:7], v[70:71], v[74:75], -v[6:7]
	v_add_f64 v[78:79], v[4:5], v[6:7]
	ds_read_b128 v[28:31], v10
	ds_read_b128 v[20:23], v10 offset:16
	ds_read_b128 v[12:15], v10 offset:32
	;; [unrolled: 1-line block ×7, first 2 shown]
	v_mul_f64 v[46:47], v[46:47], v[52:53]
	v_fmac_f64_e32 v[46:47], v[48:49], v[50:51]
	v_mul_f64 v[48:49], v[54:55], v[60:61]
	v_add_f64 v[46:47], v[46:47], 0
	v_fmac_f64_e32 v[48:49], v[56:57], v[58:59]
	v_add_f64 v[46:47], v[46:47], v[48:49]
	v_mul_f64 v[48:49], v[62:63], v[68:69]
	v_fmac_f64_e32 v[48:49], v[64:65], v[66:67]
	v_add_f64 v[46:47], v[46:47], v[48:49]
	v_mul_f64 v[48:49], v[70:71], v[76:77]
	v_fmac_f64_e32 v[48:49], v[72:73], v[74:75]
	v_add_f64 v[80:81], v[46:47], v[48:49]
	s_waitcnt lgkmcnt(0)
	s_barrier
	ds_write_b128 v45, v[78:81]
	s_waitcnt lgkmcnt(0)
	s_barrier
	s_and_saveexec_b64 s[10:11], s[8:9]
	s_cbranch_execz .LBB195_96
; %bb.95:
	v_lshlrev_b32_e32 v62, 4, v44
	ds_read_b128 v[46:49], v62
	ds_read_b128 v[50:53], v62 offset:16
	ds_read_b128 v[54:57], v62 offset:32
	;; [unrolled: 1-line block ×3, first 2 shown]
	s_waitcnt lgkmcnt(3)
	v_add_f64 v[0:1], v[0:1], v[46:47]
	v_add_f64 v[2:3], v[2:3], v[48:49]
	s_waitcnt lgkmcnt(2)
	v_add_f64 v[0:1], v[0:1], v[50:51]
	v_add_f64 v[46:47], v[2:3], v[52:53]
	s_waitcnt lgkmcnt(1)
	v_add_f64 v[48:49], v[0:1], v[54:55]
	ds_read_b128 v[0:3], v62 offset:64
	v_add_f64 v[46:47], v[46:47], v[56:57]
	s_waitcnt lgkmcnt(1)
	v_add_f64 v[50:51], v[48:49], v[58:59]
	v_add_f64 v[54:55], v[46:47], v[60:61]
	ds_read_b128 v[46:49], v62 offset:80
	s_waitcnt lgkmcnt(1)
	v_add_f64 v[56:57], v[50:51], v[0:1]
	ds_read_b128 v[50:53], v62 offset:96
	v_add_f64 v[54:55], v[54:55], v[2:3]
	ds_read_b128 v[0:3], v62 offset:112
	s_waitcnt lgkmcnt(2)
	v_add_f64 v[46:47], v[56:57], v[46:47]
	v_add_f64 v[48:49], v[54:55], v[48:49]
	s_waitcnt lgkmcnt(1)
	v_add_f64 v[46:47], v[46:47], v[50:51]
	v_add_f64 v[48:49], v[48:49], v[52:53]
	s_waitcnt lgkmcnt(0)
	v_add_f64 v[0:1], v[46:47], v[0:1]
	v_add_f64 v[2:3], v[48:49], v[2:3]
.LBB195_96:
	s_or_b64 exec, exec, s[10:11]
	v_mul_f64 v[46:47], v[30:31], v[34:35]
	v_fma_f64 v[46:47], v[28:29], v[32:33], -v[46:47]
	v_mul_f64 v[28:29], v[28:29], v[34:35]
	v_fmac_f64_e32 v[28:29], v[30:31], v[32:33]
	v_mul_f64 v[32:33], v[22:23], v[26:27]
	v_fma_f64 v[32:33], v[20:21], v[24:25], -v[32:33]
	v_mul_f64 v[20:21], v[20:21], v[26:27]
	v_fmac_f64_e32 v[20:21], v[22:23], v[24:25]
	v_mul_f64 v[24:25], v[14:15], v[18:19]
	v_add_f64 v[30:31], v[46:47], 0
	v_add_f64 v[28:29], v[28:29], 0
	v_fma_f64 v[24:25], v[12:13], v[16:17], -v[24:25]
	v_mul_f64 v[12:13], v[12:13], v[18:19]
	v_add_f64 v[22:23], v[30:31], v[32:33]
	v_add_f64 v[20:21], v[28:29], v[20:21]
	v_fmac_f64_e32 v[12:13], v[14:15], v[16:17]
	v_mul_f64 v[16:17], v[6:7], v[10:11]
	v_mul_f64 v[10:11], v[4:5], v[10:11]
	v_add_f64 v[14:15], v[22:23], v[24:25]
	v_add_f64 v[12:13], v[20:21], v[12:13]
	v_fma_f64 v[16:17], v[4:5], v[8:9], -v[16:17]
	v_fmac_f64_e32 v[10:11], v[6:7], v[8:9]
	v_add_f64 v[4:5], v[14:15], v[16:17]
	v_add_f64 v[6:7], v[12:13], v[10:11]
	s_barrier
	ds_write_b128 v45, v[4:7]
	s_waitcnt lgkmcnt(0)
	s_barrier
	s_and_saveexec_b64 s[8:9], s[6:7]
	s_cbranch_execz .LBB195_98
; %bb.97:
	v_lshlrev_b32_e32 v20, 4, v44
	ds_read_b128 v[4:7], v20
	ds_read_b128 v[8:11], v20 offset:16
	ds_read_b128 v[12:15], v20 offset:32
	ds_read_b128 v[16:19], v20 offset:48
	s_waitcnt lgkmcnt(3)
	v_add_f64 v[0:1], v[0:1], v[4:5]
	v_add_f64 v[2:3], v[2:3], v[6:7]
	s_waitcnt lgkmcnt(2)
	v_add_f64 v[0:1], v[0:1], v[8:9]
	v_add_f64 v[4:5], v[2:3], v[10:11]
	s_waitcnt lgkmcnt(1)
	v_add_f64 v[6:7], v[0:1], v[12:13]
	ds_read_b128 v[0:3], v20 offset:64
	v_add_f64 v[4:5], v[4:5], v[14:15]
	s_waitcnt lgkmcnt(1)
	v_add_f64 v[8:9], v[6:7], v[16:17]
	v_add_f64 v[12:13], v[4:5], v[18:19]
	ds_read_b128 v[4:7], v20 offset:80
	s_waitcnt lgkmcnt(1)
	v_add_f64 v[14:15], v[8:9], v[0:1]
	ds_read_b128 v[8:11], v20 offset:96
	v_add_f64 v[12:13], v[12:13], v[2:3]
	ds_read_b128 v[0:3], v20 offset:112
	s_waitcnt lgkmcnt(2)
	v_add_f64 v[4:5], v[14:15], v[4:5]
	v_add_f64 v[6:7], v[12:13], v[6:7]
	s_waitcnt lgkmcnt(1)
	v_add_f64 v[4:5], v[4:5], v[8:9]
	v_add_f64 v[6:7], v[6:7], v[10:11]
	;; [unrolled: 3-line block ×3, first 2 shown]
.LBB195_98:
	s_or_b64 exec, exec, s[8:9]
	s_load_dwordx2 s[0:1], s[0:1], 0x78
	s_mul_hi_u32 s6, s23, s22
	s_mul_i32 s38, s38, s22
	s_add_i32 s6, s6, s38
	s_mul_i32 s8, s23, s22
	s_mul_i32 s6, s6, s33
	s_mul_hi_u32 s7, s8, s33
	s_add_i32 s7, s7, s6
	s_mul_i32 s6, s8, s33
	s_lshl_b64 s[6:7], s[6:7], 4
	s_waitcnt lgkmcnt(0)
	s_add_u32 s6, s0, s6
	s_mul_i32 s0, s2, s23
	s_addc_u32 s7, s1, s7
	s_ashr_i32 s1, s0, 31
	s_lshl_b64 s[0:1], s[0:1], 4
	s_add_u32 s6, s6, s0
	v_cmp_le_i32_e32 vcc, s24, v42
	s_addc_u32 s7, s7, s1
	s_and_b64 vcc, s[34:35], vcc
	s_cmp_lt_i32 s2, 1
	v_lshlrev_b32_e32 v140, 4, v42
	s_barrier
	s_cbranch_scc1 .LBB195_105
; %bb.99:
	s_mul_i32 s0, s28, s3
	s_ashr_i32 s1, s0, 31
	s_lshl_b64 s[0:1], s[0:1], 4
	v_mov_b32_e32 v4, s1
	v_subrev_co_u32_e64 v134, s[0:1], s0, v36
	s_ashr_i32 s25, s24, 31
	s_nop 0
	v_subb_co_u32_e64 v135, s[0:1], v37, v4, s[0:1]
	v_mov_b32_e32 v4, s31
	v_subrev_co_u32_e64 v6, s[0:1], s30, v40
	v_and_b32_e32 v10, 15, v42
	s_nop 0
	v_subb_co_u32_e64 v7, s[0:1], v41, v4, s[0:1]
	v_lshlrev_b64 v[4:5], 4, v[38:39]
	v_sub_co_u32_e64 v4, s[0:1], v6, v4
	v_mul_lo_u32 v6, v133, s26
	s_nop 0
	v_subb_co_u32_e64 v5, s[0:1], v7, v5, s[0:1]
	v_lshl_add_u32 v6, v6, 2, v42
	v_ashrrev_i32_e32 v7, 31, v6
	s_movk_i32 s0, 0xfe00
	v_lshl_add_u64 v[4:5], v[6:7], 4, v[4:5]
	s_mov_b32 s1, -1
	v_lshl_add_u64 v[4:5], v[4:5], 0, s[0:1]
	v_sub_co_u32_e64 v6, s[0:1], v4, v140
	s_movk_i32 s8, 0x430
	s_nop 0
	v_subbrev_co_u32_e64 v7, s[0:1], 0, v5, s[0:1]
	v_lshl_add_u64 v[6:7], s[24:25], 4, v[6:7]
	v_lshl_add_u64 v[6:7], v[6:7], 0, -16
	v_cndmask_b32_e32 v8, v4, v6, vcc
	v_and_b32_e32 v4, 48, v42
	v_cndmask_b32_e32 v9, v5, v7, vcc
	v_lshlrev_b32_e32 v5, 4, v4
	v_mad_u32_u24 v143, v10, s8, v5
	v_or_b32_e32 v5, 0xf0, v140
	v_mad_u32_u24 v144, v10, s8, v5
	v_lshlrev_b32_e32 v5, 2, v43
	v_and_b32_e32 v5, 0x7ffc0, v5
	v_mad_u32_u24 v145, v10, s8, v5
	v_mov_b32_e32 v5, 0x4300
	s_ashr_i32 s27, s26, 31
	v_lshl_add_u32 v146, v133, 6, v5
	s_movk_i32 s9, 0x10c0
	v_and_b32_e32 v5, 0x1fff0, v43
	v_mov_b32_e32 v137, 0
	s_lshl_b32 s3, s3, 6
	v_add_u32_e32 v141, 0x4300, v140
	v_add_u32_e32 v142, 0x4700, v140
	v_cmp_gt_u32_e64 s[0:1], 64, v43
	v_mad_u32_u24 v147, v133, s9, v140
	v_mad_u32_u24 v148, v10, s8, v5
	s_lshl_b64 s[8:9], s[26:27], 4
	s_mul_hi_i32 s11, s26, 0xd0
	s_mul_i32 s10, s26, 0xd0
	v_or_b32_e32 v136, v4, v10
	s_mov_b32 s12, 0
	s_branch .LBB195_101
.LBB195_100:                            ;   in Loop: Header=BB195_101 Depth=1
	s_or_b64 exec, exec, s[14:15]
	v_mul_f64 v[150:151], v[6:7], v[22:23]
	v_fma_f64 v[150:151], v[4:5], v[20:21], -v[150:151]
	v_mul_f64 v[4:5], v[4:5], v[22:23]
	v_mul_f64 v[22:23], v[10:11], v[42:43]
	v_add_f64 v[0:1], v[0:1], v[150:151]
	v_fma_f64 v[22:23], v[8:9], v[40:41], -v[22:23]
	v_add_f64 v[0:1], v[0:1], v[22:23]
	v_mul_f64 v[22:23], v[14:15], v[46:47]
	v_fma_f64 v[22:23], v[12:13], v[44:45], -v[22:23]
	v_add_f64 v[0:1], v[0:1], v[22:23]
	v_mul_f64 v[22:23], v[18:19], v[50:51]
	v_fmac_f64_e32 v[4:5], v[6:7], v[20:21]
	v_fma_f64 v[22:23], v[16:17], v[48:49], -v[22:23]
	v_add_f64 v[2:3], v[2:3], v[4:5]
	v_mul_f64 v[4:5], v[26:27], v[70:71]
	v_add_f64 v[0:1], v[0:1], v[22:23]
	v_fma_f64 v[4:5], v[24:25], v[68:69], -v[4:5]
	v_add_f64 v[0:1], v[0:1], v[4:5]
	v_mul_f64 v[4:5], v[30:31], v[82:83]
	v_fma_f64 v[4:5], v[28:29], v[80:81], -v[4:5]
	v_add_f64 v[0:1], v[0:1], v[4:5]
	v_mul_f64 v[4:5], v[38:39], v[78:79]
	;; [unrolled: 3-line block ×3, first 2 shown]
	v_fma_f64 v[4:5], v[32:33], v[72:73], -v[4:5]
	v_mul_f64 v[8:9], v[8:9], v[42:43]
	v_add_f64 v[0:1], v[0:1], v[4:5]
	v_mul_f64 v[4:5], v[66:67], v[102:103]
	v_mul_f64 v[12:13], v[12:13], v[46:47]
	v_fmac_f64_e32 v[8:9], v[10:11], v[40:41]
	v_fma_f64 v[4:5], v[64:65], v[100:101], -v[4:5]
	v_mul_f64 v[16:17], v[16:17], v[50:51]
	v_add_f64 v[2:3], v[2:3], v[8:9]
	v_fmac_f64_e32 v[12:13], v[14:15], v[44:45]
	v_add_f64 v[0:1], v[0:1], v[4:5]
	v_mul_f64 v[4:5], v[62:63], v[118:119]
	v_add_f64 v[2:3], v[2:3], v[12:13]
	v_fmac_f64_e32 v[16:17], v[18:19], v[48:49]
	v_mul_f64 v[6:7], v[24:25], v[70:71]
	v_fma_f64 v[4:5], v[60:61], v[116:117], -v[4:5]
	v_add_f64 v[2:3], v[2:3], v[16:17]
	v_mul_f64 v[8:9], v[28:29], v[82:83]
	v_fmac_f64_e32 v[6:7], v[26:27], v[68:69]
	v_add_f64 v[0:1], v[0:1], v[4:5]
	v_mul_f64 v[4:5], v[58:59], v[114:115]
	v_mul_f64 v[10:11], v[36:37], v[78:79]
	v_add_f64 v[2:3], v[2:3], v[6:7]
	v_fmac_f64_e32 v[8:9], v[30:31], v[80:81]
	v_fma_f64 v[4:5], v[56:57], v[112:113], -v[4:5]
	v_mul_f64 v[12:13], v[32:33], v[74:75]
	v_add_f64 v[2:3], v[2:3], v[8:9]
	v_fmac_f64_e32 v[10:11], v[38:39], v[76:77]
	v_add_f64 v[0:1], v[0:1], v[4:5]
	v_mul_f64 v[4:5], v[54:55], v[110:111]
	v_add_f64 v[2:3], v[2:3], v[10:11]
	v_fmac_f64_e32 v[12:13], v[34:35], v[72:73]
	v_mul_f64 v[6:7], v[64:65], v[102:103]
	v_fma_f64 v[4:5], v[52:53], v[108:109], -v[4:5]
	v_add_f64 v[2:3], v[2:3], v[12:13]
	v_mul_f64 v[8:9], v[60:61], v[118:119]
	v_add_f64 v[0:1], v[0:1], v[4:5]
	v_fmac_f64_e32 v[6:7], v[66:67], v[100:101]
	v_mul_f64 v[4:5], v[86:87], v[106:107]
	v_mul_f64 v[10:11], v[56:57], v[114:115]
	v_add_f64 v[2:3], v[2:3], v[6:7]
	v_fmac_f64_e32 v[8:9], v[62:63], v[116:117]
	v_fma_f64 v[4:5], v[84:85], v[104:105], -v[4:5]
	v_mul_f64 v[12:13], v[52:53], v[110:111]
	v_add_f64 v[2:3], v[2:3], v[8:9]
	v_fmac_f64_e32 v[10:11], v[58:59], v[112:113]
	v_add_f64 v[0:1], v[0:1], v[4:5]
	v_mul_f64 v[4:5], v[90:91], v[122:123]
	v_add_f64 v[2:3], v[2:3], v[10:11]
	v_fmac_f64_e32 v[12:13], v[54:55], v[108:109]
	v_mul_f64 v[6:7], v[84:85], v[106:107]
	v_fma_f64 v[4:5], v[88:89], v[120:121], -v[4:5]
	v_add_f64 v[2:3], v[2:3], v[12:13]
	v_mul_f64 v[8:9], v[88:89], v[122:123]
	v_add_f64 v[0:1], v[0:1], v[4:5]
	v_mul_f64 v[4:5], v[94:95], v[126:127]
	v_fmac_f64_e32 v[6:7], v[86:87], v[104:105]
	v_fma_f64 v[4:5], v[92:93], v[124:125], -v[4:5]
	v_mul_f64 v[10:11], v[92:93], v[126:127]
	v_fmac_f64_e32 v[8:9], v[90:91], v[120:121]
	v_add_f64 v[2:3], v[2:3], v[6:7]
	v_add_f64 v[0:1], v[0:1], v[4:5]
	v_mul_f64 v[4:5], v[98:99], v[130:131]
	v_mul_f64 v[12:13], v[96:97], v[130:131]
	v_fmac_f64_e32 v[10:11], v[94:95], v[124:125]
	v_add_f64 v[2:3], v[2:3], v[8:9]
	v_fma_f64 v[4:5], v[96:97], v[128:129], -v[4:5]
	v_fmac_f64_e32 v[12:13], v[98:99], v[128:129]
	v_add_f64 v[2:3], v[2:3], v[10:11]
	s_add_i32 s2, s2, -1
	s_add_i32 s12, s12, s3
	v_add_f64 v[0:1], v[0:1], v[4:5]
	v_add_f64 v[2:3], v[2:3], v[12:13]
	v_add_u32_e32 v136, 64, v136
	s_cmp_eq_u32 s2, 0
	v_lshl_add_u64 v[8:9], v[138:139], 0, s[10:11]
	s_barrier
	s_cbranch_scc1 .LBB195_105
.LBB195_101:                            ; =>This Inner Loop Header: Depth=1
	s_and_saveexec_b64 s[14:15], s[18:19]
	s_cbranch_execz .LBB195_103
; %bb.102:                              ;   in Loop: Header=BB195_101 Depth=1
	s_ashr_i32 s13, s12, 31
	v_lshl_add_u64 v[4:5], s[12:13], 4, v[134:135]
	flat_load_dwordx4 v[4:7], v[4:5]
	s_waitcnt vmcnt(0) lgkmcnt(0)
	ds_write2_b64 v141, v[4:5], v[6:7] offset1:1
.LBB195_103:                            ;   in Loop: Header=BB195_101 Depth=1
	s_or_b64 exec, exec, s[14:15]
	s_waitcnt lgkmcnt(0)
	s_barrier
	flat_load_dwordx4 v[4:7], v[8:9]
	v_lshl_add_u64 v[12:13], v[8:9], 0, s[8:9]
	flat_load_dwordx4 v[8:11], v[12:13]
	v_lshl_add_u64 v[16:17], v[12:13], 0, s[8:9]
	;; [unrolled: 2-line block ×3, first 2 shown]
	flat_load_dwordx4 v[16:19], v[28:29]
	ds_read_b128 v[24:27], v142
	ds_read_b128 v[20:23], v146
	v_lshl_add_u64 v[36:37], v[28:29], 0, s[10:11]
	s_waitcnt vmcnt(0) lgkmcnt(0)
	v_mul_f64 v[28:29], v[6:7], v[26:27]
	v_mul_f64 v[30:31], v[4:5], v[26:27]
	v_fma_f64 v[28:29], v[4:5], v[24:25], -v[28:29]
	v_fmac_f64_e32 v[30:31], v[6:7], v[24:25]
	v_mul_f64 v[34:35], v[10:11], v[26:27]
	v_mul_f64 v[32:33], v[8:9], v[26:27]
	ds_write_b128 v147, v[28:31]
	v_fma_f64 v[30:31], v[8:9], v[24:25], -v[34:35]
	v_fmac_f64_e32 v[32:33], v[10:11], v[24:25]
	v_mul_f64 v[28:29], v[14:15], v[26:27]
	v_mul_f64 v[34:35], v[12:13], v[26:27]
	ds_read_b128 v[40:43], v146 offset:16
	ds_write_b128 v147, v[30:33] offset:1072
	v_fma_f64 v[32:33], v[12:13], v[24:25], -v[28:29]
	v_fmac_f64_e32 v[34:35], v[14:15], v[24:25]
	v_mul_f64 v[30:31], v[18:19], v[26:27]
	v_mul_f64 v[28:29], v[16:17], v[26:27]
	ds_read_b128 v[44:47], v146 offset:32
	ds_write_b128 v147, v[32:35] offset:2144
	v_fma_f64 v[26:27], v[16:17], v[24:25], -v[30:31]
	v_fmac_f64_e32 v[28:29], v[18:19], v[24:25]
	v_lshl_add_u64 v[32:33], v[36:37], 0, s[8:9]
	ds_read_b128 v[48:51], v146 offset:48
	ds_write_b128 v147, v[26:29] offset:3216
	s_waitcnt lgkmcnt(0)
	s_barrier
	ds_read_b128 v[128:131], v145
	ds_read_b128 v[124:127], v145 offset:16
	ds_read_b128 v[120:123], v145 offset:32
	;; [unrolled: 1-line block ×3, first 2 shown]
	s_waitcnt lgkmcnt(0)
	s_barrier
	flat_load_dwordx4 v[24:27], v[36:37]
	flat_load_dwordx4 v[28:31], v[32:33]
	v_lshl_add_u64 v[32:33], v[32:33], 0, s[8:9]
	v_lshl_add_u64 v[56:57], v[32:33], 0, s[8:9]
	flat_load_dwordx4 v[36:39], v[32:33]
	ds_read_b128 v[52:55], v142
	ds_read_b128 v[68:71], v146 offset:256
	flat_load_dwordx4 v[32:35], v[56:57]
	v_lshl_add_u64 v[88:89], v[56:57], 0, s[10:11]
	v_add_f64 v[128:129], v[128:129], 0
	v_add_f64 v[130:131], v[130:131], 0
	;; [unrolled: 1-line block ×8, first 2 shown]
	s_waitcnt vmcnt(0) lgkmcnt(0)
	v_mul_f64 v[58:59], v[26:27], v[54:55]
	v_mul_f64 v[56:57], v[24:25], v[54:55]
	;; [unrolled: 1-line block ×6, first 2 shown]
	v_fmac_f64_e32 v[56:57], v[26:27], v[52:53]
	v_mul_f64 v[72:73], v[34:35], v[54:55]
	v_mul_f64 v[86:87], v[32:33], v[54:55]
	v_fma_f64 v[54:55], v[24:25], v[52:53], -v[58:59]
	v_fma_f64 v[58:59], v[28:29], v[52:53], -v[62:63]
	v_fmac_f64_e32 v[60:61], v[30:31], v[52:53]
	ds_write_b128 v147, v[54:57]
	v_fma_f64 v[62:63], v[36:37], v[52:53], -v[66:67]
	v_fmac_f64_e32 v[64:65], v[38:39], v[52:53]
	ds_read_b128 v[80:83], v146 offset:272
	ds_write_b128 v147, v[58:61] offset:1072
	v_fma_f64 v[84:85], v[32:33], v[52:53], -v[72:73]
	v_fmac_f64_e32 v[86:87], v[34:35], v[52:53]
	ds_read_b128 v[76:79], v146 offset:288
	ds_write_b128 v147, v[62:65] offset:2144
	v_lshl_add_u64 v[52:53], v[88:89], 0, s[8:9]
	ds_read_b128 v[72:75], v146 offset:304
	ds_write_b128 v147, v[84:87] offset:3216
	s_waitcnt lgkmcnt(0)
	s_barrier
	ds_read_b128 v[150:153], v145
	ds_read_b128 v[154:157], v145 offset:16
	ds_read_b128 v[158:161], v145 offset:32
	;; [unrolled: 1-line block ×3, first 2 shown]
	s_waitcnt lgkmcnt(0)
	s_barrier
	flat_load_dwordx4 v[60:63], v[52:53]
	v_lshl_add_u64 v[52:53], v[52:53], 0, s[8:9]
	flat_load_dwordx4 v[64:67], v[88:89]
	v_lshl_add_u64 v[88:89], v[52:53], 0, s[8:9]
	flat_load_dwordx4 v[56:59], v[52:53]
	ds_read_b128 v[84:87], v142
	ds_read_b128 v[100:103], v146 offset:512
	flat_load_dwordx4 v[52:55], v[88:89]
	v_lshl_add_u64 v[98:99], v[88:89], 0, s[10:11]
	v_add_f64 v[104:105], v[150:151], 0
	v_add_f64 v[106:107], v[152:153], 0
	;; [unrolled: 1-line block ×8, first 2 shown]
	s_waitcnt vmcnt(0) lgkmcnt(0)
	v_mul_f64 v[94:95], v[62:63], v[86:87]
	v_mul_f64 v[92:93], v[60:61], v[86:87]
	;; [unrolled: 1-line block ×6, first 2 shown]
	v_fmac_f64_e32 v[88:89], v[66:67], v[84:85]
	v_mul_f64 v[110:111], v[54:55], v[86:87]
	v_mul_f64 v[168:169], v[52:53], v[86:87]
	v_fma_f64 v[86:87], v[64:65], v[84:85], -v[90:91]
	v_fma_f64 v[90:91], v[60:61], v[84:85], -v[94:95]
	v_fmac_f64_e32 v[92:93], v[62:63], v[84:85]
	ds_write_b128 v147, v[86:89]
	v_fma_f64 v[94:95], v[56:57], v[84:85], -v[108:109]
	v_fmac_f64_e32 v[96:97], v[58:59], v[84:85]
	ds_read_b128 v[116:119], v146 offset:528
	ds_write_b128 v147, v[90:93] offset:1072
	v_lshl_add_u64 v[92:93], v[98:99], 0, s[8:9]
	v_fma_f64 v[166:167], v[52:53], v[84:85], -v[110:111]
	v_fmac_f64_e32 v[168:169], v[54:55], v[84:85]
	ds_read_b128 v[112:115], v146 offset:544
	ds_write_b128 v147, v[94:97] offset:2144
	v_lshl_add_u64 v[96:97], v[92:93], 0, s[8:9]
	ds_read_b128 v[108:111], v146 offset:560
	ds_write_b128 v147, v[166:169] offset:3216
	s_waitcnt lgkmcnt(0)
	s_barrier
	ds_read_b128 v[166:169], v145
	ds_read_b128 v[170:173], v145 offset:16
	ds_read_b128 v[174:177], v145 offset:32
	;; [unrolled: 1-line block ×3, first 2 shown]
	s_waitcnt lgkmcnt(0)
	s_barrier
	flat_load_dwordx4 v[84:87], v[98:99]
	v_lshl_add_u64 v[138:139], v[96:97], 0, s[8:9]
	flat_load_dwordx4 v[88:91], v[92:93]
	v_add_f64 v[124:125], v[166:167], 0
	flat_load_dwordx4 v[92:95], v[96:97]
	v_add_f64 v[126:127], v[168:169], 0
	flat_load_dwordx4 v[96:99], v[138:139]
	ds_read_b128 v[120:123], v142
	ds_read_b128 v[104:107], v146 offset:768
	v_add_f64 v[124:125], v[124:125], v[170:171]
	v_add_f64 v[126:127], v[126:127], v[172:173]
	v_add_f64 v[124:125], v[124:125], v[174:175]
	v_add_f64 v[126:127], v[126:127], v[176:177]
	v_add_f64 v[154:155], v[124:125], v[178:179]
	v_add_f64 v[156:157], v[126:127], v[180:181]
	s_waitcnt vmcnt(0) lgkmcnt(0)
	v_mul_f64 v[126:127], v[86:87], v[122:123]
	v_mul_f64 v[124:125], v[84:85], v[122:123]
	;; [unrolled: 1-line block ×8, first 2 shown]
	v_fma_f64 v[122:123], v[84:85], v[120:121], -v[126:127]
	v_fmac_f64_e32 v[124:125], v[86:87], v[120:121]
	v_fma_f64 v[126:127], v[88:89], v[120:121], -v[130:131]
	v_fmac_f64_e32 v[128:129], v[90:91], v[120:121]
	ds_write_b128 v147, v[122:125]
	v_fma_f64 v[158:159], v[92:93], v[120:121], -v[158:159]
	v_fmac_f64_e32 v[160:161], v[94:95], v[120:121]
	v_fma_f64 v[162:163], v[96:97], v[120:121], -v[162:163]
	v_fmac_f64_e32 v[164:165], v[98:99], v[120:121]
	ds_read_b128 v[120:123], v146 offset:784
	ds_write_b128 v147, v[126:129] offset:1072
	ds_read_b128 v[124:127], v146 offset:800
	ds_write_b128 v147, v[158:161] offset:2144
	;; [unrolled: 2-line block ×3, first 2 shown]
	s_waitcnt lgkmcnt(0)
	s_barrier
	ds_read_b128 v[158:161], v145
	ds_read_b128 v[162:165], v145 offset:16
	ds_read_b128 v[166:169], v145 offset:32
	;; [unrolled: 1-line block ×3, first 2 shown]
	s_waitcnt lgkmcnt(0)
	s_barrier
	ds_write_b128 v148, v[182:185]
	ds_write_b128 v148, v[150:153] offset:256
	ds_write_b128 v148, v[154:157] offset:512
	v_add_f64 v[150:151], v[158:159], 0
	v_add_f64 v[152:153], v[160:161], 0
	;; [unrolled: 1-line block ×8, first 2 shown]
	ds_write_b128 v148, v[150:153] offset:768
	s_waitcnt lgkmcnt(0)
	s_barrier
	s_and_saveexec_b64 s[14:15], s[0:1]
	s_cbranch_execz .LBB195_100
; %bb.104:                              ;   in Loop: Header=BB195_101 Depth=1
	ds_read_b128 v[150:153], v143
	ds_read_b128 v[154:157], v143 offset:16
	ds_read_b128 v[158:161], v143 offset:32
	;; [unrolled: 1-line block ×3, first 2 shown]
	s_waitcnt lgkmcnt(2)
	v_add_f64 v[150:151], v[154:155], v[150:151]
	v_add_f64 v[154:155], v[156:157], v[152:153]
	s_waitcnt lgkmcnt(1)
	v_add_f64 v[156:157], v[150:151], v[158:159]
	ds_read_b128 v[150:153], v143 offset:64
	v_add_f64 v[158:159], v[154:155], v[160:161]
	s_waitcnt lgkmcnt(1)
	v_add_f64 v[160:161], v[156:157], v[162:163]
	ds_read_b128 v[154:157], v143 offset:80
	;; [unrolled: 4-line block ×9, first 2 shown]
	v_add_f64 v[152:153], v[162:163], v[152:153]
	s_waitcnt lgkmcnt(1)
	v_add_f64 v[154:155], v[150:151], v[154:155]
	v_add_f64 v[162:163], v[152:153], v[156:157]
	ds_read_b128 v[150:153], v143 offset:208
	s_waitcnt lgkmcnt(1)
	v_add_f64 v[164:165], v[154:155], v[158:159]
	ds_read_b128 v[154:157], v143 offset:224
	v_add_f64 v[162:163], v[162:163], v[160:161]
	ds_read_b128 v[158:161], v144
	s_waitcnt lgkmcnt(2)
	v_add_f64 v[150:151], v[164:165], v[150:151]
	v_add_f64 v[152:153], v[162:163], v[152:153]
	s_waitcnt lgkmcnt(1)
	v_add_f64 v[150:151], v[150:151], v[154:155]
	v_add_f64 v[152:153], v[152:153], v[156:157]
	;; [unrolled: 3-line block ×3, first 2 shown]
	v_lshl_add_u64 v[154:155], v[136:137], 4, s[6:7]
	global_store_dwordx4 v[154:155], v[150:153], off
	s_branch .LBB195_100
.LBB195_105:
	s_movk_i32 s0, 0x430
	v_mad_u32_u24 v4, v133, s0, v140
	s_or_b64 s[0:1], s[4:5], vcc
	s_xor_b64 s[0:1], s[0:1], -1
	ds_write_b128 v4, v[0:3]
	s_waitcnt lgkmcnt(0)
	s_barrier
	s_and_saveexec_b64 s[2:3], s[0:1]
	s_cbranch_execz .LBB195_107
; %bb.106:
	ds_read_b128 v[0:3], v140 offset:1072
	ds_read_b128 v[4:7], v140
	ds_read_b128 v[8:11], v140 offset:2144
	ds_read_b128 v[12:15], v140 offset:3216
	v_ashrrev_i32_e32 v133, 31, v132
	s_waitcnt lgkmcnt(2)
	v_add_f64 v[0:1], v[0:1], v[4:5]
	v_add_f64 v[2:3], v[2:3], v[6:7]
	s_waitcnt lgkmcnt(1)
	v_add_f64 v[0:1], v[0:1], v[8:9]
	v_add_f64 v[2:3], v[2:3], v[10:11]
	;; [unrolled: 3-line block ×3, first 2 shown]
	v_lshl_add_u64 v[4:5], v[132:133], 4, s[6:7]
	global_store_dwordx4 v[4:5], v[0:3], off
.LBB195_107:
	s_endpgm
	.section	.rodata,"a",@progbits
	.p2align	6, 0x0
	.amdhsa_kernel _ZL26rocblas_hemvn_kernel_lowerILb0ELi64ELi4ELi33ELi32ELi16Ei19rocblas_complex_numIdEPKPKS1_PS1_EviT6_lT7_lT5_lS8_lS9_lS7_lT8_i
		.amdhsa_group_segment_fixed_size 19200
		.amdhsa_private_segment_fixed_size 0
		.amdhsa_kernarg_size 392
		.amdhsa_user_sgpr_count 2
		.amdhsa_user_sgpr_dispatch_ptr 0
		.amdhsa_user_sgpr_queue_ptr 0
		.amdhsa_user_sgpr_kernarg_segment_ptr 1
		.amdhsa_user_sgpr_dispatch_id 0
		.amdhsa_user_sgpr_kernarg_preload_length 0
		.amdhsa_user_sgpr_kernarg_preload_offset 0
		.amdhsa_user_sgpr_private_segment_size 0
		.amdhsa_uses_dynamic_stack 0
		.amdhsa_enable_private_segment 0
		.amdhsa_system_sgpr_workgroup_id_x 1
		.amdhsa_system_sgpr_workgroup_id_y 0
		.amdhsa_system_sgpr_workgroup_id_z 1
		.amdhsa_system_sgpr_workgroup_info 0
		.amdhsa_system_vgpr_workitem_id 1
		.amdhsa_next_free_vgpr 186
		.amdhsa_next_free_sgpr 42
		.amdhsa_accum_offset 188
		.amdhsa_reserve_vcc 1
		.amdhsa_float_round_mode_32 0
		.amdhsa_float_round_mode_16_64 0
		.amdhsa_float_denorm_mode_32 3
		.amdhsa_float_denorm_mode_16_64 3
		.amdhsa_dx10_clamp 1
		.amdhsa_ieee_mode 1
		.amdhsa_fp16_overflow 0
		.amdhsa_tg_split 0
		.amdhsa_exception_fp_ieee_invalid_op 0
		.amdhsa_exception_fp_denorm_src 0
		.amdhsa_exception_fp_ieee_div_zero 0
		.amdhsa_exception_fp_ieee_overflow 0
		.amdhsa_exception_fp_ieee_underflow 0
		.amdhsa_exception_fp_ieee_inexact 0
		.amdhsa_exception_int_div_zero 0
	.end_amdhsa_kernel
	.section	.text._ZL26rocblas_hemvn_kernel_lowerILb0ELi64ELi4ELi33ELi32ELi16Ei19rocblas_complex_numIdEPKPKS1_PS1_EviT6_lT7_lT5_lS8_lS9_lS7_lT8_i,"axG",@progbits,_ZL26rocblas_hemvn_kernel_lowerILb0ELi64ELi4ELi33ELi32ELi16Ei19rocblas_complex_numIdEPKPKS1_PS1_EviT6_lT7_lT5_lS8_lS9_lS7_lT8_i,comdat
.Lfunc_end195:
	.size	_ZL26rocblas_hemvn_kernel_lowerILb0ELi64ELi4ELi33ELi32ELi16Ei19rocblas_complex_numIdEPKPKS1_PS1_EviT6_lT7_lT5_lS8_lS9_lS7_lT8_i, .Lfunc_end195-_ZL26rocblas_hemvn_kernel_lowerILb0ELi64ELi4ELi33ELi32ELi16Ei19rocblas_complex_numIdEPKPKS1_PS1_EviT6_lT7_lT5_lS8_lS9_lS7_lT8_i
                                        ; -- End function
	.section	.AMDGPU.csdata,"",@progbits
; Kernel info:
; codeLenInByte = 8852
; NumSgprs: 48
; NumVgprs: 186
; NumAgprs: 0
; TotalNumVgprs: 186
; ScratchSize: 0
; MemoryBound: 0
; FloatMode: 240
; IeeeMode: 1
; LDSByteSize: 19200 bytes/workgroup (compile time only)
; SGPRBlocks: 5
; VGPRBlocks: 23
; NumSGPRsForWavesPerEU: 48
; NumVGPRsForWavesPerEU: 186
; AccumOffset: 188
; Occupancy: 2
; WaveLimiterHint : 1
; COMPUTE_PGM_RSRC2:SCRATCH_EN: 0
; COMPUTE_PGM_RSRC2:USER_SGPR: 2
; COMPUTE_PGM_RSRC2:TRAP_HANDLER: 0
; COMPUTE_PGM_RSRC2:TGID_X_EN: 1
; COMPUTE_PGM_RSRC2:TGID_Y_EN: 0
; COMPUTE_PGM_RSRC2:TGID_Z_EN: 1
; COMPUTE_PGM_RSRC2:TIDIG_COMP_CNT: 1
; COMPUTE_PGM_RSRC3_GFX90A:ACCUM_OFFSET: 46
; COMPUTE_PGM_RSRC3_GFX90A:TG_SPLIT: 0
	.text
	.p2alignl 6, 3212836864
	.fill 256, 4, 3212836864
	.type	__hip_cuid_d50c643c0e77940f,@object ; @__hip_cuid_d50c643c0e77940f
	.section	.bss,"aw",@nobits
	.globl	__hip_cuid_d50c643c0e77940f
__hip_cuid_d50c643c0e77940f:
	.byte	0                               ; 0x0
	.size	__hip_cuid_d50c643c0e77940f, 1

	.ident	"AMD clang version 19.0.0git (https://github.com/RadeonOpenCompute/llvm-project roc-6.4.0 25133 c7fe45cf4b819c5991fe208aaa96edf142730f1d)"
	.section	".note.GNU-stack","",@progbits
	.addrsig
	.addrsig_sym __hip_cuid_d50c643c0e77940f
	.amdgpu_metadata
---
amdhsa.kernels:
  - .agpr_count:     0
    .args:
      - .offset:         0
        .size:           4
        .value_kind:     by_value
      - .address_space:  global
        .offset:         8
        .size:           8
        .value_kind:     global_buffer
      - .offset:         16
        .size:           8
        .value_kind:     by_value
      - .address_space:  global
        .offset:         24
        .size:           8
        .value_kind:     global_buffer
      - .offset:         32
        .size:           8
        .value_kind:     by_value
      - .offset:         40
        .size:           8
        .value_kind:     by_value
      - .offset:         48
        .size:           8
        .value_kind:     by_value
      - .address_space:  global
        .offset:         56
        .size:           8
        .value_kind:     global_buffer
      - .offset:         64
        .size:           8
        .value_kind:     by_value
      - .offset:         72
        .size:           8
        .value_kind:     by_value
      - .offset:         80
        .size:           8
        .value_kind:     by_value
      - .address_space:  global
        .offset:         88
        .size:           8
        .value_kind:     global_buffer
      - .offset:         96
        .size:           8
        .value_kind:     by_value
      - .address_space:  global
        .offset:         104
        .size:           8
        .value_kind:     global_buffer
      - .offset:         112
        .size:           4
        .value_kind:     by_value
      - .offset:         120
        .size:           4
        .value_kind:     hidden_block_count_x
      - .offset:         124
        .size:           4
        .value_kind:     hidden_block_count_y
      - .offset:         128
        .size:           4
        .value_kind:     hidden_block_count_z
      - .offset:         132
        .size:           2
        .value_kind:     hidden_group_size_x
      - .offset:         134
        .size:           2
        .value_kind:     hidden_group_size_y
      - .offset:         136
        .size:           2
        .value_kind:     hidden_group_size_z
      - .offset:         138
        .size:           2
        .value_kind:     hidden_remainder_x
      - .offset:         140
        .size:           2
        .value_kind:     hidden_remainder_y
      - .offset:         142
        .size:           2
        .value_kind:     hidden_remainder_z
      - .offset:         160
        .size:           8
        .value_kind:     hidden_global_offset_x
      - .offset:         168
        .size:           8
        .value_kind:     hidden_global_offset_y
      - .offset:         176
        .size:           8
        .value_kind:     hidden_global_offset_z
      - .offset:         184
        .size:           2
        .value_kind:     hidden_grid_dims
    .group_segment_fixed_size: 9600
    .kernarg_segment_align: 8
    .kernarg_segment_size: 376
    .language:       OpenCL C
    .language_version:
      - 2
      - 0
    .max_flat_workgroup_size: 256
    .name:           _ZL26rocblas_hemvn_kernel_upperILb1ELi64ELi4ELi33ELi32ELi16ElPK19rocblas_complex_numIfES3_PS1_EviT6_lT7_lT5_lS6_lS7_lS5_lT8_i
    .private_segment_fixed_size: 0
    .sgpr_count:     45
    .sgpr_spill_count: 0
    .symbol:         _ZL26rocblas_hemvn_kernel_upperILb1ELi64ELi4ELi33ELi32ELi16ElPK19rocblas_complex_numIfES3_PS1_EviT6_lT7_lT5_lS6_lS7_lS5_lT8_i.kd
    .uniform_work_group_size: 1
    .uses_dynamic_stack: false
    .vgpr_count:     154
    .vgpr_spill_count: 0
    .wavefront_size: 64
  - .agpr_count:     0
    .args:
      - .offset:         0
        .size:           4
        .value_kind:     by_value
      - .address_space:  global
        .offset:         8
        .size:           8
        .value_kind:     global_buffer
      - .offset:         16
        .size:           8
        .value_kind:     by_value
      - .address_space:  global
        .offset:         24
        .size:           8
        .value_kind:     global_buffer
      - .offset:         32
        .size:           8
        .value_kind:     by_value
      - .address_space:  global
        .offset:         40
        .size:           8
        .value_kind:     global_buffer
      - .offset:         48
        .size:           8
        .value_kind:     by_value
      - .offset:         56
        .size:           8
        .value_kind:     by_value
      - .offset:         64
        .size:           8
        .value_kind:     by_value
      - .address_space:  global
        .offset:         72
        .size:           8
        .value_kind:     global_buffer
      - .offset:         80
        .size:           4
        .value_kind:     by_value
      - .offset:         88
        .size:           4
        .value_kind:     hidden_block_count_x
      - .offset:         92
        .size:           4
        .value_kind:     hidden_block_count_y
      - .offset:         96
        .size:           4
        .value_kind:     hidden_block_count_z
      - .offset:         100
        .size:           2
        .value_kind:     hidden_group_size_x
      - .offset:         102
        .size:           2
        .value_kind:     hidden_group_size_y
      - .offset:         104
        .size:           2
        .value_kind:     hidden_group_size_z
      - .offset:         106
        .size:           2
        .value_kind:     hidden_remainder_x
      - .offset:         108
        .size:           2
        .value_kind:     hidden_remainder_y
      - .offset:         110
        .size:           2
        .value_kind:     hidden_remainder_z
      - .offset:         128
        .size:           8
        .value_kind:     hidden_global_offset_x
      - .offset:         136
        .size:           8
        .value_kind:     hidden_global_offset_y
      - .offset:         144
        .size:           8
        .value_kind:     hidden_global_offset_z
      - .offset:         152
        .size:           2
        .value_kind:     hidden_grid_dims
    .group_segment_fixed_size: 0
    .kernarg_segment_align: 8
    .kernarg_segment_size: 344
    .language:       OpenCL C
    .language_version:
      - 2
      - 0
    .max_flat_workgroup_size: 64
    .name:           _ZL36rocblas_hemvn_kernel_upper_block_sumILi64ElPK19rocblas_complex_numIfEPS1_S1_EviT1_lS5_lT2_lT0_lPT3_i
    .private_segment_fixed_size: 0
    .sgpr_count:     30
    .sgpr_spill_count: 0
    .symbol:         _ZL36rocblas_hemvn_kernel_upper_block_sumILi64ElPK19rocblas_complex_numIfEPS1_S1_EviT1_lS5_lT2_lT0_lPT3_i.kd
    .uniform_work_group_size: 1
    .uses_dynamic_stack: false
    .vgpr_count:     14
    .vgpr_spill_count: 0
    .wavefront_size: 64
  - .agpr_count:     0
    .args:
      - .offset:         0
        .size:           4
        .value_kind:     by_value
      - .address_space:  global
        .offset:         8
        .size:           8
        .value_kind:     global_buffer
      - .offset:         16
        .size:           8
        .value_kind:     by_value
      - .address_space:  global
        .offset:         24
        .size:           8
        .value_kind:     global_buffer
      - .offset:         32
        .size:           8
        .value_kind:     by_value
      - .offset:         40
        .size:           4
        .value_kind:     by_value
      - .offset:         48
        .size:           8
        .value_kind:     by_value
      - .address_space:  global
        .offset:         56
        .size:           8
        .value_kind:     global_buffer
      - .offset:         64
        .size:           8
        .value_kind:     by_value
      - .offset:         72
        .size:           4
        .value_kind:     by_value
      - .offset:         80
        .size:           8
        .value_kind:     by_value
      - .address_space:  global
        .offset:         88
        .size:           8
        .value_kind:     global_buffer
      - .offset:         96
        .size:           8
        .value_kind:     by_value
      - .address_space:  global
        .offset:         104
        .size:           8
        .value_kind:     global_buffer
      - .offset:         112
        .size:           4
        .value_kind:     by_value
      - .offset:         120
        .size:           4
        .value_kind:     hidden_block_count_x
      - .offset:         124
        .size:           4
        .value_kind:     hidden_block_count_y
      - .offset:         128
        .size:           4
        .value_kind:     hidden_block_count_z
      - .offset:         132
        .size:           2
        .value_kind:     hidden_group_size_x
      - .offset:         134
        .size:           2
        .value_kind:     hidden_group_size_y
      - .offset:         136
        .size:           2
        .value_kind:     hidden_group_size_z
      - .offset:         138
        .size:           2
        .value_kind:     hidden_remainder_x
      - .offset:         140
        .size:           2
        .value_kind:     hidden_remainder_y
      - .offset:         142
        .size:           2
        .value_kind:     hidden_remainder_z
      - .offset:         160
        .size:           8
        .value_kind:     hidden_global_offset_x
      - .offset:         168
        .size:           8
        .value_kind:     hidden_global_offset_y
      - .offset:         176
        .size:           8
        .value_kind:     hidden_global_offset_z
      - .offset:         184
        .size:           2
        .value_kind:     hidden_grid_dims
    .group_segment_fixed_size: 9600
    .kernarg_segment_align: 8
    .kernarg_segment_size: 376
    .language:       OpenCL C
    .language_version:
      - 2
      - 0
    .max_flat_workgroup_size: 256
    .name:           _ZL26rocblas_hemvn_kernel_upperILb1ELi64ELi4ELi33ELi32ELi16EiPK19rocblas_complex_numIfES3_PS1_EviT6_lT7_lT5_lS6_lS7_lS5_lT8_i
    .private_segment_fixed_size: 0
    .sgpr_count:     50
    .sgpr_spill_count: 0
    .symbol:         _ZL26rocblas_hemvn_kernel_upperILb1ELi64ELi4ELi33ELi32ELi16EiPK19rocblas_complex_numIfES3_PS1_EviT6_lT7_lT5_lS6_lS7_lS5_lT8_i.kd
    .uniform_work_group_size: 1
    .uses_dynamic_stack: false
    .vgpr_count:     162
    .vgpr_spill_count: 0
    .wavefront_size: 64
  - .agpr_count:     0
    .args:
      - .offset:         0
        .size:           4
        .value_kind:     by_value
      - .address_space:  global
        .offset:         8
        .size:           8
        .value_kind:     global_buffer
      - .offset:         16
        .size:           8
        .value_kind:     by_value
      - .address_space:  global
        .offset:         24
        .size:           8
        .value_kind:     global_buffer
      - .offset:         32
        .size:           8
        .value_kind:     by_value
      - .address_space:  global
        .offset:         40
        .size:           8
        .value_kind:     global_buffer
      - .offset:         48
        .size:           8
        .value_kind:     by_value
      - .offset:         56
        .size:           4
        .value_kind:     by_value
      - .offset:         64
        .size:           8
        .value_kind:     by_value
      - .address_space:  global
        .offset:         72
        .size:           8
        .value_kind:     global_buffer
      - .offset:         80
        .size:           4
        .value_kind:     by_value
      - .offset:         88
        .size:           4
        .value_kind:     hidden_block_count_x
      - .offset:         92
        .size:           4
        .value_kind:     hidden_block_count_y
      - .offset:         96
        .size:           4
        .value_kind:     hidden_block_count_z
      - .offset:         100
        .size:           2
        .value_kind:     hidden_group_size_x
      - .offset:         102
        .size:           2
        .value_kind:     hidden_group_size_y
      - .offset:         104
        .size:           2
        .value_kind:     hidden_group_size_z
      - .offset:         106
        .size:           2
        .value_kind:     hidden_remainder_x
      - .offset:         108
        .size:           2
        .value_kind:     hidden_remainder_y
      - .offset:         110
        .size:           2
        .value_kind:     hidden_remainder_z
      - .offset:         128
        .size:           8
        .value_kind:     hidden_global_offset_x
      - .offset:         136
        .size:           8
        .value_kind:     hidden_global_offset_y
      - .offset:         144
        .size:           8
        .value_kind:     hidden_global_offset_z
      - .offset:         152
        .size:           2
        .value_kind:     hidden_grid_dims
    .group_segment_fixed_size: 0
    .kernarg_segment_align: 8
    .kernarg_segment_size: 344
    .language:       OpenCL C
    .language_version:
      - 2
      - 0
    .max_flat_workgroup_size: 64
    .name:           _ZL36rocblas_hemvn_kernel_upper_block_sumILi64EiPK19rocblas_complex_numIfEPS1_S1_EviT1_lS5_lT2_lT0_lPT3_i
    .private_segment_fixed_size: 0
    .sgpr_count:     34
    .sgpr_spill_count: 0
    .symbol:         _ZL36rocblas_hemvn_kernel_upper_block_sumILi64EiPK19rocblas_complex_numIfEPS1_S1_EviT1_lS5_lT2_lT0_lPT3_i.kd
    .uniform_work_group_size: 1
    .uses_dynamic_stack: false
    .vgpr_count:     12
    .vgpr_spill_count: 0
    .wavefront_size: 64
  - .agpr_count:     0
    .args:
      - .offset:         0
        .size:           4
        .value_kind:     by_value
      - .offset:         4
        .size:           8
        .value_kind:     by_value
      - .offset:         16
        .size:           8
        .value_kind:     by_value
      - .address_space:  global
        .offset:         24
        .size:           8
        .value_kind:     global_buffer
      - .offset:         32
        .size:           8
        .value_kind:     by_value
      - .offset:         40
        .size:           8
        .value_kind:     by_value
      - .offset:         48
        .size:           8
        .value_kind:     by_value
      - .address_space:  global
        .offset:         56
        .size:           8
        .value_kind:     global_buffer
      - .offset:         64
        .size:           8
        .value_kind:     by_value
      - .offset:         72
        .size:           8
        .value_kind:     by_value
      - .offset:         80
        .size:           8
        .value_kind:     by_value
      - .offset:         88
        .size:           8
        .value_kind:     by_value
      - .offset:         96
        .size:           8
        .value_kind:     by_value
      - .address_space:  global
        .offset:         104
        .size:           8
        .value_kind:     global_buffer
      - .offset:         112
        .size:           4
        .value_kind:     by_value
      - .offset:         120
        .size:           4
        .value_kind:     hidden_block_count_x
      - .offset:         124
        .size:           4
        .value_kind:     hidden_block_count_y
      - .offset:         128
        .size:           4
        .value_kind:     hidden_block_count_z
      - .offset:         132
        .size:           2
        .value_kind:     hidden_group_size_x
      - .offset:         134
        .size:           2
        .value_kind:     hidden_group_size_y
      - .offset:         136
        .size:           2
        .value_kind:     hidden_group_size_z
      - .offset:         138
        .size:           2
        .value_kind:     hidden_remainder_x
      - .offset:         140
        .size:           2
        .value_kind:     hidden_remainder_y
      - .offset:         142
        .size:           2
        .value_kind:     hidden_remainder_z
      - .offset:         160
        .size:           8
        .value_kind:     hidden_global_offset_x
      - .offset:         168
        .size:           8
        .value_kind:     hidden_global_offset_y
      - .offset:         176
        .size:           8
        .value_kind:     hidden_global_offset_z
      - .offset:         184
        .size:           2
        .value_kind:     hidden_grid_dims
    .group_segment_fixed_size: 9600
    .kernarg_segment_align: 8
    .kernarg_segment_size: 376
    .language:       OpenCL C
    .language_version:
      - 2
      - 0
    .max_flat_workgroup_size: 256
    .name:           _ZL26rocblas_hemvn_kernel_upperILb1ELi64ELi4ELi33ELi32ELi16El19rocblas_complex_numIfEPKS1_PS1_EviT6_lT7_lT5_lS6_lS7_lS5_lT8_i
    .private_segment_fixed_size: 0
    .sgpr_count:     45
    .sgpr_spill_count: 0
    .symbol:         _ZL26rocblas_hemvn_kernel_upperILb1ELi64ELi4ELi33ELi32ELi16El19rocblas_complex_numIfEPKS1_PS1_EviT6_lT7_lT5_lS6_lS7_lS5_lT8_i.kd
    .uniform_work_group_size: 1
    .uses_dynamic_stack: false
    .vgpr_count:     154
    .vgpr_spill_count: 0
    .wavefront_size: 64
  - .agpr_count:     0
    .args:
      - .offset:         0
        .size:           4
        .value_kind:     by_value
      - .offset:         4
        .size:           8
        .value_kind:     by_value
      - .offset:         16
        .size:           8
        .value_kind:     by_value
      - .offset:         24
        .size:           8
        .value_kind:     by_value
      - .offset:         32
        .size:           8
        .value_kind:     by_value
      - .address_space:  global
        .offset:         40
        .size:           8
        .value_kind:     global_buffer
      - .offset:         48
        .size:           8
        .value_kind:     by_value
      - .offset:         56
        .size:           8
        .value_kind:     by_value
      - .offset:         64
        .size:           8
        .value_kind:     by_value
      - .address_space:  global
        .offset:         72
        .size:           8
        .value_kind:     global_buffer
      - .offset:         80
        .size:           4
        .value_kind:     by_value
      - .offset:         88
        .size:           4
        .value_kind:     hidden_block_count_x
      - .offset:         92
        .size:           4
        .value_kind:     hidden_block_count_y
      - .offset:         96
        .size:           4
        .value_kind:     hidden_block_count_z
      - .offset:         100
        .size:           2
        .value_kind:     hidden_group_size_x
      - .offset:         102
        .size:           2
        .value_kind:     hidden_group_size_y
      - .offset:         104
        .size:           2
        .value_kind:     hidden_group_size_z
      - .offset:         106
        .size:           2
        .value_kind:     hidden_remainder_x
      - .offset:         108
        .size:           2
        .value_kind:     hidden_remainder_y
      - .offset:         110
        .size:           2
        .value_kind:     hidden_remainder_z
      - .offset:         128
        .size:           8
        .value_kind:     hidden_global_offset_x
      - .offset:         136
        .size:           8
        .value_kind:     hidden_global_offset_y
      - .offset:         144
        .size:           8
        .value_kind:     hidden_global_offset_z
      - .offset:         152
        .size:           2
        .value_kind:     hidden_grid_dims
    .group_segment_fixed_size: 0
    .kernarg_segment_align: 8
    .kernarg_segment_size: 344
    .language:       OpenCL C
    .language_version:
      - 2
      - 0
    .max_flat_workgroup_size: 64
    .name:           _ZL36rocblas_hemvn_kernel_upper_block_sumILi64El19rocblas_complex_numIfEPS1_S1_EviT1_lS3_lT2_lT0_lPT3_i
    .private_segment_fixed_size: 0
    .sgpr_count:     30
    .sgpr_spill_count: 0
    .symbol:         _ZL36rocblas_hemvn_kernel_upper_block_sumILi64El19rocblas_complex_numIfEPS1_S1_EviT1_lS3_lT2_lT0_lPT3_i.kd
    .uniform_work_group_size: 1
    .uses_dynamic_stack: false
    .vgpr_count:     14
    .vgpr_spill_count: 0
    .wavefront_size: 64
  - .agpr_count:     0
    .args:
      - .offset:         0
        .size:           4
        .value_kind:     by_value
      - .offset:         4
        .size:           8
        .value_kind:     by_value
      - .offset:         16
        .size:           8
        .value_kind:     by_value
      - .address_space:  global
        .offset:         24
        .size:           8
        .value_kind:     global_buffer
      - .offset:         32
        .size:           8
        .value_kind:     by_value
      - .offset:         40
        .size:           4
        .value_kind:     by_value
      - .offset:         48
        .size:           8
        .value_kind:     by_value
      - .address_space:  global
        .offset:         56
        .size:           8
        .value_kind:     global_buffer
      - .offset:         64
        .size:           8
        .value_kind:     by_value
      - .offset:         72
        .size:           4
        .value_kind:     by_value
      - .offset:         80
        .size:           8
        .value_kind:     by_value
      - .offset:         88
        .size:           8
        .value_kind:     by_value
      - .offset:         96
        .size:           8
        .value_kind:     by_value
      - .address_space:  global
        .offset:         104
        .size:           8
        .value_kind:     global_buffer
      - .offset:         112
        .size:           4
        .value_kind:     by_value
      - .offset:         120
        .size:           4
        .value_kind:     hidden_block_count_x
      - .offset:         124
        .size:           4
        .value_kind:     hidden_block_count_y
      - .offset:         128
        .size:           4
        .value_kind:     hidden_block_count_z
      - .offset:         132
        .size:           2
        .value_kind:     hidden_group_size_x
      - .offset:         134
        .size:           2
        .value_kind:     hidden_group_size_y
      - .offset:         136
        .size:           2
        .value_kind:     hidden_group_size_z
      - .offset:         138
        .size:           2
        .value_kind:     hidden_remainder_x
      - .offset:         140
        .size:           2
        .value_kind:     hidden_remainder_y
      - .offset:         142
        .size:           2
        .value_kind:     hidden_remainder_z
      - .offset:         160
        .size:           8
        .value_kind:     hidden_global_offset_x
      - .offset:         168
        .size:           8
        .value_kind:     hidden_global_offset_y
      - .offset:         176
        .size:           8
        .value_kind:     hidden_global_offset_z
      - .offset:         184
        .size:           2
        .value_kind:     hidden_grid_dims
    .group_segment_fixed_size: 9600
    .kernarg_segment_align: 8
    .kernarg_segment_size: 376
    .language:       OpenCL C
    .language_version:
      - 2
      - 0
    .max_flat_workgroup_size: 256
    .name:           _ZL26rocblas_hemvn_kernel_upperILb1ELi64ELi4ELi33ELi32ELi16Ei19rocblas_complex_numIfEPKS1_PS1_EviT6_lT7_lT5_lS6_lS7_lS5_lT8_i
    .private_segment_fixed_size: 0
    .sgpr_count:     50
    .sgpr_spill_count: 0
    .symbol:         _ZL26rocblas_hemvn_kernel_upperILb1ELi64ELi4ELi33ELi32ELi16Ei19rocblas_complex_numIfEPKS1_PS1_EviT6_lT7_lT5_lS6_lS7_lS5_lT8_i.kd
    .uniform_work_group_size: 1
    .uses_dynamic_stack: false
    .vgpr_count:     162
    .vgpr_spill_count: 0
    .wavefront_size: 64
  - .agpr_count:     0
    .args:
      - .offset:         0
        .size:           4
        .value_kind:     by_value
      - .offset:         4
        .size:           8
        .value_kind:     by_value
      - .offset:         16
        .size:           8
        .value_kind:     by_value
      - .offset:         24
        .size:           8
        .value_kind:     by_value
      - .offset:         32
        .size:           8
        .value_kind:     by_value
      - .address_space:  global
        .offset:         40
        .size:           8
        .value_kind:     global_buffer
      - .offset:         48
        .size:           8
        .value_kind:     by_value
      - .offset:         56
        .size:           4
        .value_kind:     by_value
      - .offset:         64
        .size:           8
        .value_kind:     by_value
      - .address_space:  global
        .offset:         72
        .size:           8
        .value_kind:     global_buffer
      - .offset:         80
        .size:           4
        .value_kind:     by_value
      - .offset:         88
        .size:           4
        .value_kind:     hidden_block_count_x
      - .offset:         92
        .size:           4
        .value_kind:     hidden_block_count_y
      - .offset:         96
        .size:           4
        .value_kind:     hidden_block_count_z
      - .offset:         100
        .size:           2
        .value_kind:     hidden_group_size_x
      - .offset:         102
        .size:           2
        .value_kind:     hidden_group_size_y
      - .offset:         104
        .size:           2
        .value_kind:     hidden_group_size_z
      - .offset:         106
        .size:           2
        .value_kind:     hidden_remainder_x
      - .offset:         108
        .size:           2
        .value_kind:     hidden_remainder_y
      - .offset:         110
        .size:           2
        .value_kind:     hidden_remainder_z
      - .offset:         128
        .size:           8
        .value_kind:     hidden_global_offset_x
      - .offset:         136
        .size:           8
        .value_kind:     hidden_global_offset_y
      - .offset:         144
        .size:           8
        .value_kind:     hidden_global_offset_z
      - .offset:         152
        .size:           2
        .value_kind:     hidden_grid_dims
    .group_segment_fixed_size: 0
    .kernarg_segment_align: 8
    .kernarg_segment_size: 344
    .language:       OpenCL C
    .language_version:
      - 2
      - 0
    .max_flat_workgroup_size: 64
    .name:           _ZL36rocblas_hemvn_kernel_upper_block_sumILi64Ei19rocblas_complex_numIfEPS1_S1_EviT1_lS3_lT2_lT0_lPT3_i
    .private_segment_fixed_size: 0
    .sgpr_count:     34
    .sgpr_spill_count: 0
    .symbol:         _ZL36rocblas_hemvn_kernel_upper_block_sumILi64Ei19rocblas_complex_numIfEPS1_S1_EviT1_lS3_lT2_lT0_lPT3_i.kd
    .uniform_work_group_size: 1
    .uses_dynamic_stack: false
    .vgpr_count:     12
    .vgpr_spill_count: 0
    .wavefront_size: 64
  - .agpr_count:     0
    .args:
      - .offset:         0
        .size:           4
        .value_kind:     by_value
      - .address_space:  global
        .offset:         8
        .size:           8
        .value_kind:     global_buffer
      - .offset:         16
        .size:           8
        .value_kind:     by_value
      - .address_space:  global
        .offset:         24
        .size:           8
        .value_kind:     global_buffer
      - .offset:         32
        .size:           8
        .value_kind:     by_value
      - .offset:         40
        .size:           8
        .value_kind:     by_value
      - .offset:         48
        .size:           8
        .value_kind:     by_value
      - .address_space:  global
        .offset:         56
        .size:           8
        .value_kind:     global_buffer
      - .offset:         64
        .size:           8
        .value_kind:     by_value
      - .offset:         72
        .size:           8
        .value_kind:     by_value
      - .offset:         80
        .size:           8
        .value_kind:     by_value
      - .address_space:  global
        .offset:         88
        .size:           8
        .value_kind:     global_buffer
      - .offset:         96
        .size:           8
        .value_kind:     by_value
      - .address_space:  global
        .offset:         104
        .size:           8
        .value_kind:     global_buffer
      - .offset:         112
        .size:           4
        .value_kind:     by_value
      - .offset:         120
        .size:           4
        .value_kind:     hidden_block_count_x
      - .offset:         124
        .size:           4
        .value_kind:     hidden_block_count_y
      - .offset:         128
        .size:           4
        .value_kind:     hidden_block_count_z
      - .offset:         132
        .size:           2
        .value_kind:     hidden_group_size_x
      - .offset:         134
        .size:           2
        .value_kind:     hidden_group_size_y
      - .offset:         136
        .size:           2
        .value_kind:     hidden_group_size_z
      - .offset:         138
        .size:           2
        .value_kind:     hidden_remainder_x
      - .offset:         140
        .size:           2
        .value_kind:     hidden_remainder_y
      - .offset:         142
        .size:           2
        .value_kind:     hidden_remainder_z
      - .offset:         160
        .size:           8
        .value_kind:     hidden_global_offset_x
      - .offset:         168
        .size:           8
        .value_kind:     hidden_global_offset_y
      - .offset:         176
        .size:           8
        .value_kind:     hidden_global_offset_z
      - .offset:         184
        .size:           2
        .value_kind:     hidden_grid_dims
    .group_segment_fixed_size: 9600
    .kernarg_segment_align: 8
    .kernarg_segment_size: 376
    .language:       OpenCL C
    .language_version:
      - 2
      - 0
    .max_flat_workgroup_size: 256
    .name:           _ZL26rocblas_hemvn_kernel_lowerILb1ELi64ELi4ELi33ELi32ELi16ElPK19rocblas_complex_numIfES3_PS1_EviT6_lT7_lT5_lS6_lS7_lS5_lT8_i
    .private_segment_fixed_size: 0
    .sgpr_count:     56
    .sgpr_spill_count: 0
    .symbol:         _ZL26rocblas_hemvn_kernel_lowerILb1ELi64ELi4ELi33ELi32ELi16ElPK19rocblas_complex_numIfES3_PS1_EviT6_lT7_lT5_lS6_lS7_lS5_lT8_i.kd
    .uniform_work_group_size: 1
    .uses_dynamic_stack: false
    .vgpr_count:     106
    .vgpr_spill_count: 0
    .wavefront_size: 64
  - .agpr_count:     0
    .args:
      - .offset:         0
        .size:           4
        .value_kind:     by_value
      - .address_space:  global
        .offset:         8
        .size:           8
        .value_kind:     global_buffer
      - .offset:         16
        .size:           8
        .value_kind:     by_value
      - .address_space:  global
        .offset:         24
        .size:           8
        .value_kind:     global_buffer
      - .offset:         32
        .size:           8
        .value_kind:     by_value
      - .address_space:  global
        .offset:         40
        .size:           8
        .value_kind:     global_buffer
      - .offset:         48
        .size:           8
        .value_kind:     by_value
      - .offset:         56
        .size:           8
        .value_kind:     by_value
      - .offset:         64
        .size:           8
        .value_kind:     by_value
      - .actual_access:  read_only
        .address_space:  global
        .offset:         72
        .size:           8
        .value_kind:     global_buffer
      - .offset:         80
        .size:           4
        .value_kind:     by_value
      - .offset:         88
        .size:           4
        .value_kind:     hidden_block_count_x
      - .offset:         92
        .size:           4
        .value_kind:     hidden_block_count_y
      - .offset:         96
        .size:           4
        .value_kind:     hidden_block_count_z
      - .offset:         100
        .size:           2
        .value_kind:     hidden_group_size_x
      - .offset:         102
        .size:           2
        .value_kind:     hidden_group_size_y
      - .offset:         104
        .size:           2
        .value_kind:     hidden_group_size_z
      - .offset:         106
        .size:           2
        .value_kind:     hidden_remainder_x
      - .offset:         108
        .size:           2
        .value_kind:     hidden_remainder_y
      - .offset:         110
        .size:           2
        .value_kind:     hidden_remainder_z
      - .offset:         128
        .size:           8
        .value_kind:     hidden_global_offset_x
      - .offset:         136
        .size:           8
        .value_kind:     hidden_global_offset_y
      - .offset:         144
        .size:           8
        .value_kind:     hidden_global_offset_z
      - .offset:         152
        .size:           2
        .value_kind:     hidden_grid_dims
    .group_segment_fixed_size: 0
    .kernarg_segment_align: 8
    .kernarg_segment_size: 344
    .language:       OpenCL C
    .language_version:
      - 2
      - 0
    .max_flat_workgroup_size: 64
    .name:           _ZL36rocblas_hemvn_kernel_lower_block_sumILi64ElPK19rocblas_complex_numIfEPS1_S1_EviT1_lS5_lT2_lT0_lPT3_i
    .private_segment_fixed_size: 0
    .sgpr_count:     28
    .sgpr_spill_count: 0
    .symbol:         _ZL36rocblas_hemvn_kernel_lower_block_sumILi64ElPK19rocblas_complex_numIfEPS1_S1_EviT1_lS5_lT2_lT0_lPT3_i.kd
    .uniform_work_group_size: 1
    .uses_dynamic_stack: false
    .vgpr_count:     14
    .vgpr_spill_count: 0
    .wavefront_size: 64
  - .agpr_count:     0
    .args:
      - .offset:         0
        .size:           4
        .value_kind:     by_value
      - .address_space:  global
        .offset:         8
        .size:           8
        .value_kind:     global_buffer
      - .offset:         16
        .size:           8
        .value_kind:     by_value
      - .address_space:  global
        .offset:         24
        .size:           8
        .value_kind:     global_buffer
      - .offset:         32
        .size:           8
        .value_kind:     by_value
      - .offset:         40
        .size:           4
        .value_kind:     by_value
      - .offset:         48
        .size:           8
        .value_kind:     by_value
      - .address_space:  global
        .offset:         56
        .size:           8
        .value_kind:     global_buffer
      - .offset:         64
        .size:           8
        .value_kind:     by_value
      - .offset:         72
        .size:           4
        .value_kind:     by_value
      - .offset:         80
        .size:           8
        .value_kind:     by_value
      - .address_space:  global
        .offset:         88
        .size:           8
        .value_kind:     global_buffer
      - .offset:         96
        .size:           8
        .value_kind:     by_value
      - .address_space:  global
        .offset:         104
        .size:           8
        .value_kind:     global_buffer
      - .offset:         112
        .size:           4
        .value_kind:     by_value
      - .offset:         120
        .size:           4
        .value_kind:     hidden_block_count_x
      - .offset:         124
        .size:           4
        .value_kind:     hidden_block_count_y
      - .offset:         128
        .size:           4
        .value_kind:     hidden_block_count_z
      - .offset:         132
        .size:           2
        .value_kind:     hidden_group_size_x
      - .offset:         134
        .size:           2
        .value_kind:     hidden_group_size_y
      - .offset:         136
        .size:           2
        .value_kind:     hidden_group_size_z
      - .offset:         138
        .size:           2
        .value_kind:     hidden_remainder_x
      - .offset:         140
        .size:           2
        .value_kind:     hidden_remainder_y
      - .offset:         142
        .size:           2
        .value_kind:     hidden_remainder_z
      - .offset:         160
        .size:           8
        .value_kind:     hidden_global_offset_x
      - .offset:         168
        .size:           8
        .value_kind:     hidden_global_offset_y
      - .offset:         176
        .size:           8
        .value_kind:     hidden_global_offset_z
      - .offset:         184
        .size:           2
        .value_kind:     hidden_grid_dims
    .group_segment_fixed_size: 9600
    .kernarg_segment_align: 8
    .kernarg_segment_size: 376
    .language:       OpenCL C
    .language_version:
      - 2
      - 0
    .max_flat_workgroup_size: 256
    .name:           _ZL26rocblas_hemvn_kernel_lowerILb1ELi64ELi4ELi33ELi32ELi16EiPK19rocblas_complex_numIfES3_PS1_EviT6_lT7_lT5_lS6_lS7_lS5_lT8_i
    .private_segment_fixed_size: 0
    .sgpr_count:     54
    .sgpr_spill_count: 0
    .symbol:         _ZL26rocblas_hemvn_kernel_lowerILb1ELi64ELi4ELi33ELi32ELi16EiPK19rocblas_complex_numIfES3_PS1_EviT6_lT7_lT5_lS6_lS7_lS5_lT8_i.kd
    .uniform_work_group_size: 1
    .uses_dynamic_stack: false
    .vgpr_count:     104
    .vgpr_spill_count: 0
    .wavefront_size: 64
  - .agpr_count:     0
    .args:
      - .offset:         0
        .size:           4
        .value_kind:     by_value
      - .address_space:  global
        .offset:         8
        .size:           8
        .value_kind:     global_buffer
      - .offset:         16
        .size:           8
        .value_kind:     by_value
      - .address_space:  global
        .offset:         24
        .size:           8
        .value_kind:     global_buffer
      - .offset:         32
        .size:           8
        .value_kind:     by_value
      - .address_space:  global
        .offset:         40
        .size:           8
        .value_kind:     global_buffer
      - .offset:         48
        .size:           8
        .value_kind:     by_value
      - .offset:         56
        .size:           4
        .value_kind:     by_value
      - .offset:         64
        .size:           8
        .value_kind:     by_value
      - .actual_access:  read_only
        .address_space:  global
        .offset:         72
        .size:           8
        .value_kind:     global_buffer
      - .offset:         80
        .size:           4
        .value_kind:     by_value
      - .offset:         88
        .size:           4
        .value_kind:     hidden_block_count_x
      - .offset:         92
        .size:           4
        .value_kind:     hidden_block_count_y
      - .offset:         96
        .size:           4
        .value_kind:     hidden_block_count_z
      - .offset:         100
        .size:           2
        .value_kind:     hidden_group_size_x
      - .offset:         102
        .size:           2
        .value_kind:     hidden_group_size_y
      - .offset:         104
        .size:           2
        .value_kind:     hidden_group_size_z
      - .offset:         106
        .size:           2
        .value_kind:     hidden_remainder_x
      - .offset:         108
        .size:           2
        .value_kind:     hidden_remainder_y
      - .offset:         110
        .size:           2
        .value_kind:     hidden_remainder_z
      - .offset:         128
        .size:           8
        .value_kind:     hidden_global_offset_x
      - .offset:         136
        .size:           8
        .value_kind:     hidden_global_offset_y
      - .offset:         144
        .size:           8
        .value_kind:     hidden_global_offset_z
      - .offset:         152
        .size:           2
        .value_kind:     hidden_grid_dims
    .group_segment_fixed_size: 0
    .kernarg_segment_align: 8
    .kernarg_segment_size: 344
    .language:       OpenCL C
    .language_version:
      - 2
      - 0
    .max_flat_workgroup_size: 64
    .name:           _ZL36rocblas_hemvn_kernel_lower_block_sumILi64EiPK19rocblas_complex_numIfEPS1_S1_EviT1_lS5_lT2_lT0_lPT3_i
    .private_segment_fixed_size: 0
    .sgpr_count:     30
    .sgpr_spill_count: 0
    .symbol:         _ZL36rocblas_hemvn_kernel_lower_block_sumILi64EiPK19rocblas_complex_numIfEPS1_S1_EviT1_lS5_lT2_lT0_lPT3_i.kd
    .uniform_work_group_size: 1
    .uses_dynamic_stack: false
    .vgpr_count:     12
    .vgpr_spill_count: 0
    .wavefront_size: 64
  - .agpr_count:     0
    .args:
      - .offset:         0
        .size:           4
        .value_kind:     by_value
      - .offset:         4
        .size:           8
        .value_kind:     by_value
      - .offset:         16
        .size:           8
        .value_kind:     by_value
      - .address_space:  global
        .offset:         24
        .size:           8
        .value_kind:     global_buffer
      - .offset:         32
        .size:           8
        .value_kind:     by_value
      - .offset:         40
        .size:           8
        .value_kind:     by_value
      - .offset:         48
        .size:           8
        .value_kind:     by_value
      - .address_space:  global
        .offset:         56
        .size:           8
        .value_kind:     global_buffer
      - .offset:         64
        .size:           8
        .value_kind:     by_value
      - .offset:         72
        .size:           8
        .value_kind:     by_value
      - .offset:         80
        .size:           8
        .value_kind:     by_value
      - .offset:         88
        .size:           8
        .value_kind:     by_value
      - .offset:         96
        .size:           8
        .value_kind:     by_value
      - .address_space:  global
        .offset:         104
        .size:           8
        .value_kind:     global_buffer
      - .offset:         112
        .size:           4
        .value_kind:     by_value
      - .offset:         120
        .size:           4
        .value_kind:     hidden_block_count_x
      - .offset:         124
        .size:           4
        .value_kind:     hidden_block_count_y
      - .offset:         128
        .size:           4
        .value_kind:     hidden_block_count_z
      - .offset:         132
        .size:           2
        .value_kind:     hidden_group_size_x
      - .offset:         134
        .size:           2
        .value_kind:     hidden_group_size_y
      - .offset:         136
        .size:           2
        .value_kind:     hidden_group_size_z
      - .offset:         138
        .size:           2
        .value_kind:     hidden_remainder_x
      - .offset:         140
        .size:           2
        .value_kind:     hidden_remainder_y
      - .offset:         142
        .size:           2
        .value_kind:     hidden_remainder_z
      - .offset:         160
        .size:           8
        .value_kind:     hidden_global_offset_x
      - .offset:         168
        .size:           8
        .value_kind:     hidden_global_offset_y
      - .offset:         176
        .size:           8
        .value_kind:     hidden_global_offset_z
      - .offset:         184
        .size:           2
        .value_kind:     hidden_grid_dims
    .group_segment_fixed_size: 9600
    .kernarg_segment_align: 8
    .kernarg_segment_size: 376
    .language:       OpenCL C
    .language_version:
      - 2
      - 0
    .max_flat_workgroup_size: 256
    .name:           _ZL26rocblas_hemvn_kernel_lowerILb1ELi64ELi4ELi33ELi32ELi16El19rocblas_complex_numIfEPKS1_PS1_EviT6_lT7_lT5_lS6_lS7_lS5_lT8_i
    .private_segment_fixed_size: 0
    .sgpr_count:     59
    .sgpr_spill_count: 0
    .symbol:         _ZL26rocblas_hemvn_kernel_lowerILb1ELi64ELi4ELi33ELi32ELi16El19rocblas_complex_numIfEPKS1_PS1_EviT6_lT7_lT5_lS6_lS7_lS5_lT8_i.kd
    .uniform_work_group_size: 1
    .uses_dynamic_stack: false
    .vgpr_count:     106
    .vgpr_spill_count: 0
    .wavefront_size: 64
  - .agpr_count:     0
    .args:
      - .offset:         0
        .size:           4
        .value_kind:     by_value
      - .offset:         4
        .size:           8
        .value_kind:     by_value
      - .offset:         16
        .size:           8
        .value_kind:     by_value
      - .offset:         24
        .size:           8
        .value_kind:     by_value
      - .offset:         32
        .size:           8
        .value_kind:     by_value
      - .address_space:  global
        .offset:         40
        .size:           8
        .value_kind:     global_buffer
      - .offset:         48
        .size:           8
        .value_kind:     by_value
      - .offset:         56
        .size:           8
        .value_kind:     by_value
      - .offset:         64
        .size:           8
        .value_kind:     by_value
      - .actual_access:  read_only
        .address_space:  global
        .offset:         72
        .size:           8
        .value_kind:     global_buffer
      - .offset:         80
        .size:           4
        .value_kind:     by_value
      - .offset:         88
        .size:           4
        .value_kind:     hidden_block_count_x
      - .offset:         92
        .size:           4
        .value_kind:     hidden_block_count_y
      - .offset:         96
        .size:           4
        .value_kind:     hidden_block_count_z
      - .offset:         100
        .size:           2
        .value_kind:     hidden_group_size_x
      - .offset:         102
        .size:           2
        .value_kind:     hidden_group_size_y
      - .offset:         104
        .size:           2
        .value_kind:     hidden_group_size_z
      - .offset:         106
        .size:           2
        .value_kind:     hidden_remainder_x
      - .offset:         108
        .size:           2
        .value_kind:     hidden_remainder_y
      - .offset:         110
        .size:           2
        .value_kind:     hidden_remainder_z
      - .offset:         128
        .size:           8
        .value_kind:     hidden_global_offset_x
      - .offset:         136
        .size:           8
        .value_kind:     hidden_global_offset_y
      - .offset:         144
        .size:           8
        .value_kind:     hidden_global_offset_z
      - .offset:         152
        .size:           2
        .value_kind:     hidden_grid_dims
    .group_segment_fixed_size: 0
    .kernarg_segment_align: 8
    .kernarg_segment_size: 344
    .language:       OpenCL C
    .language_version:
      - 2
      - 0
    .max_flat_workgroup_size: 64
    .name:           _ZL36rocblas_hemvn_kernel_lower_block_sumILi64El19rocblas_complex_numIfEPS1_S1_EviT1_lS3_lT2_lT0_lPT3_i
    .private_segment_fixed_size: 0
    .sgpr_count:     28
    .sgpr_spill_count: 0
    .symbol:         _ZL36rocblas_hemvn_kernel_lower_block_sumILi64El19rocblas_complex_numIfEPS1_S1_EviT1_lS3_lT2_lT0_lPT3_i.kd
    .uniform_work_group_size: 1
    .uses_dynamic_stack: false
    .vgpr_count:     14
    .vgpr_spill_count: 0
    .wavefront_size: 64
  - .agpr_count:     0
    .args:
      - .offset:         0
        .size:           4
        .value_kind:     by_value
      - .offset:         4
        .size:           8
        .value_kind:     by_value
      - .offset:         16
        .size:           8
        .value_kind:     by_value
      - .address_space:  global
        .offset:         24
        .size:           8
        .value_kind:     global_buffer
      - .offset:         32
        .size:           8
        .value_kind:     by_value
      - .offset:         40
        .size:           4
        .value_kind:     by_value
      - .offset:         48
        .size:           8
        .value_kind:     by_value
      - .address_space:  global
        .offset:         56
        .size:           8
        .value_kind:     global_buffer
      - .offset:         64
        .size:           8
        .value_kind:     by_value
      - .offset:         72
        .size:           4
        .value_kind:     by_value
      - .offset:         80
        .size:           8
        .value_kind:     by_value
      - .offset:         88
        .size:           8
        .value_kind:     by_value
      - .offset:         96
        .size:           8
        .value_kind:     by_value
      - .address_space:  global
        .offset:         104
        .size:           8
        .value_kind:     global_buffer
      - .offset:         112
        .size:           4
        .value_kind:     by_value
      - .offset:         120
        .size:           4
        .value_kind:     hidden_block_count_x
      - .offset:         124
        .size:           4
        .value_kind:     hidden_block_count_y
      - .offset:         128
        .size:           4
        .value_kind:     hidden_block_count_z
      - .offset:         132
        .size:           2
        .value_kind:     hidden_group_size_x
      - .offset:         134
        .size:           2
        .value_kind:     hidden_group_size_y
      - .offset:         136
        .size:           2
        .value_kind:     hidden_group_size_z
      - .offset:         138
        .size:           2
        .value_kind:     hidden_remainder_x
      - .offset:         140
        .size:           2
        .value_kind:     hidden_remainder_y
      - .offset:         142
        .size:           2
        .value_kind:     hidden_remainder_z
      - .offset:         160
        .size:           8
        .value_kind:     hidden_global_offset_x
      - .offset:         168
        .size:           8
        .value_kind:     hidden_global_offset_y
      - .offset:         176
        .size:           8
        .value_kind:     hidden_global_offset_z
      - .offset:         184
        .size:           2
        .value_kind:     hidden_grid_dims
    .group_segment_fixed_size: 9600
    .kernarg_segment_align: 8
    .kernarg_segment_size: 376
    .language:       OpenCL C
    .language_version:
      - 2
      - 0
    .max_flat_workgroup_size: 256
    .name:           _ZL26rocblas_hemvn_kernel_lowerILb1ELi64ELi4ELi33ELi32ELi16Ei19rocblas_complex_numIfEPKS1_PS1_EviT6_lT7_lT5_lS6_lS7_lS5_lT8_i
    .private_segment_fixed_size: 0
    .sgpr_count:     54
    .sgpr_spill_count: 0
    .symbol:         _ZL26rocblas_hemvn_kernel_lowerILb1ELi64ELi4ELi33ELi32ELi16Ei19rocblas_complex_numIfEPKS1_PS1_EviT6_lT7_lT5_lS6_lS7_lS5_lT8_i.kd
    .uniform_work_group_size: 1
    .uses_dynamic_stack: false
    .vgpr_count:     104
    .vgpr_spill_count: 0
    .wavefront_size: 64
  - .agpr_count:     0
    .args:
      - .offset:         0
        .size:           4
        .value_kind:     by_value
      - .offset:         4
        .size:           8
        .value_kind:     by_value
      - .offset:         16
        .size:           8
        .value_kind:     by_value
      - .offset:         24
        .size:           8
        .value_kind:     by_value
      - .offset:         32
        .size:           8
        .value_kind:     by_value
      - .address_space:  global
        .offset:         40
        .size:           8
        .value_kind:     global_buffer
      - .offset:         48
        .size:           8
        .value_kind:     by_value
      - .offset:         56
        .size:           4
        .value_kind:     by_value
      - .offset:         64
        .size:           8
        .value_kind:     by_value
      - .actual_access:  read_only
        .address_space:  global
        .offset:         72
        .size:           8
        .value_kind:     global_buffer
      - .offset:         80
        .size:           4
        .value_kind:     by_value
      - .offset:         88
        .size:           4
        .value_kind:     hidden_block_count_x
      - .offset:         92
        .size:           4
        .value_kind:     hidden_block_count_y
      - .offset:         96
        .size:           4
        .value_kind:     hidden_block_count_z
      - .offset:         100
        .size:           2
        .value_kind:     hidden_group_size_x
      - .offset:         102
        .size:           2
        .value_kind:     hidden_group_size_y
      - .offset:         104
        .size:           2
        .value_kind:     hidden_group_size_z
      - .offset:         106
        .size:           2
        .value_kind:     hidden_remainder_x
      - .offset:         108
        .size:           2
        .value_kind:     hidden_remainder_y
      - .offset:         110
        .size:           2
        .value_kind:     hidden_remainder_z
      - .offset:         128
        .size:           8
        .value_kind:     hidden_global_offset_x
      - .offset:         136
        .size:           8
        .value_kind:     hidden_global_offset_y
      - .offset:         144
        .size:           8
        .value_kind:     hidden_global_offset_z
      - .offset:         152
        .size:           2
        .value_kind:     hidden_grid_dims
    .group_segment_fixed_size: 0
    .kernarg_segment_align: 8
    .kernarg_segment_size: 344
    .language:       OpenCL C
    .language_version:
      - 2
      - 0
    .max_flat_workgroup_size: 64
    .name:           _ZL36rocblas_hemvn_kernel_lower_block_sumILi64Ei19rocblas_complex_numIfEPS1_S1_EviT1_lS3_lT2_lT0_lPT3_i
    .private_segment_fixed_size: 0
    .sgpr_count:     30
    .sgpr_spill_count: 0
    .symbol:         _ZL36rocblas_hemvn_kernel_lower_block_sumILi64Ei19rocblas_complex_numIfEPS1_S1_EviT1_lS3_lT2_lT0_lPT3_i.kd
    .uniform_work_group_size: 1
    .uses_dynamic_stack: false
    .vgpr_count:     12
    .vgpr_spill_count: 0
    .wavefront_size: 64
  - .agpr_count:     0
    .args:
      - .offset:         0
        .size:           4
        .value_kind:     by_value
      - .address_space:  global
        .offset:         8
        .size:           8
        .value_kind:     global_buffer
      - .offset:         16
        .size:           8
        .value_kind:     by_value
      - .address_space:  global
        .offset:         24
        .size:           8
        .value_kind:     global_buffer
      - .offset:         32
        .size:           8
        .value_kind:     by_value
      - .offset:         40
        .size:           8
        .value_kind:     by_value
      - .offset:         48
        .size:           8
        .value_kind:     by_value
      - .address_space:  global
        .offset:         56
        .size:           8
        .value_kind:     global_buffer
      - .offset:         64
        .size:           8
        .value_kind:     by_value
      - .offset:         72
        .size:           8
        .value_kind:     by_value
      - .offset:         80
        .size:           8
        .value_kind:     by_value
      - .address_space:  global
        .offset:         88
        .size:           8
        .value_kind:     global_buffer
      - .offset:         96
        .size:           8
        .value_kind:     by_value
      - .address_space:  global
        .offset:         104
        .size:           8
        .value_kind:     global_buffer
      - .offset:         112
        .size:           4
        .value_kind:     by_value
      - .offset:         120
        .size:           4
        .value_kind:     hidden_block_count_x
      - .offset:         124
        .size:           4
        .value_kind:     hidden_block_count_y
      - .offset:         128
        .size:           4
        .value_kind:     hidden_block_count_z
      - .offset:         132
        .size:           2
        .value_kind:     hidden_group_size_x
      - .offset:         134
        .size:           2
        .value_kind:     hidden_group_size_y
      - .offset:         136
        .size:           2
        .value_kind:     hidden_group_size_z
      - .offset:         138
        .size:           2
        .value_kind:     hidden_remainder_x
      - .offset:         140
        .size:           2
        .value_kind:     hidden_remainder_y
      - .offset:         142
        .size:           2
        .value_kind:     hidden_remainder_z
      - .offset:         160
        .size:           8
        .value_kind:     hidden_global_offset_x
      - .offset:         168
        .size:           8
        .value_kind:     hidden_global_offset_y
      - .offset:         176
        .size:           8
        .value_kind:     hidden_global_offset_z
      - .offset:         184
        .size:           2
        .value_kind:     hidden_grid_dims
    .group_segment_fixed_size: 19200
    .kernarg_segment_align: 8
    .kernarg_segment_size: 376
    .language:       OpenCL C
    .language_version:
      - 2
      - 0
    .max_flat_workgroup_size: 256
    .name:           _ZL26rocblas_hemvn_kernel_upperILb1ELi64ELi4ELi33ELi32ELi16ElPK19rocblas_complex_numIdES3_PS1_EviT6_lT7_lT5_lS6_lS7_lS5_lT8_i
    .private_segment_fixed_size: 0
    .sgpr_count:     46
    .sgpr_spill_count: 0
    .symbol:         _ZL26rocblas_hemvn_kernel_upperILb1ELi64ELi4ELi33ELi32ELi16ElPK19rocblas_complex_numIdES3_PS1_EviT6_lT7_lT5_lS6_lS7_lS5_lT8_i.kd
    .uniform_work_group_size: 1
    .uses_dynamic_stack: false
    .vgpr_count:     231
    .vgpr_spill_count: 0
    .wavefront_size: 64
  - .agpr_count:     0
    .args:
      - .offset:         0
        .size:           4
        .value_kind:     by_value
      - .address_space:  global
        .offset:         8
        .size:           8
        .value_kind:     global_buffer
      - .offset:         16
        .size:           8
        .value_kind:     by_value
      - .address_space:  global
        .offset:         24
        .size:           8
        .value_kind:     global_buffer
      - .offset:         32
        .size:           8
        .value_kind:     by_value
      - .address_space:  global
        .offset:         40
        .size:           8
        .value_kind:     global_buffer
      - .offset:         48
        .size:           8
        .value_kind:     by_value
      - .offset:         56
        .size:           8
        .value_kind:     by_value
      - .offset:         64
        .size:           8
        .value_kind:     by_value
      - .address_space:  global
        .offset:         72
        .size:           8
        .value_kind:     global_buffer
      - .offset:         80
        .size:           4
        .value_kind:     by_value
      - .offset:         88
        .size:           4
        .value_kind:     hidden_block_count_x
      - .offset:         92
        .size:           4
        .value_kind:     hidden_block_count_y
      - .offset:         96
        .size:           4
        .value_kind:     hidden_block_count_z
      - .offset:         100
        .size:           2
        .value_kind:     hidden_group_size_x
      - .offset:         102
        .size:           2
        .value_kind:     hidden_group_size_y
      - .offset:         104
        .size:           2
        .value_kind:     hidden_group_size_z
      - .offset:         106
        .size:           2
        .value_kind:     hidden_remainder_x
      - .offset:         108
        .size:           2
        .value_kind:     hidden_remainder_y
      - .offset:         110
        .size:           2
        .value_kind:     hidden_remainder_z
      - .offset:         128
        .size:           8
        .value_kind:     hidden_global_offset_x
      - .offset:         136
        .size:           8
        .value_kind:     hidden_global_offset_y
      - .offset:         144
        .size:           8
        .value_kind:     hidden_global_offset_z
      - .offset:         152
        .size:           2
        .value_kind:     hidden_grid_dims
    .group_segment_fixed_size: 0
    .kernarg_segment_align: 8
    .kernarg_segment_size: 344
    .language:       OpenCL C
    .language_version:
      - 2
      - 0
    .max_flat_workgroup_size: 64
    .name:           _ZL36rocblas_hemvn_kernel_upper_block_sumILi64ElPK19rocblas_complex_numIdEPS1_S1_EviT1_lS5_lT2_lT0_lPT3_i
    .private_segment_fixed_size: 0
    .sgpr_count:     36
    .sgpr_spill_count: 0
    .symbol:         _ZL36rocblas_hemvn_kernel_upper_block_sumILi64ElPK19rocblas_complex_numIdEPS1_S1_EviT1_lS5_lT2_lT0_lPT3_i.kd
    .uniform_work_group_size: 1
    .uses_dynamic_stack: false
    .vgpr_count:     12
    .vgpr_spill_count: 0
    .wavefront_size: 64
  - .agpr_count:     0
    .args:
      - .offset:         0
        .size:           4
        .value_kind:     by_value
      - .address_space:  global
        .offset:         8
        .size:           8
        .value_kind:     global_buffer
      - .offset:         16
        .size:           8
        .value_kind:     by_value
      - .address_space:  global
        .offset:         24
        .size:           8
        .value_kind:     global_buffer
      - .offset:         32
        .size:           8
        .value_kind:     by_value
      - .offset:         40
        .size:           4
        .value_kind:     by_value
      - .offset:         48
        .size:           8
        .value_kind:     by_value
      - .address_space:  global
        .offset:         56
        .size:           8
        .value_kind:     global_buffer
      - .offset:         64
        .size:           8
        .value_kind:     by_value
      - .offset:         72
        .size:           4
        .value_kind:     by_value
      - .offset:         80
        .size:           8
        .value_kind:     by_value
      - .address_space:  global
        .offset:         88
        .size:           8
        .value_kind:     global_buffer
      - .offset:         96
        .size:           8
        .value_kind:     by_value
      - .address_space:  global
        .offset:         104
        .size:           8
        .value_kind:     global_buffer
      - .offset:         112
        .size:           4
        .value_kind:     by_value
      - .offset:         120
        .size:           4
        .value_kind:     hidden_block_count_x
      - .offset:         124
        .size:           4
        .value_kind:     hidden_block_count_y
      - .offset:         128
        .size:           4
        .value_kind:     hidden_block_count_z
      - .offset:         132
        .size:           2
        .value_kind:     hidden_group_size_x
      - .offset:         134
        .size:           2
        .value_kind:     hidden_group_size_y
      - .offset:         136
        .size:           2
        .value_kind:     hidden_group_size_z
      - .offset:         138
        .size:           2
        .value_kind:     hidden_remainder_x
      - .offset:         140
        .size:           2
        .value_kind:     hidden_remainder_y
      - .offset:         142
        .size:           2
        .value_kind:     hidden_remainder_z
      - .offset:         160
        .size:           8
        .value_kind:     hidden_global_offset_x
      - .offset:         168
        .size:           8
        .value_kind:     hidden_global_offset_y
      - .offset:         176
        .size:           8
        .value_kind:     hidden_global_offset_z
      - .offset:         184
        .size:           2
        .value_kind:     hidden_grid_dims
    .group_segment_fixed_size: 19200
    .kernarg_segment_align: 8
    .kernarg_segment_size: 376
    .language:       OpenCL C
    .language_version:
      - 2
      - 0
    .max_flat_workgroup_size: 256
    .name:           _ZL26rocblas_hemvn_kernel_upperILb1ELi64ELi4ELi33ELi32ELi16EiPK19rocblas_complex_numIdES3_PS1_EviT6_lT7_lT5_lS6_lS7_lS5_lT8_i
    .private_segment_fixed_size: 0
    .sgpr_count:     46
    .sgpr_spill_count: 0
    .symbol:         _ZL26rocblas_hemvn_kernel_upperILb1ELi64ELi4ELi33ELi32ELi16EiPK19rocblas_complex_numIdES3_PS1_EviT6_lT7_lT5_lS6_lS7_lS5_lT8_i.kd
    .uniform_work_group_size: 1
    .uses_dynamic_stack: false
    .vgpr_count:     240
    .vgpr_spill_count: 0
    .wavefront_size: 64
  - .agpr_count:     0
    .args:
      - .offset:         0
        .size:           4
        .value_kind:     by_value
      - .address_space:  global
        .offset:         8
        .size:           8
        .value_kind:     global_buffer
      - .offset:         16
        .size:           8
        .value_kind:     by_value
      - .address_space:  global
        .offset:         24
        .size:           8
        .value_kind:     global_buffer
      - .offset:         32
        .size:           8
        .value_kind:     by_value
      - .address_space:  global
        .offset:         40
        .size:           8
        .value_kind:     global_buffer
      - .offset:         48
        .size:           8
        .value_kind:     by_value
      - .offset:         56
        .size:           4
        .value_kind:     by_value
      - .offset:         64
        .size:           8
        .value_kind:     by_value
      - .address_space:  global
        .offset:         72
        .size:           8
        .value_kind:     global_buffer
      - .offset:         80
        .size:           4
        .value_kind:     by_value
      - .offset:         88
        .size:           4
        .value_kind:     hidden_block_count_x
      - .offset:         92
        .size:           4
        .value_kind:     hidden_block_count_y
      - .offset:         96
        .size:           4
        .value_kind:     hidden_block_count_z
      - .offset:         100
        .size:           2
        .value_kind:     hidden_group_size_x
      - .offset:         102
        .size:           2
        .value_kind:     hidden_group_size_y
      - .offset:         104
        .size:           2
        .value_kind:     hidden_group_size_z
      - .offset:         106
        .size:           2
        .value_kind:     hidden_remainder_x
      - .offset:         108
        .size:           2
        .value_kind:     hidden_remainder_y
      - .offset:         110
        .size:           2
        .value_kind:     hidden_remainder_z
      - .offset:         128
        .size:           8
        .value_kind:     hidden_global_offset_x
      - .offset:         136
        .size:           8
        .value_kind:     hidden_global_offset_y
      - .offset:         144
        .size:           8
        .value_kind:     hidden_global_offset_z
      - .offset:         152
        .size:           2
        .value_kind:     hidden_grid_dims
    .group_segment_fixed_size: 0
    .kernarg_segment_align: 8
    .kernarg_segment_size: 344
    .language:       OpenCL C
    .language_version:
      - 2
      - 0
    .max_flat_workgroup_size: 64
    .name:           _ZL36rocblas_hemvn_kernel_upper_block_sumILi64EiPK19rocblas_complex_numIdEPS1_S1_EviT1_lS5_lT2_lT0_lPT3_i
    .private_segment_fixed_size: 0
    .sgpr_count:     38
    .sgpr_spill_count: 0
    .symbol:         _ZL36rocblas_hemvn_kernel_upper_block_sumILi64EiPK19rocblas_complex_numIdEPS1_S1_EviT1_lS5_lT2_lT0_lPT3_i.kd
    .uniform_work_group_size: 1
    .uses_dynamic_stack: false
    .vgpr_count:     14
    .vgpr_spill_count: 0
    .wavefront_size: 64
  - .agpr_count:     0
    .args:
      - .offset:         0
        .size:           4
        .value_kind:     by_value
      - .offset:         8
        .size:           16
        .value_kind:     by_value
      - .offset:         24
        .size:           8
        .value_kind:     by_value
      - .address_space:  global
        .offset:         32
        .size:           8
        .value_kind:     global_buffer
      - .offset:         40
        .size:           8
        .value_kind:     by_value
      - .offset:         48
        .size:           8
        .value_kind:     by_value
      - .offset:         56
        .size:           8
        .value_kind:     by_value
      - .address_space:  global
        .offset:         64
        .size:           8
        .value_kind:     global_buffer
      - .offset:         72
        .size:           8
        .value_kind:     by_value
      - .offset:         80
        .size:           8
        .value_kind:     by_value
      - .offset:         88
        .size:           8
        .value_kind:     by_value
      - .offset:         96
        .size:           16
        .value_kind:     by_value
      - .offset:         112
        .size:           8
        .value_kind:     by_value
      - .address_space:  global
        .offset:         120
        .size:           8
        .value_kind:     global_buffer
      - .offset:         128
        .size:           4
        .value_kind:     by_value
      - .offset:         136
        .size:           4
        .value_kind:     hidden_block_count_x
      - .offset:         140
        .size:           4
        .value_kind:     hidden_block_count_y
      - .offset:         144
        .size:           4
        .value_kind:     hidden_block_count_z
      - .offset:         148
        .size:           2
        .value_kind:     hidden_group_size_x
      - .offset:         150
        .size:           2
        .value_kind:     hidden_group_size_y
      - .offset:         152
        .size:           2
        .value_kind:     hidden_group_size_z
      - .offset:         154
        .size:           2
        .value_kind:     hidden_remainder_x
      - .offset:         156
        .size:           2
        .value_kind:     hidden_remainder_y
      - .offset:         158
        .size:           2
        .value_kind:     hidden_remainder_z
      - .offset:         176
        .size:           8
        .value_kind:     hidden_global_offset_x
      - .offset:         184
        .size:           8
        .value_kind:     hidden_global_offset_y
      - .offset:         192
        .size:           8
        .value_kind:     hidden_global_offset_z
      - .offset:         200
        .size:           2
        .value_kind:     hidden_grid_dims
    .group_segment_fixed_size: 19200
    .kernarg_segment_align: 8
    .kernarg_segment_size: 392
    .language:       OpenCL C
    .language_version:
      - 2
      - 0
    .max_flat_workgroup_size: 256
    .name:           _ZL26rocblas_hemvn_kernel_upperILb1ELi64ELi4ELi33ELi32ELi16El19rocblas_complex_numIdEPKS1_PS1_EviT6_lT7_lT5_lS6_lS7_lS5_lT8_i
    .private_segment_fixed_size: 0
    .sgpr_count:     46
    .sgpr_spill_count: 0
    .symbol:         _ZL26rocblas_hemvn_kernel_upperILb1ELi64ELi4ELi33ELi32ELi16El19rocblas_complex_numIdEPKS1_PS1_EviT6_lT7_lT5_lS6_lS7_lS5_lT8_i.kd
    .uniform_work_group_size: 1
    .uses_dynamic_stack: false
    .vgpr_count:     231
    .vgpr_spill_count: 0
    .wavefront_size: 64
  - .agpr_count:     0
    .args:
      - .offset:         0
        .size:           4
        .value_kind:     by_value
      - .offset:         8
        .size:           16
        .value_kind:     by_value
      - .offset:         24
        .size:           8
        .value_kind:     by_value
      - .offset:         32
        .size:           16
        .value_kind:     by_value
      - .offset:         48
        .size:           8
        .value_kind:     by_value
      - .address_space:  global
        .offset:         56
        .size:           8
        .value_kind:     global_buffer
      - .offset:         64
        .size:           8
        .value_kind:     by_value
      - .offset:         72
        .size:           8
        .value_kind:     by_value
      - .offset:         80
        .size:           8
        .value_kind:     by_value
      - .address_space:  global
        .offset:         88
        .size:           8
        .value_kind:     global_buffer
      - .offset:         96
        .size:           4
        .value_kind:     by_value
      - .offset:         104
        .size:           4
        .value_kind:     hidden_block_count_x
      - .offset:         108
        .size:           4
        .value_kind:     hidden_block_count_y
      - .offset:         112
        .size:           4
        .value_kind:     hidden_block_count_z
      - .offset:         116
        .size:           2
        .value_kind:     hidden_group_size_x
      - .offset:         118
        .size:           2
        .value_kind:     hidden_group_size_y
      - .offset:         120
        .size:           2
        .value_kind:     hidden_group_size_z
      - .offset:         122
        .size:           2
        .value_kind:     hidden_remainder_x
      - .offset:         124
        .size:           2
        .value_kind:     hidden_remainder_y
      - .offset:         126
        .size:           2
        .value_kind:     hidden_remainder_z
      - .offset:         144
        .size:           8
        .value_kind:     hidden_global_offset_x
      - .offset:         152
        .size:           8
        .value_kind:     hidden_global_offset_y
      - .offset:         160
        .size:           8
        .value_kind:     hidden_global_offset_z
      - .offset:         168
        .size:           2
        .value_kind:     hidden_grid_dims
    .group_segment_fixed_size: 0
    .kernarg_segment_align: 8
    .kernarg_segment_size: 360
    .language:       OpenCL C
    .language_version:
      - 2
      - 0
    .max_flat_workgroup_size: 64
    .name:           _ZL36rocblas_hemvn_kernel_upper_block_sumILi64El19rocblas_complex_numIdEPS1_S1_EviT1_lS3_lT2_lT0_lPT3_i
    .private_segment_fixed_size: 0
    .sgpr_count:     36
    .sgpr_spill_count: 0
    .symbol:         _ZL36rocblas_hemvn_kernel_upper_block_sumILi64El19rocblas_complex_numIdEPS1_S1_EviT1_lS3_lT2_lT0_lPT3_i.kd
    .uniform_work_group_size: 1
    .uses_dynamic_stack: false
    .vgpr_count:     12
    .vgpr_spill_count: 0
    .wavefront_size: 64
  - .agpr_count:     0
    .args:
      - .offset:         0
        .size:           4
        .value_kind:     by_value
      - .offset:         8
        .size:           16
        .value_kind:     by_value
      - .offset:         24
        .size:           8
        .value_kind:     by_value
      - .address_space:  global
        .offset:         32
        .size:           8
        .value_kind:     global_buffer
      - .offset:         40
        .size:           8
        .value_kind:     by_value
      - .offset:         48
        .size:           4
        .value_kind:     by_value
      - .offset:         56
        .size:           8
        .value_kind:     by_value
      - .address_space:  global
        .offset:         64
        .size:           8
        .value_kind:     global_buffer
      - .offset:         72
        .size:           8
        .value_kind:     by_value
      - .offset:         80
        .size:           4
        .value_kind:     by_value
      - .offset:         88
        .size:           8
        .value_kind:     by_value
      - .offset:         96
        .size:           16
        .value_kind:     by_value
      - .offset:         112
        .size:           8
        .value_kind:     by_value
      - .address_space:  global
        .offset:         120
        .size:           8
        .value_kind:     global_buffer
      - .offset:         128
        .size:           4
        .value_kind:     by_value
      - .offset:         136
        .size:           4
        .value_kind:     hidden_block_count_x
      - .offset:         140
        .size:           4
        .value_kind:     hidden_block_count_y
      - .offset:         144
        .size:           4
        .value_kind:     hidden_block_count_z
      - .offset:         148
        .size:           2
        .value_kind:     hidden_group_size_x
      - .offset:         150
        .size:           2
        .value_kind:     hidden_group_size_y
      - .offset:         152
        .size:           2
        .value_kind:     hidden_group_size_z
      - .offset:         154
        .size:           2
        .value_kind:     hidden_remainder_x
      - .offset:         156
        .size:           2
        .value_kind:     hidden_remainder_y
      - .offset:         158
        .size:           2
        .value_kind:     hidden_remainder_z
      - .offset:         176
        .size:           8
        .value_kind:     hidden_global_offset_x
      - .offset:         184
        .size:           8
        .value_kind:     hidden_global_offset_y
      - .offset:         192
        .size:           8
        .value_kind:     hidden_global_offset_z
      - .offset:         200
        .size:           2
        .value_kind:     hidden_grid_dims
    .group_segment_fixed_size: 19200
    .kernarg_segment_align: 8
    .kernarg_segment_size: 392
    .language:       OpenCL C
    .language_version:
      - 2
      - 0
    .max_flat_workgroup_size: 256
    .name:           _ZL26rocblas_hemvn_kernel_upperILb1ELi64ELi4ELi33ELi32ELi16Ei19rocblas_complex_numIdEPKS1_PS1_EviT6_lT7_lT5_lS6_lS7_lS5_lT8_i
    .private_segment_fixed_size: 0
    .sgpr_count:     46
    .sgpr_spill_count: 0
    .symbol:         _ZL26rocblas_hemvn_kernel_upperILb1ELi64ELi4ELi33ELi32ELi16Ei19rocblas_complex_numIdEPKS1_PS1_EviT6_lT7_lT5_lS6_lS7_lS5_lT8_i.kd
    .uniform_work_group_size: 1
    .uses_dynamic_stack: false
    .vgpr_count:     240
    .vgpr_spill_count: 0
    .wavefront_size: 64
  - .agpr_count:     0
    .args:
      - .offset:         0
        .size:           4
        .value_kind:     by_value
      - .offset:         8
        .size:           16
        .value_kind:     by_value
      - .offset:         24
        .size:           8
        .value_kind:     by_value
      - .offset:         32
        .size:           16
        .value_kind:     by_value
      - .offset:         48
        .size:           8
        .value_kind:     by_value
      - .address_space:  global
        .offset:         56
        .size:           8
        .value_kind:     global_buffer
      - .offset:         64
        .size:           8
        .value_kind:     by_value
      - .offset:         72
        .size:           4
        .value_kind:     by_value
      - .offset:         80
        .size:           8
        .value_kind:     by_value
      - .address_space:  global
        .offset:         88
        .size:           8
        .value_kind:     global_buffer
      - .offset:         96
        .size:           4
        .value_kind:     by_value
      - .offset:         104
        .size:           4
        .value_kind:     hidden_block_count_x
      - .offset:         108
        .size:           4
        .value_kind:     hidden_block_count_y
      - .offset:         112
        .size:           4
        .value_kind:     hidden_block_count_z
      - .offset:         116
        .size:           2
        .value_kind:     hidden_group_size_x
      - .offset:         118
        .size:           2
        .value_kind:     hidden_group_size_y
      - .offset:         120
        .size:           2
        .value_kind:     hidden_group_size_z
      - .offset:         122
        .size:           2
        .value_kind:     hidden_remainder_x
      - .offset:         124
        .size:           2
        .value_kind:     hidden_remainder_y
      - .offset:         126
        .size:           2
        .value_kind:     hidden_remainder_z
      - .offset:         144
        .size:           8
        .value_kind:     hidden_global_offset_x
      - .offset:         152
        .size:           8
        .value_kind:     hidden_global_offset_y
      - .offset:         160
        .size:           8
        .value_kind:     hidden_global_offset_z
      - .offset:         168
        .size:           2
        .value_kind:     hidden_grid_dims
    .group_segment_fixed_size: 0
    .kernarg_segment_align: 8
    .kernarg_segment_size: 360
    .language:       OpenCL C
    .language_version:
      - 2
      - 0
    .max_flat_workgroup_size: 64
    .name:           _ZL36rocblas_hemvn_kernel_upper_block_sumILi64Ei19rocblas_complex_numIdEPS1_S1_EviT1_lS3_lT2_lT0_lPT3_i
    .private_segment_fixed_size: 0
    .sgpr_count:     38
    .sgpr_spill_count: 0
    .symbol:         _ZL36rocblas_hemvn_kernel_upper_block_sumILi64Ei19rocblas_complex_numIdEPS1_S1_EviT1_lS3_lT2_lT0_lPT3_i.kd
    .uniform_work_group_size: 1
    .uses_dynamic_stack: false
    .vgpr_count:     14
    .vgpr_spill_count: 0
    .wavefront_size: 64
  - .agpr_count:     0
    .args:
      - .offset:         0
        .size:           4
        .value_kind:     by_value
      - .address_space:  global
        .offset:         8
        .size:           8
        .value_kind:     global_buffer
      - .offset:         16
        .size:           8
        .value_kind:     by_value
      - .address_space:  global
        .offset:         24
        .size:           8
        .value_kind:     global_buffer
      - .offset:         32
        .size:           8
        .value_kind:     by_value
      - .offset:         40
        .size:           8
        .value_kind:     by_value
      - .offset:         48
        .size:           8
        .value_kind:     by_value
      - .address_space:  global
        .offset:         56
        .size:           8
        .value_kind:     global_buffer
      - .offset:         64
        .size:           8
        .value_kind:     by_value
      - .offset:         72
        .size:           8
        .value_kind:     by_value
      - .offset:         80
        .size:           8
        .value_kind:     by_value
      - .address_space:  global
        .offset:         88
        .size:           8
        .value_kind:     global_buffer
      - .offset:         96
        .size:           8
        .value_kind:     by_value
      - .address_space:  global
        .offset:         104
        .size:           8
        .value_kind:     global_buffer
      - .offset:         112
        .size:           4
        .value_kind:     by_value
      - .offset:         120
        .size:           4
        .value_kind:     hidden_block_count_x
      - .offset:         124
        .size:           4
        .value_kind:     hidden_block_count_y
      - .offset:         128
        .size:           4
        .value_kind:     hidden_block_count_z
      - .offset:         132
        .size:           2
        .value_kind:     hidden_group_size_x
      - .offset:         134
        .size:           2
        .value_kind:     hidden_group_size_y
      - .offset:         136
        .size:           2
        .value_kind:     hidden_group_size_z
      - .offset:         138
        .size:           2
        .value_kind:     hidden_remainder_x
      - .offset:         140
        .size:           2
        .value_kind:     hidden_remainder_y
      - .offset:         142
        .size:           2
        .value_kind:     hidden_remainder_z
      - .offset:         160
        .size:           8
        .value_kind:     hidden_global_offset_x
      - .offset:         168
        .size:           8
        .value_kind:     hidden_global_offset_y
      - .offset:         176
        .size:           8
        .value_kind:     hidden_global_offset_z
      - .offset:         184
        .size:           2
        .value_kind:     hidden_grid_dims
    .group_segment_fixed_size: 19200
    .kernarg_segment_align: 8
    .kernarg_segment_size: 376
    .language:       OpenCL C
    .language_version:
      - 2
      - 0
    .max_flat_workgroup_size: 256
    .name:           _ZL26rocblas_hemvn_kernel_lowerILb1ELi64ELi4ELi33ELi32ELi16ElPK19rocblas_complex_numIdES3_PS1_EviT6_lT7_lT5_lS6_lS7_lS5_lT8_i
    .private_segment_fixed_size: 0
    .sgpr_count:     50
    .sgpr_spill_count: 0
    .symbol:         _ZL26rocblas_hemvn_kernel_lowerILb1ELi64ELi4ELi33ELi32ELi16ElPK19rocblas_complex_numIdES3_PS1_EviT6_lT7_lT5_lS6_lS7_lS5_lT8_i.kd
    .uniform_work_group_size: 1
    .uses_dynamic_stack: false
    .vgpr_count:     188
    .vgpr_spill_count: 0
    .wavefront_size: 64
  - .agpr_count:     0
    .args:
      - .offset:         0
        .size:           4
        .value_kind:     by_value
      - .address_space:  global
        .offset:         8
        .size:           8
        .value_kind:     global_buffer
      - .offset:         16
        .size:           8
        .value_kind:     by_value
      - .address_space:  global
        .offset:         24
        .size:           8
        .value_kind:     global_buffer
      - .offset:         32
        .size:           8
        .value_kind:     by_value
      - .address_space:  global
        .offset:         40
        .size:           8
        .value_kind:     global_buffer
      - .offset:         48
        .size:           8
        .value_kind:     by_value
      - .offset:         56
        .size:           8
        .value_kind:     by_value
      - .offset:         64
        .size:           8
        .value_kind:     by_value
      - .actual_access:  read_only
        .address_space:  global
        .offset:         72
        .size:           8
        .value_kind:     global_buffer
      - .offset:         80
        .size:           4
        .value_kind:     by_value
      - .offset:         88
        .size:           4
        .value_kind:     hidden_block_count_x
      - .offset:         92
        .size:           4
        .value_kind:     hidden_block_count_y
      - .offset:         96
        .size:           4
        .value_kind:     hidden_block_count_z
      - .offset:         100
        .size:           2
        .value_kind:     hidden_group_size_x
      - .offset:         102
        .size:           2
        .value_kind:     hidden_group_size_y
      - .offset:         104
        .size:           2
        .value_kind:     hidden_group_size_z
      - .offset:         106
        .size:           2
        .value_kind:     hidden_remainder_x
      - .offset:         108
        .size:           2
        .value_kind:     hidden_remainder_y
      - .offset:         110
        .size:           2
        .value_kind:     hidden_remainder_z
      - .offset:         128
        .size:           8
        .value_kind:     hidden_global_offset_x
      - .offset:         136
        .size:           8
        .value_kind:     hidden_global_offset_y
      - .offset:         144
        .size:           8
        .value_kind:     hidden_global_offset_z
      - .offset:         152
        .size:           2
        .value_kind:     hidden_grid_dims
    .group_segment_fixed_size: 0
    .kernarg_segment_align: 8
    .kernarg_segment_size: 344
    .language:       OpenCL C
    .language_version:
      - 2
      - 0
    .max_flat_workgroup_size: 64
    .name:           _ZL36rocblas_hemvn_kernel_lower_block_sumILi64ElPK19rocblas_complex_numIdEPS1_S1_EviT1_lS5_lT2_lT0_lPT3_i
    .private_segment_fixed_size: 0
    .sgpr_count:     34
    .sgpr_spill_count: 0
    .symbol:         _ZL36rocblas_hemvn_kernel_lower_block_sumILi64ElPK19rocblas_complex_numIdEPS1_S1_EviT1_lS5_lT2_lT0_lPT3_i.kd
    .uniform_work_group_size: 1
    .uses_dynamic_stack: false
    .vgpr_count:     12
    .vgpr_spill_count: 0
    .wavefront_size: 64
  - .agpr_count:     0
    .args:
      - .offset:         0
        .size:           4
        .value_kind:     by_value
      - .address_space:  global
        .offset:         8
        .size:           8
        .value_kind:     global_buffer
      - .offset:         16
        .size:           8
        .value_kind:     by_value
      - .address_space:  global
        .offset:         24
        .size:           8
        .value_kind:     global_buffer
      - .offset:         32
        .size:           8
        .value_kind:     by_value
      - .offset:         40
        .size:           4
        .value_kind:     by_value
      - .offset:         48
        .size:           8
        .value_kind:     by_value
      - .address_space:  global
        .offset:         56
        .size:           8
        .value_kind:     global_buffer
      - .offset:         64
        .size:           8
        .value_kind:     by_value
      - .offset:         72
        .size:           4
        .value_kind:     by_value
      - .offset:         80
        .size:           8
        .value_kind:     by_value
      - .address_space:  global
        .offset:         88
        .size:           8
        .value_kind:     global_buffer
      - .offset:         96
        .size:           8
        .value_kind:     by_value
      - .address_space:  global
        .offset:         104
        .size:           8
        .value_kind:     global_buffer
      - .offset:         112
        .size:           4
        .value_kind:     by_value
      - .offset:         120
        .size:           4
        .value_kind:     hidden_block_count_x
      - .offset:         124
        .size:           4
        .value_kind:     hidden_block_count_y
      - .offset:         128
        .size:           4
        .value_kind:     hidden_block_count_z
      - .offset:         132
        .size:           2
        .value_kind:     hidden_group_size_x
      - .offset:         134
        .size:           2
        .value_kind:     hidden_group_size_y
      - .offset:         136
        .size:           2
        .value_kind:     hidden_group_size_z
      - .offset:         138
        .size:           2
        .value_kind:     hidden_remainder_x
      - .offset:         140
        .size:           2
        .value_kind:     hidden_remainder_y
      - .offset:         142
        .size:           2
        .value_kind:     hidden_remainder_z
      - .offset:         160
        .size:           8
        .value_kind:     hidden_global_offset_x
      - .offset:         168
        .size:           8
        .value_kind:     hidden_global_offset_y
      - .offset:         176
        .size:           8
        .value_kind:     hidden_global_offset_z
      - .offset:         184
        .size:           2
        .value_kind:     hidden_grid_dims
    .group_segment_fixed_size: 19200
    .kernarg_segment_align: 8
    .kernarg_segment_size: 376
    .language:       OpenCL C
    .language_version:
      - 2
      - 0
    .max_flat_workgroup_size: 256
    .name:           _ZL26rocblas_hemvn_kernel_lowerILb1ELi64ELi4ELi33ELi32ELi16EiPK19rocblas_complex_numIdES3_PS1_EviT6_lT7_lT5_lS6_lS7_lS5_lT8_i
    .private_segment_fixed_size: 0
    .sgpr_count:     47
    .sgpr_spill_count: 0
    .symbol:         _ZL26rocblas_hemvn_kernel_lowerILb1ELi64ELi4ELi33ELi32ELi16EiPK19rocblas_complex_numIdES3_PS1_EviT6_lT7_lT5_lS6_lS7_lS5_lT8_i.kd
    .uniform_work_group_size: 1
    .uses_dynamic_stack: false
    .vgpr_count:     186
    .vgpr_spill_count: 0
    .wavefront_size: 64
  - .agpr_count:     0
    .args:
      - .offset:         0
        .size:           4
        .value_kind:     by_value
      - .address_space:  global
        .offset:         8
        .size:           8
        .value_kind:     global_buffer
      - .offset:         16
        .size:           8
        .value_kind:     by_value
      - .address_space:  global
        .offset:         24
        .size:           8
        .value_kind:     global_buffer
      - .offset:         32
        .size:           8
        .value_kind:     by_value
      - .address_space:  global
        .offset:         40
        .size:           8
        .value_kind:     global_buffer
      - .offset:         48
        .size:           8
        .value_kind:     by_value
      - .offset:         56
        .size:           4
        .value_kind:     by_value
      - .offset:         64
        .size:           8
        .value_kind:     by_value
      - .actual_access:  read_only
        .address_space:  global
        .offset:         72
        .size:           8
        .value_kind:     global_buffer
      - .offset:         80
        .size:           4
        .value_kind:     by_value
      - .offset:         88
        .size:           4
        .value_kind:     hidden_block_count_x
      - .offset:         92
        .size:           4
        .value_kind:     hidden_block_count_y
      - .offset:         96
        .size:           4
        .value_kind:     hidden_block_count_z
      - .offset:         100
        .size:           2
        .value_kind:     hidden_group_size_x
      - .offset:         102
        .size:           2
        .value_kind:     hidden_group_size_y
      - .offset:         104
        .size:           2
        .value_kind:     hidden_group_size_z
      - .offset:         106
        .size:           2
        .value_kind:     hidden_remainder_x
      - .offset:         108
        .size:           2
        .value_kind:     hidden_remainder_y
      - .offset:         110
        .size:           2
        .value_kind:     hidden_remainder_z
      - .offset:         128
        .size:           8
        .value_kind:     hidden_global_offset_x
      - .offset:         136
        .size:           8
        .value_kind:     hidden_global_offset_y
      - .offset:         144
        .size:           8
        .value_kind:     hidden_global_offset_z
      - .offset:         152
        .size:           2
        .value_kind:     hidden_grid_dims
    .group_segment_fixed_size: 0
    .kernarg_segment_align: 8
    .kernarg_segment_size: 344
    .language:       OpenCL C
    .language_version:
      - 2
      - 0
    .max_flat_workgroup_size: 64
    .name:           _ZL36rocblas_hemvn_kernel_lower_block_sumILi64EiPK19rocblas_complex_numIdEPS1_S1_EviT1_lS5_lT2_lT0_lPT3_i
    .private_segment_fixed_size: 0
    .sgpr_count:     31
    .sgpr_spill_count: 0
    .symbol:         _ZL36rocblas_hemvn_kernel_lower_block_sumILi64EiPK19rocblas_complex_numIdEPS1_S1_EviT1_lS5_lT2_lT0_lPT3_i.kd
    .uniform_work_group_size: 1
    .uses_dynamic_stack: false
    .vgpr_count:     14
    .vgpr_spill_count: 0
    .wavefront_size: 64
  - .agpr_count:     0
    .args:
      - .offset:         0
        .size:           4
        .value_kind:     by_value
      - .offset:         8
        .size:           16
        .value_kind:     by_value
      - .offset:         24
        .size:           8
        .value_kind:     by_value
      - .address_space:  global
        .offset:         32
        .size:           8
        .value_kind:     global_buffer
      - .offset:         40
        .size:           8
        .value_kind:     by_value
      - .offset:         48
        .size:           8
        .value_kind:     by_value
      - .offset:         56
        .size:           8
        .value_kind:     by_value
      - .address_space:  global
        .offset:         64
        .size:           8
        .value_kind:     global_buffer
      - .offset:         72
        .size:           8
        .value_kind:     by_value
      - .offset:         80
        .size:           8
        .value_kind:     by_value
      - .offset:         88
        .size:           8
        .value_kind:     by_value
      - .offset:         96
        .size:           16
        .value_kind:     by_value
      - .offset:         112
        .size:           8
        .value_kind:     by_value
      - .address_space:  global
        .offset:         120
        .size:           8
        .value_kind:     global_buffer
      - .offset:         128
        .size:           4
        .value_kind:     by_value
      - .offset:         136
        .size:           4
        .value_kind:     hidden_block_count_x
      - .offset:         140
        .size:           4
        .value_kind:     hidden_block_count_y
      - .offset:         144
        .size:           4
        .value_kind:     hidden_block_count_z
      - .offset:         148
        .size:           2
        .value_kind:     hidden_group_size_x
      - .offset:         150
        .size:           2
        .value_kind:     hidden_group_size_y
      - .offset:         152
        .size:           2
        .value_kind:     hidden_group_size_z
      - .offset:         154
        .size:           2
        .value_kind:     hidden_remainder_x
      - .offset:         156
        .size:           2
        .value_kind:     hidden_remainder_y
      - .offset:         158
        .size:           2
        .value_kind:     hidden_remainder_z
      - .offset:         176
        .size:           8
        .value_kind:     hidden_global_offset_x
      - .offset:         184
        .size:           8
        .value_kind:     hidden_global_offset_y
      - .offset:         192
        .size:           8
        .value_kind:     hidden_global_offset_z
      - .offset:         200
        .size:           2
        .value_kind:     hidden_grid_dims
    .group_segment_fixed_size: 19200
    .kernarg_segment_align: 8
    .kernarg_segment_size: 392
    .language:       OpenCL C
    .language_version:
      - 2
      - 0
    .max_flat_workgroup_size: 256
    .name:           _ZL26rocblas_hemvn_kernel_lowerILb1ELi64ELi4ELi33ELi32ELi16El19rocblas_complex_numIdEPKS1_PS1_EviT6_lT7_lT5_lS6_lS7_lS5_lT8_i
    .private_segment_fixed_size: 0
    .sgpr_count:     58
    .sgpr_spill_count: 0
    .symbol:         _ZL26rocblas_hemvn_kernel_lowerILb1ELi64ELi4ELi33ELi32ELi16El19rocblas_complex_numIdEPKS1_PS1_EviT6_lT7_lT5_lS6_lS7_lS5_lT8_i.kd
    .uniform_work_group_size: 1
    .uses_dynamic_stack: false
    .vgpr_count:     188
    .vgpr_spill_count: 0
    .wavefront_size: 64
  - .agpr_count:     0
    .args:
      - .offset:         0
        .size:           4
        .value_kind:     by_value
      - .offset:         8
        .size:           16
        .value_kind:     by_value
      - .offset:         24
        .size:           8
        .value_kind:     by_value
      - .offset:         32
        .size:           16
        .value_kind:     by_value
      - .offset:         48
        .size:           8
        .value_kind:     by_value
      - .address_space:  global
        .offset:         56
        .size:           8
        .value_kind:     global_buffer
      - .offset:         64
        .size:           8
        .value_kind:     by_value
      - .offset:         72
        .size:           8
        .value_kind:     by_value
      - .offset:         80
        .size:           8
        .value_kind:     by_value
      - .actual_access:  read_only
        .address_space:  global
        .offset:         88
        .size:           8
        .value_kind:     global_buffer
      - .offset:         96
        .size:           4
        .value_kind:     by_value
      - .offset:         104
        .size:           4
        .value_kind:     hidden_block_count_x
      - .offset:         108
        .size:           4
        .value_kind:     hidden_block_count_y
      - .offset:         112
        .size:           4
        .value_kind:     hidden_block_count_z
      - .offset:         116
        .size:           2
        .value_kind:     hidden_group_size_x
      - .offset:         118
        .size:           2
        .value_kind:     hidden_group_size_y
      - .offset:         120
        .size:           2
        .value_kind:     hidden_group_size_z
      - .offset:         122
        .size:           2
        .value_kind:     hidden_remainder_x
      - .offset:         124
        .size:           2
        .value_kind:     hidden_remainder_y
      - .offset:         126
        .size:           2
        .value_kind:     hidden_remainder_z
      - .offset:         144
        .size:           8
        .value_kind:     hidden_global_offset_x
      - .offset:         152
        .size:           8
        .value_kind:     hidden_global_offset_y
      - .offset:         160
        .size:           8
        .value_kind:     hidden_global_offset_z
      - .offset:         168
        .size:           2
        .value_kind:     hidden_grid_dims
    .group_segment_fixed_size: 0
    .kernarg_segment_align: 8
    .kernarg_segment_size: 360
    .language:       OpenCL C
    .language_version:
      - 2
      - 0
    .max_flat_workgroup_size: 64
    .name:           _ZL36rocblas_hemvn_kernel_lower_block_sumILi64El19rocblas_complex_numIdEPS1_S1_EviT1_lS3_lT2_lT0_lPT3_i
    .private_segment_fixed_size: 0
    .sgpr_count:     34
    .sgpr_spill_count: 0
    .symbol:         _ZL36rocblas_hemvn_kernel_lower_block_sumILi64El19rocblas_complex_numIdEPS1_S1_EviT1_lS3_lT2_lT0_lPT3_i.kd
    .uniform_work_group_size: 1
    .uses_dynamic_stack: false
    .vgpr_count:     12
    .vgpr_spill_count: 0
    .wavefront_size: 64
  - .agpr_count:     0
    .args:
      - .offset:         0
        .size:           4
        .value_kind:     by_value
      - .offset:         8
        .size:           16
        .value_kind:     by_value
      - .offset:         24
        .size:           8
        .value_kind:     by_value
      - .address_space:  global
        .offset:         32
        .size:           8
        .value_kind:     global_buffer
      - .offset:         40
        .size:           8
        .value_kind:     by_value
      - .offset:         48
        .size:           4
        .value_kind:     by_value
      - .offset:         56
        .size:           8
        .value_kind:     by_value
      - .address_space:  global
        .offset:         64
        .size:           8
        .value_kind:     global_buffer
      - .offset:         72
        .size:           8
        .value_kind:     by_value
      - .offset:         80
        .size:           4
        .value_kind:     by_value
      - .offset:         88
        .size:           8
        .value_kind:     by_value
      - .offset:         96
        .size:           16
        .value_kind:     by_value
      - .offset:         112
        .size:           8
        .value_kind:     by_value
      - .address_space:  global
        .offset:         120
        .size:           8
        .value_kind:     global_buffer
      - .offset:         128
        .size:           4
        .value_kind:     by_value
      - .offset:         136
        .size:           4
        .value_kind:     hidden_block_count_x
      - .offset:         140
        .size:           4
        .value_kind:     hidden_block_count_y
      - .offset:         144
        .size:           4
        .value_kind:     hidden_block_count_z
      - .offset:         148
        .size:           2
        .value_kind:     hidden_group_size_x
      - .offset:         150
        .size:           2
        .value_kind:     hidden_group_size_y
      - .offset:         152
        .size:           2
        .value_kind:     hidden_group_size_z
      - .offset:         154
        .size:           2
        .value_kind:     hidden_remainder_x
      - .offset:         156
        .size:           2
        .value_kind:     hidden_remainder_y
      - .offset:         158
        .size:           2
        .value_kind:     hidden_remainder_z
      - .offset:         176
        .size:           8
        .value_kind:     hidden_global_offset_x
      - .offset:         184
        .size:           8
        .value_kind:     hidden_global_offset_y
      - .offset:         192
        .size:           8
        .value_kind:     hidden_global_offset_z
      - .offset:         200
        .size:           2
        .value_kind:     hidden_grid_dims
    .group_segment_fixed_size: 19200
    .kernarg_segment_align: 8
    .kernarg_segment_size: 392
    .language:       OpenCL C
    .language_version:
      - 2
      - 0
    .max_flat_workgroup_size: 256
    .name:           _ZL26rocblas_hemvn_kernel_lowerILb1ELi64ELi4ELi33ELi32ELi16Ei19rocblas_complex_numIdEPKS1_PS1_EviT6_lT7_lT5_lS6_lS7_lS5_lT8_i
    .private_segment_fixed_size: 0
    .sgpr_count:     48
    .sgpr_spill_count: 0
    .symbol:         _ZL26rocblas_hemvn_kernel_lowerILb1ELi64ELi4ELi33ELi32ELi16Ei19rocblas_complex_numIdEPKS1_PS1_EviT6_lT7_lT5_lS6_lS7_lS5_lT8_i.kd
    .uniform_work_group_size: 1
    .uses_dynamic_stack: false
    .vgpr_count:     186
    .vgpr_spill_count: 0
    .wavefront_size: 64
  - .agpr_count:     0
    .args:
      - .offset:         0
        .size:           4
        .value_kind:     by_value
      - .offset:         8
        .size:           16
        .value_kind:     by_value
      - .offset:         24
        .size:           8
        .value_kind:     by_value
      - .offset:         32
        .size:           16
        .value_kind:     by_value
      - .offset:         48
        .size:           8
        .value_kind:     by_value
      - .address_space:  global
        .offset:         56
        .size:           8
        .value_kind:     global_buffer
      - .offset:         64
        .size:           8
        .value_kind:     by_value
      - .offset:         72
        .size:           4
        .value_kind:     by_value
      - .offset:         80
        .size:           8
        .value_kind:     by_value
      - .actual_access:  read_only
        .address_space:  global
        .offset:         88
        .size:           8
        .value_kind:     global_buffer
      - .offset:         96
        .size:           4
        .value_kind:     by_value
      - .offset:         104
        .size:           4
        .value_kind:     hidden_block_count_x
      - .offset:         108
        .size:           4
        .value_kind:     hidden_block_count_y
      - .offset:         112
        .size:           4
        .value_kind:     hidden_block_count_z
      - .offset:         116
        .size:           2
        .value_kind:     hidden_group_size_x
      - .offset:         118
        .size:           2
        .value_kind:     hidden_group_size_y
      - .offset:         120
        .size:           2
        .value_kind:     hidden_group_size_z
      - .offset:         122
        .size:           2
        .value_kind:     hidden_remainder_x
      - .offset:         124
        .size:           2
        .value_kind:     hidden_remainder_y
      - .offset:         126
        .size:           2
        .value_kind:     hidden_remainder_z
      - .offset:         144
        .size:           8
        .value_kind:     hidden_global_offset_x
      - .offset:         152
        .size:           8
        .value_kind:     hidden_global_offset_y
      - .offset:         160
        .size:           8
        .value_kind:     hidden_global_offset_z
      - .offset:         168
        .size:           2
        .value_kind:     hidden_grid_dims
    .group_segment_fixed_size: 0
    .kernarg_segment_align: 8
    .kernarg_segment_size: 360
    .language:       OpenCL C
    .language_version:
      - 2
      - 0
    .max_flat_workgroup_size: 64
    .name:           _ZL36rocblas_hemvn_kernel_lower_block_sumILi64Ei19rocblas_complex_numIdEPS1_S1_EviT1_lS3_lT2_lT0_lPT3_i
    .private_segment_fixed_size: 0
    .sgpr_count:     31
    .sgpr_spill_count: 0
    .symbol:         _ZL36rocblas_hemvn_kernel_lower_block_sumILi64Ei19rocblas_complex_numIdEPS1_S1_EviT1_lS3_lT2_lT0_lPT3_i.kd
    .uniform_work_group_size: 1
    .uses_dynamic_stack: false
    .vgpr_count:     14
    .vgpr_spill_count: 0
    .wavefront_size: 64
  - .agpr_count:     0
    .args:
      - .offset:         0
        .size:           4
        .value_kind:     by_value
      - .address_space:  global
        .offset:         8
        .size:           8
        .value_kind:     global_buffer
      - .offset:         16
        .size:           8
        .value_kind:     by_value
      - .address_space:  global
        .offset:         24
        .size:           8
        .value_kind:     global_buffer
      - .offset:         32
        .size:           8
        .value_kind:     by_value
      - .offset:         40
        .size:           8
        .value_kind:     by_value
      - .offset:         48
        .size:           8
        .value_kind:     by_value
      - .address_space:  global
        .offset:         56
        .size:           8
        .value_kind:     global_buffer
      - .offset:         64
        .size:           8
        .value_kind:     by_value
      - .offset:         72
        .size:           8
        .value_kind:     by_value
      - .offset:         80
        .size:           8
        .value_kind:     by_value
      - .address_space:  global
        .offset:         88
        .size:           8
        .value_kind:     global_buffer
      - .offset:         96
        .size:           8
        .value_kind:     by_value
      - .address_space:  global
        .offset:         104
        .size:           8
        .value_kind:     global_buffer
      - .offset:         112
        .size:           4
        .value_kind:     by_value
      - .offset:         120
        .size:           4
        .value_kind:     hidden_block_count_x
      - .offset:         124
        .size:           4
        .value_kind:     hidden_block_count_y
      - .offset:         128
        .size:           4
        .value_kind:     hidden_block_count_z
      - .offset:         132
        .size:           2
        .value_kind:     hidden_group_size_x
      - .offset:         134
        .size:           2
        .value_kind:     hidden_group_size_y
      - .offset:         136
        .size:           2
        .value_kind:     hidden_group_size_z
      - .offset:         138
        .size:           2
        .value_kind:     hidden_remainder_x
      - .offset:         140
        .size:           2
        .value_kind:     hidden_remainder_y
      - .offset:         142
        .size:           2
        .value_kind:     hidden_remainder_z
      - .offset:         160
        .size:           8
        .value_kind:     hidden_global_offset_x
      - .offset:         168
        .size:           8
        .value_kind:     hidden_global_offset_y
      - .offset:         176
        .size:           8
        .value_kind:     hidden_global_offset_z
      - .offset:         184
        .size:           2
        .value_kind:     hidden_grid_dims
    .group_segment_fixed_size: 9600
    .kernarg_segment_align: 8
    .kernarg_segment_size: 376
    .language:       OpenCL C
    .language_version:
      - 2
      - 0
    .max_flat_workgroup_size: 256
    .name:           _ZL26rocblas_hemvn_kernel_upperILb1ELi64ELi4ELi33ELi32ELi16ElPK19rocblas_complex_numIfEPKS3_PS1_EviT6_lT7_lT5_lS8_lS9_lS7_lT8_i
    .private_segment_fixed_size: 0
    .sgpr_count:     45
    .sgpr_spill_count: 0
    .symbol:         _ZL26rocblas_hemvn_kernel_upperILb1ELi64ELi4ELi33ELi32ELi16ElPK19rocblas_complex_numIfEPKS3_PS1_EviT6_lT7_lT5_lS8_lS9_lS7_lT8_i.kd
    .uniform_work_group_size: 1
    .uses_dynamic_stack: false
    .vgpr_count:     154
    .vgpr_spill_count: 0
    .wavefront_size: 64
  - .agpr_count:     0
    .args:
      - .offset:         0
        .size:           4
        .value_kind:     by_value
      - .address_space:  global
        .offset:         8
        .size:           8
        .value_kind:     global_buffer
      - .offset:         16
        .size:           8
        .value_kind:     by_value
      - .address_space:  global
        .offset:         24
        .size:           8
        .value_kind:     global_buffer
      - .offset:         32
        .size:           8
        .value_kind:     by_value
      - .actual_access:  read_only
        .address_space:  global
        .offset:         40
        .size:           8
        .value_kind:     global_buffer
      - .offset:         48
        .size:           8
        .value_kind:     by_value
      - .offset:         56
        .size:           8
        .value_kind:     by_value
      - .offset:         64
        .size:           8
        .value_kind:     by_value
      - .address_space:  global
        .offset:         72
        .size:           8
        .value_kind:     global_buffer
      - .offset:         80
        .size:           4
        .value_kind:     by_value
      - .offset:         88
        .size:           4
        .value_kind:     hidden_block_count_x
      - .offset:         92
        .size:           4
        .value_kind:     hidden_block_count_y
      - .offset:         96
        .size:           4
        .value_kind:     hidden_block_count_z
      - .offset:         100
        .size:           2
        .value_kind:     hidden_group_size_x
      - .offset:         102
        .size:           2
        .value_kind:     hidden_group_size_y
      - .offset:         104
        .size:           2
        .value_kind:     hidden_group_size_z
      - .offset:         106
        .size:           2
        .value_kind:     hidden_remainder_x
      - .offset:         108
        .size:           2
        .value_kind:     hidden_remainder_y
      - .offset:         110
        .size:           2
        .value_kind:     hidden_remainder_z
      - .offset:         128
        .size:           8
        .value_kind:     hidden_global_offset_x
      - .offset:         136
        .size:           8
        .value_kind:     hidden_global_offset_y
      - .offset:         144
        .size:           8
        .value_kind:     hidden_global_offset_z
      - .offset:         152
        .size:           2
        .value_kind:     hidden_grid_dims
    .group_segment_fixed_size: 0
    .kernarg_segment_align: 8
    .kernarg_segment_size: 344
    .language:       OpenCL C
    .language_version:
      - 2
      - 0
    .max_flat_workgroup_size: 64
    .name:           _ZL36rocblas_hemvn_kernel_upper_block_sumILi64ElPK19rocblas_complex_numIfEPKPS1_S1_EviT1_lS7_lT2_lT0_lPT3_i
    .private_segment_fixed_size: 0
    .sgpr_count:     30
    .sgpr_spill_count: 0
    .symbol:         _ZL36rocblas_hemvn_kernel_upper_block_sumILi64ElPK19rocblas_complex_numIfEPKPS1_S1_EviT1_lS7_lT2_lT0_lPT3_i.kd
    .uniform_work_group_size: 1
    .uses_dynamic_stack: false
    .vgpr_count:     14
    .vgpr_spill_count: 0
    .wavefront_size: 64
  - .agpr_count:     0
    .args:
      - .offset:         0
        .size:           4
        .value_kind:     by_value
      - .address_space:  global
        .offset:         8
        .size:           8
        .value_kind:     global_buffer
      - .offset:         16
        .size:           8
        .value_kind:     by_value
      - .address_space:  global
        .offset:         24
        .size:           8
        .value_kind:     global_buffer
      - .offset:         32
        .size:           8
        .value_kind:     by_value
      - .offset:         40
        .size:           4
        .value_kind:     by_value
      - .offset:         48
        .size:           8
        .value_kind:     by_value
      - .address_space:  global
        .offset:         56
        .size:           8
        .value_kind:     global_buffer
      - .offset:         64
        .size:           8
        .value_kind:     by_value
      - .offset:         72
        .size:           4
        .value_kind:     by_value
      - .offset:         80
        .size:           8
        .value_kind:     by_value
      - .address_space:  global
        .offset:         88
        .size:           8
        .value_kind:     global_buffer
      - .offset:         96
        .size:           8
        .value_kind:     by_value
      - .address_space:  global
        .offset:         104
        .size:           8
        .value_kind:     global_buffer
      - .offset:         112
        .size:           4
        .value_kind:     by_value
      - .offset:         120
        .size:           4
        .value_kind:     hidden_block_count_x
      - .offset:         124
        .size:           4
        .value_kind:     hidden_block_count_y
      - .offset:         128
        .size:           4
        .value_kind:     hidden_block_count_z
      - .offset:         132
        .size:           2
        .value_kind:     hidden_group_size_x
      - .offset:         134
        .size:           2
        .value_kind:     hidden_group_size_y
      - .offset:         136
        .size:           2
        .value_kind:     hidden_group_size_z
      - .offset:         138
        .size:           2
        .value_kind:     hidden_remainder_x
      - .offset:         140
        .size:           2
        .value_kind:     hidden_remainder_y
      - .offset:         142
        .size:           2
        .value_kind:     hidden_remainder_z
      - .offset:         160
        .size:           8
        .value_kind:     hidden_global_offset_x
      - .offset:         168
        .size:           8
        .value_kind:     hidden_global_offset_y
      - .offset:         176
        .size:           8
        .value_kind:     hidden_global_offset_z
      - .offset:         184
        .size:           2
        .value_kind:     hidden_grid_dims
    .group_segment_fixed_size: 9600
    .kernarg_segment_align: 8
    .kernarg_segment_size: 376
    .language:       OpenCL C
    .language_version:
      - 2
      - 0
    .max_flat_workgroup_size: 256
    .name:           _ZL26rocblas_hemvn_kernel_upperILb1ELi64ELi4ELi33ELi32ELi16EiPK19rocblas_complex_numIfEPKS3_PS1_EviT6_lT7_lT5_lS8_lS9_lS7_lT8_i
    .private_segment_fixed_size: 0
    .sgpr_count:     52
    .sgpr_spill_count: 0
    .symbol:         _ZL26rocblas_hemvn_kernel_upperILb1ELi64ELi4ELi33ELi32ELi16EiPK19rocblas_complex_numIfEPKS3_PS1_EviT6_lT7_lT5_lS8_lS9_lS7_lT8_i.kd
    .uniform_work_group_size: 1
    .uses_dynamic_stack: false
    .vgpr_count:     162
    .vgpr_spill_count: 0
    .wavefront_size: 64
  - .agpr_count:     0
    .args:
      - .offset:         0
        .size:           4
        .value_kind:     by_value
      - .address_space:  global
        .offset:         8
        .size:           8
        .value_kind:     global_buffer
      - .offset:         16
        .size:           8
        .value_kind:     by_value
      - .address_space:  global
        .offset:         24
        .size:           8
        .value_kind:     global_buffer
      - .offset:         32
        .size:           8
        .value_kind:     by_value
      - .actual_access:  read_only
        .address_space:  global
        .offset:         40
        .size:           8
        .value_kind:     global_buffer
      - .offset:         48
        .size:           8
        .value_kind:     by_value
      - .offset:         56
        .size:           4
        .value_kind:     by_value
      - .offset:         64
        .size:           8
        .value_kind:     by_value
      - .address_space:  global
        .offset:         72
        .size:           8
        .value_kind:     global_buffer
      - .offset:         80
        .size:           4
        .value_kind:     by_value
      - .offset:         88
        .size:           4
        .value_kind:     hidden_block_count_x
      - .offset:         92
        .size:           4
        .value_kind:     hidden_block_count_y
      - .offset:         96
        .size:           4
        .value_kind:     hidden_block_count_z
      - .offset:         100
        .size:           2
        .value_kind:     hidden_group_size_x
      - .offset:         102
        .size:           2
        .value_kind:     hidden_group_size_y
      - .offset:         104
        .size:           2
        .value_kind:     hidden_group_size_z
      - .offset:         106
        .size:           2
        .value_kind:     hidden_remainder_x
      - .offset:         108
        .size:           2
        .value_kind:     hidden_remainder_y
      - .offset:         110
        .size:           2
        .value_kind:     hidden_remainder_z
      - .offset:         128
        .size:           8
        .value_kind:     hidden_global_offset_x
      - .offset:         136
        .size:           8
        .value_kind:     hidden_global_offset_y
      - .offset:         144
        .size:           8
        .value_kind:     hidden_global_offset_z
      - .offset:         152
        .size:           2
        .value_kind:     hidden_grid_dims
    .group_segment_fixed_size: 0
    .kernarg_segment_align: 8
    .kernarg_segment_size: 344
    .language:       OpenCL C
    .language_version:
      - 2
      - 0
    .max_flat_workgroup_size: 64
    .name:           _ZL36rocblas_hemvn_kernel_upper_block_sumILi64EiPK19rocblas_complex_numIfEPKPS1_S1_EviT1_lS7_lT2_lT0_lPT3_i
    .private_segment_fixed_size: 0
    .sgpr_count:     26
    .sgpr_spill_count: 0
    .symbol:         _ZL36rocblas_hemvn_kernel_upper_block_sumILi64EiPK19rocblas_complex_numIfEPKPS1_S1_EviT1_lS7_lT2_lT0_lPT3_i.kd
    .uniform_work_group_size: 1
    .uses_dynamic_stack: false
    .vgpr_count:     12
    .vgpr_spill_count: 0
    .wavefront_size: 64
  - .agpr_count:     0
    .args:
      - .offset:         0
        .size:           4
        .value_kind:     by_value
      - .offset:         4
        .size:           8
        .value_kind:     by_value
      - .offset:         16
        .size:           8
        .value_kind:     by_value
      - .address_space:  global
        .offset:         24
        .size:           8
        .value_kind:     global_buffer
      - .offset:         32
        .size:           8
        .value_kind:     by_value
      - .offset:         40
        .size:           8
        .value_kind:     by_value
      - .offset:         48
        .size:           8
        .value_kind:     by_value
      - .address_space:  global
        .offset:         56
        .size:           8
        .value_kind:     global_buffer
      - .offset:         64
        .size:           8
        .value_kind:     by_value
      - .offset:         72
        .size:           8
        .value_kind:     by_value
      - .offset:         80
        .size:           8
        .value_kind:     by_value
      - .offset:         88
        .size:           8
        .value_kind:     by_value
      - .offset:         96
        .size:           8
        .value_kind:     by_value
      - .address_space:  global
        .offset:         104
        .size:           8
        .value_kind:     global_buffer
      - .offset:         112
        .size:           4
        .value_kind:     by_value
      - .offset:         120
        .size:           4
        .value_kind:     hidden_block_count_x
      - .offset:         124
        .size:           4
        .value_kind:     hidden_block_count_y
      - .offset:         128
        .size:           4
        .value_kind:     hidden_block_count_z
      - .offset:         132
        .size:           2
        .value_kind:     hidden_group_size_x
      - .offset:         134
        .size:           2
        .value_kind:     hidden_group_size_y
      - .offset:         136
        .size:           2
        .value_kind:     hidden_group_size_z
      - .offset:         138
        .size:           2
        .value_kind:     hidden_remainder_x
      - .offset:         140
        .size:           2
        .value_kind:     hidden_remainder_y
      - .offset:         142
        .size:           2
        .value_kind:     hidden_remainder_z
      - .offset:         160
        .size:           8
        .value_kind:     hidden_global_offset_x
      - .offset:         168
        .size:           8
        .value_kind:     hidden_global_offset_y
      - .offset:         176
        .size:           8
        .value_kind:     hidden_global_offset_z
      - .offset:         184
        .size:           2
        .value_kind:     hidden_grid_dims
    .group_segment_fixed_size: 9600
    .kernarg_segment_align: 8
    .kernarg_segment_size: 376
    .language:       OpenCL C
    .language_version:
      - 2
      - 0
    .max_flat_workgroup_size: 256
    .name:           _ZL26rocblas_hemvn_kernel_upperILb1ELi64ELi4ELi33ELi32ELi16El19rocblas_complex_numIfEPKPKS1_PS1_EviT6_lT7_lT5_lS8_lS9_lS7_lT8_i
    .private_segment_fixed_size: 0
    .sgpr_count:     45
    .sgpr_spill_count: 0
    .symbol:         _ZL26rocblas_hemvn_kernel_upperILb1ELi64ELi4ELi33ELi32ELi16El19rocblas_complex_numIfEPKPKS1_PS1_EviT6_lT7_lT5_lS8_lS9_lS7_lT8_i.kd
    .uniform_work_group_size: 1
    .uses_dynamic_stack: false
    .vgpr_count:     154
    .vgpr_spill_count: 0
    .wavefront_size: 64
  - .agpr_count:     0
    .args:
      - .offset:         0
        .size:           4
        .value_kind:     by_value
      - .offset:         4
        .size:           8
        .value_kind:     by_value
      - .offset:         16
        .size:           8
        .value_kind:     by_value
      - .offset:         24
        .size:           8
        .value_kind:     by_value
      - .offset:         32
        .size:           8
        .value_kind:     by_value
      - .actual_access:  read_only
        .address_space:  global
        .offset:         40
        .size:           8
        .value_kind:     global_buffer
      - .offset:         48
        .size:           8
        .value_kind:     by_value
      - .offset:         56
        .size:           8
        .value_kind:     by_value
      - .offset:         64
        .size:           8
        .value_kind:     by_value
      - .address_space:  global
        .offset:         72
        .size:           8
        .value_kind:     global_buffer
      - .offset:         80
        .size:           4
        .value_kind:     by_value
      - .offset:         88
        .size:           4
        .value_kind:     hidden_block_count_x
      - .offset:         92
        .size:           4
        .value_kind:     hidden_block_count_y
      - .offset:         96
        .size:           4
        .value_kind:     hidden_block_count_z
      - .offset:         100
        .size:           2
        .value_kind:     hidden_group_size_x
      - .offset:         102
        .size:           2
        .value_kind:     hidden_group_size_y
      - .offset:         104
        .size:           2
        .value_kind:     hidden_group_size_z
      - .offset:         106
        .size:           2
        .value_kind:     hidden_remainder_x
      - .offset:         108
        .size:           2
        .value_kind:     hidden_remainder_y
      - .offset:         110
        .size:           2
        .value_kind:     hidden_remainder_z
      - .offset:         128
        .size:           8
        .value_kind:     hidden_global_offset_x
      - .offset:         136
        .size:           8
        .value_kind:     hidden_global_offset_y
      - .offset:         144
        .size:           8
        .value_kind:     hidden_global_offset_z
      - .offset:         152
        .size:           2
        .value_kind:     hidden_grid_dims
    .group_segment_fixed_size: 0
    .kernarg_segment_align: 8
    .kernarg_segment_size: 344
    .language:       OpenCL C
    .language_version:
      - 2
      - 0
    .max_flat_workgroup_size: 64
    .name:           _ZL36rocblas_hemvn_kernel_upper_block_sumILi64El19rocblas_complex_numIfEPKPS1_S1_EviT1_lS5_lT2_lT0_lPT3_i
    .private_segment_fixed_size: 0
    .sgpr_count:     30
    .sgpr_spill_count: 0
    .symbol:         _ZL36rocblas_hemvn_kernel_upper_block_sumILi64El19rocblas_complex_numIfEPKPS1_S1_EviT1_lS5_lT2_lT0_lPT3_i.kd
    .uniform_work_group_size: 1
    .uses_dynamic_stack: false
    .vgpr_count:     14
    .vgpr_spill_count: 0
    .wavefront_size: 64
  - .agpr_count:     0
    .args:
      - .offset:         0
        .size:           4
        .value_kind:     by_value
      - .offset:         4
        .size:           8
        .value_kind:     by_value
      - .offset:         16
        .size:           8
        .value_kind:     by_value
      - .address_space:  global
        .offset:         24
        .size:           8
        .value_kind:     global_buffer
      - .offset:         32
        .size:           8
        .value_kind:     by_value
      - .offset:         40
        .size:           4
        .value_kind:     by_value
      - .offset:         48
        .size:           8
        .value_kind:     by_value
      - .address_space:  global
        .offset:         56
        .size:           8
        .value_kind:     global_buffer
      - .offset:         64
        .size:           8
        .value_kind:     by_value
      - .offset:         72
        .size:           4
        .value_kind:     by_value
      - .offset:         80
        .size:           8
        .value_kind:     by_value
      - .offset:         88
        .size:           8
        .value_kind:     by_value
      - .offset:         96
        .size:           8
        .value_kind:     by_value
      - .address_space:  global
        .offset:         104
        .size:           8
        .value_kind:     global_buffer
      - .offset:         112
        .size:           4
        .value_kind:     by_value
      - .offset:         120
        .size:           4
        .value_kind:     hidden_block_count_x
      - .offset:         124
        .size:           4
        .value_kind:     hidden_block_count_y
      - .offset:         128
        .size:           4
        .value_kind:     hidden_block_count_z
      - .offset:         132
        .size:           2
        .value_kind:     hidden_group_size_x
      - .offset:         134
        .size:           2
        .value_kind:     hidden_group_size_y
      - .offset:         136
        .size:           2
        .value_kind:     hidden_group_size_z
      - .offset:         138
        .size:           2
        .value_kind:     hidden_remainder_x
      - .offset:         140
        .size:           2
        .value_kind:     hidden_remainder_y
      - .offset:         142
        .size:           2
        .value_kind:     hidden_remainder_z
      - .offset:         160
        .size:           8
        .value_kind:     hidden_global_offset_x
      - .offset:         168
        .size:           8
        .value_kind:     hidden_global_offset_y
      - .offset:         176
        .size:           8
        .value_kind:     hidden_global_offset_z
      - .offset:         184
        .size:           2
        .value_kind:     hidden_grid_dims
    .group_segment_fixed_size: 9600
    .kernarg_segment_align: 8
    .kernarg_segment_size: 376
    .language:       OpenCL C
    .language_version:
      - 2
      - 0
    .max_flat_workgroup_size: 256
    .name:           _ZL26rocblas_hemvn_kernel_upperILb1ELi64ELi4ELi33ELi32ELi16Ei19rocblas_complex_numIfEPKPKS1_PS1_EviT6_lT7_lT5_lS8_lS9_lS7_lT8_i
    .private_segment_fixed_size: 0
    .sgpr_count:     52
    .sgpr_spill_count: 0
    .symbol:         _ZL26rocblas_hemvn_kernel_upperILb1ELi64ELi4ELi33ELi32ELi16Ei19rocblas_complex_numIfEPKPKS1_PS1_EviT6_lT7_lT5_lS8_lS9_lS7_lT8_i.kd
    .uniform_work_group_size: 1
    .uses_dynamic_stack: false
    .vgpr_count:     162
    .vgpr_spill_count: 0
    .wavefront_size: 64
  - .agpr_count:     0
    .args:
      - .offset:         0
        .size:           4
        .value_kind:     by_value
      - .offset:         4
        .size:           8
        .value_kind:     by_value
      - .offset:         16
        .size:           8
        .value_kind:     by_value
      - .offset:         24
        .size:           8
        .value_kind:     by_value
      - .offset:         32
        .size:           8
        .value_kind:     by_value
      - .actual_access:  read_only
        .address_space:  global
        .offset:         40
        .size:           8
        .value_kind:     global_buffer
      - .offset:         48
        .size:           8
        .value_kind:     by_value
      - .offset:         56
        .size:           4
        .value_kind:     by_value
      - .offset:         64
        .size:           8
        .value_kind:     by_value
      - .address_space:  global
        .offset:         72
        .size:           8
        .value_kind:     global_buffer
      - .offset:         80
        .size:           4
        .value_kind:     by_value
      - .offset:         88
        .size:           4
        .value_kind:     hidden_block_count_x
      - .offset:         92
        .size:           4
        .value_kind:     hidden_block_count_y
      - .offset:         96
        .size:           4
        .value_kind:     hidden_block_count_z
      - .offset:         100
        .size:           2
        .value_kind:     hidden_group_size_x
      - .offset:         102
        .size:           2
        .value_kind:     hidden_group_size_y
      - .offset:         104
        .size:           2
        .value_kind:     hidden_group_size_z
      - .offset:         106
        .size:           2
        .value_kind:     hidden_remainder_x
      - .offset:         108
        .size:           2
        .value_kind:     hidden_remainder_y
      - .offset:         110
        .size:           2
        .value_kind:     hidden_remainder_z
      - .offset:         128
        .size:           8
        .value_kind:     hidden_global_offset_x
      - .offset:         136
        .size:           8
        .value_kind:     hidden_global_offset_y
      - .offset:         144
        .size:           8
        .value_kind:     hidden_global_offset_z
      - .offset:         152
        .size:           2
        .value_kind:     hidden_grid_dims
    .group_segment_fixed_size: 0
    .kernarg_segment_align: 8
    .kernarg_segment_size: 344
    .language:       OpenCL C
    .language_version:
      - 2
      - 0
    .max_flat_workgroup_size: 64
    .name:           _ZL36rocblas_hemvn_kernel_upper_block_sumILi64Ei19rocblas_complex_numIfEPKPS1_S1_EviT1_lS5_lT2_lT0_lPT3_i
    .private_segment_fixed_size: 0
    .sgpr_count:     26
    .sgpr_spill_count: 0
    .symbol:         _ZL36rocblas_hemvn_kernel_upper_block_sumILi64Ei19rocblas_complex_numIfEPKPS1_S1_EviT1_lS5_lT2_lT0_lPT3_i.kd
    .uniform_work_group_size: 1
    .uses_dynamic_stack: false
    .vgpr_count:     12
    .vgpr_spill_count: 0
    .wavefront_size: 64
  - .agpr_count:     0
    .args:
      - .offset:         0
        .size:           4
        .value_kind:     by_value
      - .address_space:  global
        .offset:         8
        .size:           8
        .value_kind:     global_buffer
      - .offset:         16
        .size:           8
        .value_kind:     by_value
      - .address_space:  global
        .offset:         24
        .size:           8
        .value_kind:     global_buffer
      - .offset:         32
        .size:           8
        .value_kind:     by_value
      - .offset:         40
        .size:           8
        .value_kind:     by_value
      - .offset:         48
        .size:           8
        .value_kind:     by_value
      - .address_space:  global
        .offset:         56
        .size:           8
        .value_kind:     global_buffer
      - .offset:         64
        .size:           8
        .value_kind:     by_value
      - .offset:         72
        .size:           8
        .value_kind:     by_value
      - .offset:         80
        .size:           8
        .value_kind:     by_value
      - .address_space:  global
        .offset:         88
        .size:           8
        .value_kind:     global_buffer
      - .offset:         96
        .size:           8
        .value_kind:     by_value
      - .address_space:  global
        .offset:         104
        .size:           8
        .value_kind:     global_buffer
      - .offset:         112
        .size:           4
        .value_kind:     by_value
      - .offset:         120
        .size:           4
        .value_kind:     hidden_block_count_x
      - .offset:         124
        .size:           4
        .value_kind:     hidden_block_count_y
      - .offset:         128
        .size:           4
        .value_kind:     hidden_block_count_z
      - .offset:         132
        .size:           2
        .value_kind:     hidden_group_size_x
      - .offset:         134
        .size:           2
        .value_kind:     hidden_group_size_y
      - .offset:         136
        .size:           2
        .value_kind:     hidden_group_size_z
      - .offset:         138
        .size:           2
        .value_kind:     hidden_remainder_x
      - .offset:         140
        .size:           2
        .value_kind:     hidden_remainder_y
      - .offset:         142
        .size:           2
        .value_kind:     hidden_remainder_z
      - .offset:         160
        .size:           8
        .value_kind:     hidden_global_offset_x
      - .offset:         168
        .size:           8
        .value_kind:     hidden_global_offset_y
      - .offset:         176
        .size:           8
        .value_kind:     hidden_global_offset_z
      - .offset:         184
        .size:           2
        .value_kind:     hidden_grid_dims
    .group_segment_fixed_size: 9600
    .kernarg_segment_align: 8
    .kernarg_segment_size: 376
    .language:       OpenCL C
    .language_version:
      - 2
      - 0
    .max_flat_workgroup_size: 256
    .name:           _ZL26rocblas_hemvn_kernel_lowerILb1ELi64ELi4ELi33ELi32ELi16ElPK19rocblas_complex_numIfEPKS3_PS1_EviT6_lT7_lT5_lS8_lS9_lS7_lT8_i
    .private_segment_fixed_size: 0
    .sgpr_count:     56
    .sgpr_spill_count: 0
    .symbol:         _ZL26rocblas_hemvn_kernel_lowerILb1ELi64ELi4ELi33ELi32ELi16ElPK19rocblas_complex_numIfEPKS3_PS1_EviT6_lT7_lT5_lS8_lS9_lS7_lT8_i.kd
    .uniform_work_group_size: 1
    .uses_dynamic_stack: false
    .vgpr_count:     106
    .vgpr_spill_count: 0
    .wavefront_size: 64
  - .agpr_count:     0
    .args:
      - .offset:         0
        .size:           4
        .value_kind:     by_value
      - .address_space:  global
        .offset:         8
        .size:           8
        .value_kind:     global_buffer
      - .offset:         16
        .size:           8
        .value_kind:     by_value
      - .address_space:  global
        .offset:         24
        .size:           8
        .value_kind:     global_buffer
      - .offset:         32
        .size:           8
        .value_kind:     by_value
      - .actual_access:  read_only
        .address_space:  global
        .offset:         40
        .size:           8
        .value_kind:     global_buffer
      - .offset:         48
        .size:           8
        .value_kind:     by_value
      - .offset:         56
        .size:           8
        .value_kind:     by_value
      - .offset:         64
        .size:           8
        .value_kind:     by_value
      - .actual_access:  read_only
        .address_space:  global
        .offset:         72
        .size:           8
        .value_kind:     global_buffer
      - .offset:         80
        .size:           4
        .value_kind:     by_value
      - .offset:         88
        .size:           4
        .value_kind:     hidden_block_count_x
      - .offset:         92
        .size:           4
        .value_kind:     hidden_block_count_y
      - .offset:         96
        .size:           4
        .value_kind:     hidden_block_count_z
      - .offset:         100
        .size:           2
        .value_kind:     hidden_group_size_x
      - .offset:         102
        .size:           2
        .value_kind:     hidden_group_size_y
      - .offset:         104
        .size:           2
        .value_kind:     hidden_group_size_z
      - .offset:         106
        .size:           2
        .value_kind:     hidden_remainder_x
      - .offset:         108
        .size:           2
        .value_kind:     hidden_remainder_y
      - .offset:         110
        .size:           2
        .value_kind:     hidden_remainder_z
      - .offset:         128
        .size:           8
        .value_kind:     hidden_global_offset_x
      - .offset:         136
        .size:           8
        .value_kind:     hidden_global_offset_y
      - .offset:         144
        .size:           8
        .value_kind:     hidden_global_offset_z
      - .offset:         152
        .size:           2
        .value_kind:     hidden_grid_dims
    .group_segment_fixed_size: 0
    .kernarg_segment_align: 8
    .kernarg_segment_size: 344
    .language:       OpenCL C
    .language_version:
      - 2
      - 0
    .max_flat_workgroup_size: 64
    .name:           _ZL36rocblas_hemvn_kernel_lower_block_sumILi64ElPK19rocblas_complex_numIfEPKPS1_S1_EviT1_lS7_lT2_lT0_lPT3_i
    .private_segment_fixed_size: 0
    .sgpr_count:     30
    .sgpr_spill_count: 0
    .symbol:         _ZL36rocblas_hemvn_kernel_lower_block_sumILi64ElPK19rocblas_complex_numIfEPKPS1_S1_EviT1_lS7_lT2_lT0_lPT3_i.kd
    .uniform_work_group_size: 1
    .uses_dynamic_stack: false
    .vgpr_count:     14
    .vgpr_spill_count: 0
    .wavefront_size: 64
  - .agpr_count:     0
    .args:
      - .offset:         0
        .size:           4
        .value_kind:     by_value
      - .address_space:  global
        .offset:         8
        .size:           8
        .value_kind:     global_buffer
      - .offset:         16
        .size:           8
        .value_kind:     by_value
      - .address_space:  global
        .offset:         24
        .size:           8
        .value_kind:     global_buffer
      - .offset:         32
        .size:           8
        .value_kind:     by_value
      - .offset:         40
        .size:           4
        .value_kind:     by_value
      - .offset:         48
        .size:           8
        .value_kind:     by_value
      - .address_space:  global
        .offset:         56
        .size:           8
        .value_kind:     global_buffer
      - .offset:         64
        .size:           8
        .value_kind:     by_value
      - .offset:         72
        .size:           4
        .value_kind:     by_value
      - .offset:         80
        .size:           8
        .value_kind:     by_value
      - .address_space:  global
        .offset:         88
        .size:           8
        .value_kind:     global_buffer
      - .offset:         96
        .size:           8
        .value_kind:     by_value
      - .address_space:  global
        .offset:         104
        .size:           8
        .value_kind:     global_buffer
      - .offset:         112
        .size:           4
        .value_kind:     by_value
      - .offset:         120
        .size:           4
        .value_kind:     hidden_block_count_x
      - .offset:         124
        .size:           4
        .value_kind:     hidden_block_count_y
      - .offset:         128
        .size:           4
        .value_kind:     hidden_block_count_z
      - .offset:         132
        .size:           2
        .value_kind:     hidden_group_size_x
      - .offset:         134
        .size:           2
        .value_kind:     hidden_group_size_y
      - .offset:         136
        .size:           2
        .value_kind:     hidden_group_size_z
      - .offset:         138
        .size:           2
        .value_kind:     hidden_remainder_x
      - .offset:         140
        .size:           2
        .value_kind:     hidden_remainder_y
      - .offset:         142
        .size:           2
        .value_kind:     hidden_remainder_z
      - .offset:         160
        .size:           8
        .value_kind:     hidden_global_offset_x
      - .offset:         168
        .size:           8
        .value_kind:     hidden_global_offset_y
      - .offset:         176
        .size:           8
        .value_kind:     hidden_global_offset_z
      - .offset:         184
        .size:           2
        .value_kind:     hidden_grid_dims
    .group_segment_fixed_size: 9600
    .kernarg_segment_align: 8
    .kernarg_segment_size: 376
    .language:       OpenCL C
    .language_version:
      - 2
      - 0
    .max_flat_workgroup_size: 256
    .name:           _ZL26rocblas_hemvn_kernel_lowerILb1ELi64ELi4ELi33ELi32ELi16EiPK19rocblas_complex_numIfEPKS3_PS1_EviT6_lT7_lT5_lS8_lS9_lS7_lT8_i
    .private_segment_fixed_size: 0
    .sgpr_count:     54
    .sgpr_spill_count: 0
    .symbol:         _ZL26rocblas_hemvn_kernel_lowerILb1ELi64ELi4ELi33ELi32ELi16EiPK19rocblas_complex_numIfEPKS3_PS1_EviT6_lT7_lT5_lS8_lS9_lS7_lT8_i.kd
    .uniform_work_group_size: 1
    .uses_dynamic_stack: false
    .vgpr_count:     104
    .vgpr_spill_count: 0
    .wavefront_size: 64
  - .agpr_count:     0
    .args:
      - .offset:         0
        .size:           4
        .value_kind:     by_value
      - .address_space:  global
        .offset:         8
        .size:           8
        .value_kind:     global_buffer
      - .offset:         16
        .size:           8
        .value_kind:     by_value
      - .address_space:  global
        .offset:         24
        .size:           8
        .value_kind:     global_buffer
      - .offset:         32
        .size:           8
        .value_kind:     by_value
      - .actual_access:  read_only
        .address_space:  global
        .offset:         40
        .size:           8
        .value_kind:     global_buffer
      - .offset:         48
        .size:           8
        .value_kind:     by_value
      - .offset:         56
        .size:           4
        .value_kind:     by_value
      - .offset:         64
        .size:           8
        .value_kind:     by_value
      - .actual_access:  read_only
        .address_space:  global
        .offset:         72
        .size:           8
        .value_kind:     global_buffer
      - .offset:         80
        .size:           4
        .value_kind:     by_value
      - .offset:         88
        .size:           4
        .value_kind:     hidden_block_count_x
      - .offset:         92
        .size:           4
        .value_kind:     hidden_block_count_y
      - .offset:         96
        .size:           4
        .value_kind:     hidden_block_count_z
      - .offset:         100
        .size:           2
        .value_kind:     hidden_group_size_x
      - .offset:         102
        .size:           2
        .value_kind:     hidden_group_size_y
      - .offset:         104
        .size:           2
        .value_kind:     hidden_group_size_z
      - .offset:         106
        .size:           2
        .value_kind:     hidden_remainder_x
      - .offset:         108
        .size:           2
        .value_kind:     hidden_remainder_y
      - .offset:         110
        .size:           2
        .value_kind:     hidden_remainder_z
      - .offset:         128
        .size:           8
        .value_kind:     hidden_global_offset_x
      - .offset:         136
        .size:           8
        .value_kind:     hidden_global_offset_y
      - .offset:         144
        .size:           8
        .value_kind:     hidden_global_offset_z
      - .offset:         152
        .size:           2
        .value_kind:     hidden_grid_dims
    .group_segment_fixed_size: 0
    .kernarg_segment_align: 8
    .kernarg_segment_size: 344
    .language:       OpenCL C
    .language_version:
      - 2
      - 0
    .max_flat_workgroup_size: 64
    .name:           _ZL36rocblas_hemvn_kernel_lower_block_sumILi64EiPK19rocblas_complex_numIfEPKPS1_S1_EviT1_lS7_lT2_lT0_lPT3_i
    .private_segment_fixed_size: 0
    .sgpr_count:     26
    .sgpr_spill_count: 0
    .symbol:         _ZL36rocblas_hemvn_kernel_lower_block_sumILi64EiPK19rocblas_complex_numIfEPKPS1_S1_EviT1_lS7_lT2_lT0_lPT3_i.kd
    .uniform_work_group_size: 1
    .uses_dynamic_stack: false
    .vgpr_count:     12
    .vgpr_spill_count: 0
    .wavefront_size: 64
  - .agpr_count:     0
    .args:
      - .offset:         0
        .size:           4
        .value_kind:     by_value
      - .offset:         4
        .size:           8
        .value_kind:     by_value
      - .offset:         16
        .size:           8
        .value_kind:     by_value
      - .address_space:  global
        .offset:         24
        .size:           8
        .value_kind:     global_buffer
      - .offset:         32
        .size:           8
        .value_kind:     by_value
      - .offset:         40
        .size:           8
        .value_kind:     by_value
      - .offset:         48
        .size:           8
        .value_kind:     by_value
      - .address_space:  global
        .offset:         56
        .size:           8
        .value_kind:     global_buffer
      - .offset:         64
        .size:           8
        .value_kind:     by_value
      - .offset:         72
        .size:           8
        .value_kind:     by_value
      - .offset:         80
        .size:           8
        .value_kind:     by_value
      - .offset:         88
        .size:           8
        .value_kind:     by_value
      - .offset:         96
        .size:           8
        .value_kind:     by_value
      - .address_space:  global
        .offset:         104
        .size:           8
        .value_kind:     global_buffer
      - .offset:         112
        .size:           4
        .value_kind:     by_value
      - .offset:         120
        .size:           4
        .value_kind:     hidden_block_count_x
      - .offset:         124
        .size:           4
        .value_kind:     hidden_block_count_y
      - .offset:         128
        .size:           4
        .value_kind:     hidden_block_count_z
      - .offset:         132
        .size:           2
        .value_kind:     hidden_group_size_x
      - .offset:         134
        .size:           2
        .value_kind:     hidden_group_size_y
      - .offset:         136
        .size:           2
        .value_kind:     hidden_group_size_z
      - .offset:         138
        .size:           2
        .value_kind:     hidden_remainder_x
      - .offset:         140
        .size:           2
        .value_kind:     hidden_remainder_y
      - .offset:         142
        .size:           2
        .value_kind:     hidden_remainder_z
      - .offset:         160
        .size:           8
        .value_kind:     hidden_global_offset_x
      - .offset:         168
        .size:           8
        .value_kind:     hidden_global_offset_y
      - .offset:         176
        .size:           8
        .value_kind:     hidden_global_offset_z
      - .offset:         184
        .size:           2
        .value_kind:     hidden_grid_dims
    .group_segment_fixed_size: 9600
    .kernarg_segment_align: 8
    .kernarg_segment_size: 376
    .language:       OpenCL C
    .language_version:
      - 2
      - 0
    .max_flat_workgroup_size: 256
    .name:           _ZL26rocblas_hemvn_kernel_lowerILb1ELi64ELi4ELi33ELi32ELi16El19rocblas_complex_numIfEPKPKS1_PS1_EviT6_lT7_lT5_lS8_lS9_lS7_lT8_i
    .private_segment_fixed_size: 0
    .sgpr_count:     56
    .sgpr_spill_count: 0
    .symbol:         _ZL26rocblas_hemvn_kernel_lowerILb1ELi64ELi4ELi33ELi32ELi16El19rocblas_complex_numIfEPKPKS1_PS1_EviT6_lT7_lT5_lS8_lS9_lS7_lT8_i.kd
    .uniform_work_group_size: 1
    .uses_dynamic_stack: false
    .vgpr_count:     106
    .vgpr_spill_count: 0
    .wavefront_size: 64
  - .agpr_count:     0
    .args:
      - .offset:         0
        .size:           4
        .value_kind:     by_value
      - .offset:         4
        .size:           8
        .value_kind:     by_value
      - .offset:         16
        .size:           8
        .value_kind:     by_value
      - .offset:         24
        .size:           8
        .value_kind:     by_value
      - .offset:         32
        .size:           8
        .value_kind:     by_value
      - .actual_access:  read_only
        .address_space:  global
        .offset:         40
        .size:           8
        .value_kind:     global_buffer
      - .offset:         48
        .size:           8
        .value_kind:     by_value
      - .offset:         56
        .size:           8
        .value_kind:     by_value
      - .offset:         64
        .size:           8
        .value_kind:     by_value
      - .actual_access:  read_only
        .address_space:  global
        .offset:         72
        .size:           8
        .value_kind:     global_buffer
      - .offset:         80
        .size:           4
        .value_kind:     by_value
      - .offset:         88
        .size:           4
        .value_kind:     hidden_block_count_x
      - .offset:         92
        .size:           4
        .value_kind:     hidden_block_count_y
      - .offset:         96
        .size:           4
        .value_kind:     hidden_block_count_z
      - .offset:         100
        .size:           2
        .value_kind:     hidden_group_size_x
      - .offset:         102
        .size:           2
        .value_kind:     hidden_group_size_y
      - .offset:         104
        .size:           2
        .value_kind:     hidden_group_size_z
      - .offset:         106
        .size:           2
        .value_kind:     hidden_remainder_x
      - .offset:         108
        .size:           2
        .value_kind:     hidden_remainder_y
      - .offset:         110
        .size:           2
        .value_kind:     hidden_remainder_z
      - .offset:         128
        .size:           8
        .value_kind:     hidden_global_offset_x
      - .offset:         136
        .size:           8
        .value_kind:     hidden_global_offset_y
      - .offset:         144
        .size:           8
        .value_kind:     hidden_global_offset_z
      - .offset:         152
        .size:           2
        .value_kind:     hidden_grid_dims
    .group_segment_fixed_size: 0
    .kernarg_segment_align: 8
    .kernarg_segment_size: 344
    .language:       OpenCL C
    .language_version:
      - 2
      - 0
    .max_flat_workgroup_size: 64
    .name:           _ZL36rocblas_hemvn_kernel_lower_block_sumILi64El19rocblas_complex_numIfEPKPS1_S1_EviT1_lS5_lT2_lT0_lPT3_i
    .private_segment_fixed_size: 0
    .sgpr_count:     30
    .sgpr_spill_count: 0
    .symbol:         _ZL36rocblas_hemvn_kernel_lower_block_sumILi64El19rocblas_complex_numIfEPKPS1_S1_EviT1_lS5_lT2_lT0_lPT3_i.kd
    .uniform_work_group_size: 1
    .uses_dynamic_stack: false
    .vgpr_count:     14
    .vgpr_spill_count: 0
    .wavefront_size: 64
  - .agpr_count:     0
    .args:
      - .offset:         0
        .size:           4
        .value_kind:     by_value
      - .offset:         4
        .size:           8
        .value_kind:     by_value
      - .offset:         16
        .size:           8
        .value_kind:     by_value
      - .address_space:  global
        .offset:         24
        .size:           8
        .value_kind:     global_buffer
      - .offset:         32
        .size:           8
        .value_kind:     by_value
      - .offset:         40
        .size:           4
        .value_kind:     by_value
      - .offset:         48
        .size:           8
        .value_kind:     by_value
      - .address_space:  global
        .offset:         56
        .size:           8
        .value_kind:     global_buffer
      - .offset:         64
        .size:           8
        .value_kind:     by_value
      - .offset:         72
        .size:           4
        .value_kind:     by_value
      - .offset:         80
        .size:           8
        .value_kind:     by_value
      - .offset:         88
        .size:           8
        .value_kind:     by_value
      - .offset:         96
        .size:           8
        .value_kind:     by_value
      - .address_space:  global
        .offset:         104
        .size:           8
        .value_kind:     global_buffer
      - .offset:         112
        .size:           4
        .value_kind:     by_value
      - .offset:         120
        .size:           4
        .value_kind:     hidden_block_count_x
      - .offset:         124
        .size:           4
        .value_kind:     hidden_block_count_y
      - .offset:         128
        .size:           4
        .value_kind:     hidden_block_count_z
      - .offset:         132
        .size:           2
        .value_kind:     hidden_group_size_x
      - .offset:         134
        .size:           2
        .value_kind:     hidden_group_size_y
      - .offset:         136
        .size:           2
        .value_kind:     hidden_group_size_z
      - .offset:         138
        .size:           2
        .value_kind:     hidden_remainder_x
      - .offset:         140
        .size:           2
        .value_kind:     hidden_remainder_y
      - .offset:         142
        .size:           2
        .value_kind:     hidden_remainder_z
      - .offset:         160
        .size:           8
        .value_kind:     hidden_global_offset_x
      - .offset:         168
        .size:           8
        .value_kind:     hidden_global_offset_y
      - .offset:         176
        .size:           8
        .value_kind:     hidden_global_offset_z
      - .offset:         184
        .size:           2
        .value_kind:     hidden_grid_dims
    .group_segment_fixed_size: 9600
    .kernarg_segment_align: 8
    .kernarg_segment_size: 376
    .language:       OpenCL C
    .language_version:
      - 2
      - 0
    .max_flat_workgroup_size: 256
    .name:           _ZL26rocblas_hemvn_kernel_lowerILb1ELi64ELi4ELi33ELi32ELi16Ei19rocblas_complex_numIfEPKPKS1_PS1_EviT6_lT7_lT5_lS8_lS9_lS7_lT8_i
    .private_segment_fixed_size: 0
    .sgpr_count:     54
    .sgpr_spill_count: 0
    .symbol:         _ZL26rocblas_hemvn_kernel_lowerILb1ELi64ELi4ELi33ELi32ELi16Ei19rocblas_complex_numIfEPKPKS1_PS1_EviT6_lT7_lT5_lS8_lS9_lS7_lT8_i.kd
    .uniform_work_group_size: 1
    .uses_dynamic_stack: false
    .vgpr_count:     104
    .vgpr_spill_count: 0
    .wavefront_size: 64
  - .agpr_count:     0
    .args:
      - .offset:         0
        .size:           4
        .value_kind:     by_value
      - .offset:         4
        .size:           8
        .value_kind:     by_value
      - .offset:         16
        .size:           8
        .value_kind:     by_value
      - .offset:         24
        .size:           8
        .value_kind:     by_value
      - .offset:         32
        .size:           8
        .value_kind:     by_value
      - .actual_access:  read_only
        .address_space:  global
        .offset:         40
        .size:           8
        .value_kind:     global_buffer
      - .offset:         48
        .size:           8
        .value_kind:     by_value
      - .offset:         56
        .size:           4
        .value_kind:     by_value
      - .offset:         64
        .size:           8
        .value_kind:     by_value
      - .actual_access:  read_only
        .address_space:  global
        .offset:         72
        .size:           8
        .value_kind:     global_buffer
      - .offset:         80
        .size:           4
        .value_kind:     by_value
      - .offset:         88
        .size:           4
        .value_kind:     hidden_block_count_x
      - .offset:         92
        .size:           4
        .value_kind:     hidden_block_count_y
      - .offset:         96
        .size:           4
        .value_kind:     hidden_block_count_z
      - .offset:         100
        .size:           2
        .value_kind:     hidden_group_size_x
      - .offset:         102
        .size:           2
        .value_kind:     hidden_group_size_y
      - .offset:         104
        .size:           2
        .value_kind:     hidden_group_size_z
      - .offset:         106
        .size:           2
        .value_kind:     hidden_remainder_x
      - .offset:         108
        .size:           2
        .value_kind:     hidden_remainder_y
      - .offset:         110
        .size:           2
        .value_kind:     hidden_remainder_z
      - .offset:         128
        .size:           8
        .value_kind:     hidden_global_offset_x
      - .offset:         136
        .size:           8
        .value_kind:     hidden_global_offset_y
      - .offset:         144
        .size:           8
        .value_kind:     hidden_global_offset_z
      - .offset:         152
        .size:           2
        .value_kind:     hidden_grid_dims
    .group_segment_fixed_size: 0
    .kernarg_segment_align: 8
    .kernarg_segment_size: 344
    .language:       OpenCL C
    .language_version:
      - 2
      - 0
    .max_flat_workgroup_size: 64
    .name:           _ZL36rocblas_hemvn_kernel_lower_block_sumILi64Ei19rocblas_complex_numIfEPKPS1_S1_EviT1_lS5_lT2_lT0_lPT3_i
    .private_segment_fixed_size: 0
    .sgpr_count:     26
    .sgpr_spill_count: 0
    .symbol:         _ZL36rocblas_hemvn_kernel_lower_block_sumILi64Ei19rocblas_complex_numIfEPKPS1_S1_EviT1_lS5_lT2_lT0_lPT3_i.kd
    .uniform_work_group_size: 1
    .uses_dynamic_stack: false
    .vgpr_count:     12
    .vgpr_spill_count: 0
    .wavefront_size: 64
  - .agpr_count:     0
    .args:
      - .offset:         0
        .size:           4
        .value_kind:     by_value
      - .address_space:  global
        .offset:         8
        .size:           8
        .value_kind:     global_buffer
      - .offset:         16
        .size:           8
        .value_kind:     by_value
      - .address_space:  global
        .offset:         24
        .size:           8
        .value_kind:     global_buffer
      - .offset:         32
        .size:           8
        .value_kind:     by_value
      - .offset:         40
        .size:           8
        .value_kind:     by_value
      - .offset:         48
        .size:           8
        .value_kind:     by_value
      - .address_space:  global
        .offset:         56
        .size:           8
        .value_kind:     global_buffer
      - .offset:         64
        .size:           8
        .value_kind:     by_value
      - .offset:         72
        .size:           8
        .value_kind:     by_value
      - .offset:         80
        .size:           8
        .value_kind:     by_value
      - .address_space:  global
        .offset:         88
        .size:           8
        .value_kind:     global_buffer
      - .offset:         96
        .size:           8
        .value_kind:     by_value
      - .address_space:  global
        .offset:         104
        .size:           8
        .value_kind:     global_buffer
      - .offset:         112
        .size:           4
        .value_kind:     by_value
      - .offset:         120
        .size:           4
        .value_kind:     hidden_block_count_x
      - .offset:         124
        .size:           4
        .value_kind:     hidden_block_count_y
      - .offset:         128
        .size:           4
        .value_kind:     hidden_block_count_z
      - .offset:         132
        .size:           2
        .value_kind:     hidden_group_size_x
      - .offset:         134
        .size:           2
        .value_kind:     hidden_group_size_y
      - .offset:         136
        .size:           2
        .value_kind:     hidden_group_size_z
      - .offset:         138
        .size:           2
        .value_kind:     hidden_remainder_x
      - .offset:         140
        .size:           2
        .value_kind:     hidden_remainder_y
      - .offset:         142
        .size:           2
        .value_kind:     hidden_remainder_z
      - .offset:         160
        .size:           8
        .value_kind:     hidden_global_offset_x
      - .offset:         168
        .size:           8
        .value_kind:     hidden_global_offset_y
      - .offset:         176
        .size:           8
        .value_kind:     hidden_global_offset_z
      - .offset:         184
        .size:           2
        .value_kind:     hidden_grid_dims
    .group_segment_fixed_size: 19200
    .kernarg_segment_align: 8
    .kernarg_segment_size: 376
    .language:       OpenCL C
    .language_version:
      - 2
      - 0
    .max_flat_workgroup_size: 256
    .name:           _ZL26rocblas_hemvn_kernel_upperILb1ELi64ELi4ELi33ELi32ELi16ElPK19rocblas_complex_numIdEPKS3_PS1_EviT6_lT7_lT5_lS8_lS9_lS7_lT8_i
    .private_segment_fixed_size: 0
    .sgpr_count:     46
    .sgpr_spill_count: 0
    .symbol:         _ZL26rocblas_hemvn_kernel_upperILb1ELi64ELi4ELi33ELi32ELi16ElPK19rocblas_complex_numIdEPKS3_PS1_EviT6_lT7_lT5_lS8_lS9_lS7_lT8_i.kd
    .uniform_work_group_size: 1
    .uses_dynamic_stack: false
    .vgpr_count:     231
    .vgpr_spill_count: 0
    .wavefront_size: 64
  - .agpr_count:     0
    .args:
      - .offset:         0
        .size:           4
        .value_kind:     by_value
      - .address_space:  global
        .offset:         8
        .size:           8
        .value_kind:     global_buffer
      - .offset:         16
        .size:           8
        .value_kind:     by_value
      - .address_space:  global
        .offset:         24
        .size:           8
        .value_kind:     global_buffer
      - .offset:         32
        .size:           8
        .value_kind:     by_value
      - .actual_access:  read_only
        .address_space:  global
        .offset:         40
        .size:           8
        .value_kind:     global_buffer
      - .offset:         48
        .size:           8
        .value_kind:     by_value
      - .offset:         56
        .size:           8
        .value_kind:     by_value
      - .offset:         64
        .size:           8
        .value_kind:     by_value
      - .address_space:  global
        .offset:         72
        .size:           8
        .value_kind:     global_buffer
      - .offset:         80
        .size:           4
        .value_kind:     by_value
      - .offset:         88
        .size:           4
        .value_kind:     hidden_block_count_x
      - .offset:         92
        .size:           4
        .value_kind:     hidden_block_count_y
      - .offset:         96
        .size:           4
        .value_kind:     hidden_block_count_z
      - .offset:         100
        .size:           2
        .value_kind:     hidden_group_size_x
      - .offset:         102
        .size:           2
        .value_kind:     hidden_group_size_y
      - .offset:         104
        .size:           2
        .value_kind:     hidden_group_size_z
      - .offset:         106
        .size:           2
        .value_kind:     hidden_remainder_x
      - .offset:         108
        .size:           2
        .value_kind:     hidden_remainder_y
      - .offset:         110
        .size:           2
        .value_kind:     hidden_remainder_z
      - .offset:         128
        .size:           8
        .value_kind:     hidden_global_offset_x
      - .offset:         136
        .size:           8
        .value_kind:     hidden_global_offset_y
      - .offset:         144
        .size:           8
        .value_kind:     hidden_global_offset_z
      - .offset:         152
        .size:           2
        .value_kind:     hidden_grid_dims
    .group_segment_fixed_size: 0
    .kernarg_segment_align: 8
    .kernarg_segment_size: 344
    .language:       OpenCL C
    .language_version:
      - 2
      - 0
    .max_flat_workgroup_size: 64
    .name:           _ZL36rocblas_hemvn_kernel_upper_block_sumILi64ElPK19rocblas_complex_numIdEPKPS1_S1_EviT1_lS7_lT2_lT0_lPT3_i
    .private_segment_fixed_size: 0
    .sgpr_count:     36
    .sgpr_spill_count: 0
    .symbol:         _ZL36rocblas_hemvn_kernel_upper_block_sumILi64ElPK19rocblas_complex_numIdEPKPS1_S1_EviT1_lS7_lT2_lT0_lPT3_i.kd
    .uniform_work_group_size: 1
    .uses_dynamic_stack: false
    .vgpr_count:     12
    .vgpr_spill_count: 0
    .wavefront_size: 64
  - .agpr_count:     0
    .args:
      - .offset:         0
        .size:           4
        .value_kind:     by_value
      - .address_space:  global
        .offset:         8
        .size:           8
        .value_kind:     global_buffer
      - .offset:         16
        .size:           8
        .value_kind:     by_value
      - .address_space:  global
        .offset:         24
        .size:           8
        .value_kind:     global_buffer
      - .offset:         32
        .size:           8
        .value_kind:     by_value
      - .offset:         40
        .size:           4
        .value_kind:     by_value
      - .offset:         48
        .size:           8
        .value_kind:     by_value
      - .address_space:  global
        .offset:         56
        .size:           8
        .value_kind:     global_buffer
      - .offset:         64
        .size:           8
        .value_kind:     by_value
      - .offset:         72
        .size:           4
        .value_kind:     by_value
      - .offset:         80
        .size:           8
        .value_kind:     by_value
      - .address_space:  global
        .offset:         88
        .size:           8
        .value_kind:     global_buffer
      - .offset:         96
        .size:           8
        .value_kind:     by_value
      - .address_space:  global
        .offset:         104
        .size:           8
        .value_kind:     global_buffer
      - .offset:         112
        .size:           4
        .value_kind:     by_value
      - .offset:         120
        .size:           4
        .value_kind:     hidden_block_count_x
      - .offset:         124
        .size:           4
        .value_kind:     hidden_block_count_y
      - .offset:         128
        .size:           4
        .value_kind:     hidden_block_count_z
      - .offset:         132
        .size:           2
        .value_kind:     hidden_group_size_x
      - .offset:         134
        .size:           2
        .value_kind:     hidden_group_size_y
      - .offset:         136
        .size:           2
        .value_kind:     hidden_group_size_z
      - .offset:         138
        .size:           2
        .value_kind:     hidden_remainder_x
      - .offset:         140
        .size:           2
        .value_kind:     hidden_remainder_y
      - .offset:         142
        .size:           2
        .value_kind:     hidden_remainder_z
      - .offset:         160
        .size:           8
        .value_kind:     hidden_global_offset_x
      - .offset:         168
        .size:           8
        .value_kind:     hidden_global_offset_y
      - .offset:         176
        .size:           8
        .value_kind:     hidden_global_offset_z
      - .offset:         184
        .size:           2
        .value_kind:     hidden_grid_dims
    .group_segment_fixed_size: 19200
    .kernarg_segment_align: 8
    .kernarg_segment_size: 376
    .language:       OpenCL C
    .language_version:
      - 2
      - 0
    .max_flat_workgroup_size: 256
    .name:           _ZL26rocblas_hemvn_kernel_upperILb1ELi64ELi4ELi33ELi32ELi16EiPK19rocblas_complex_numIdEPKS3_PS1_EviT6_lT7_lT5_lS8_lS9_lS7_lT8_i
    .private_segment_fixed_size: 0
    .sgpr_count:     46
    .sgpr_spill_count: 0
    .symbol:         _ZL26rocblas_hemvn_kernel_upperILb1ELi64ELi4ELi33ELi32ELi16EiPK19rocblas_complex_numIdEPKS3_PS1_EviT6_lT7_lT5_lS8_lS9_lS7_lT8_i.kd
    .uniform_work_group_size: 1
    .uses_dynamic_stack: false
    .vgpr_count:     240
    .vgpr_spill_count: 0
    .wavefront_size: 64
  - .agpr_count:     0
    .args:
      - .offset:         0
        .size:           4
        .value_kind:     by_value
      - .address_space:  global
        .offset:         8
        .size:           8
        .value_kind:     global_buffer
      - .offset:         16
        .size:           8
        .value_kind:     by_value
      - .address_space:  global
        .offset:         24
        .size:           8
        .value_kind:     global_buffer
      - .offset:         32
        .size:           8
        .value_kind:     by_value
      - .actual_access:  read_only
        .address_space:  global
        .offset:         40
        .size:           8
        .value_kind:     global_buffer
      - .offset:         48
        .size:           8
        .value_kind:     by_value
      - .offset:         56
        .size:           4
        .value_kind:     by_value
      - .offset:         64
        .size:           8
        .value_kind:     by_value
      - .address_space:  global
        .offset:         72
        .size:           8
        .value_kind:     global_buffer
      - .offset:         80
        .size:           4
        .value_kind:     by_value
      - .offset:         88
        .size:           4
        .value_kind:     hidden_block_count_x
      - .offset:         92
        .size:           4
        .value_kind:     hidden_block_count_y
      - .offset:         96
        .size:           4
        .value_kind:     hidden_block_count_z
      - .offset:         100
        .size:           2
        .value_kind:     hidden_group_size_x
      - .offset:         102
        .size:           2
        .value_kind:     hidden_group_size_y
      - .offset:         104
        .size:           2
        .value_kind:     hidden_group_size_z
      - .offset:         106
        .size:           2
        .value_kind:     hidden_remainder_x
      - .offset:         108
        .size:           2
        .value_kind:     hidden_remainder_y
      - .offset:         110
        .size:           2
        .value_kind:     hidden_remainder_z
      - .offset:         128
        .size:           8
        .value_kind:     hidden_global_offset_x
      - .offset:         136
        .size:           8
        .value_kind:     hidden_global_offset_y
      - .offset:         144
        .size:           8
        .value_kind:     hidden_global_offset_z
      - .offset:         152
        .size:           2
        .value_kind:     hidden_grid_dims
    .group_segment_fixed_size: 0
    .kernarg_segment_align: 8
    .kernarg_segment_size: 344
    .language:       OpenCL C
    .language_version:
      - 2
      - 0
    .max_flat_workgroup_size: 64
    .name:           _ZL36rocblas_hemvn_kernel_upper_block_sumILi64EiPK19rocblas_complex_numIdEPKPS1_S1_EviT1_lS7_lT2_lT0_lPT3_i
    .private_segment_fixed_size: 0
    .sgpr_count:     34
    .sgpr_spill_count: 0
    .symbol:         _ZL36rocblas_hemvn_kernel_upper_block_sumILi64EiPK19rocblas_complex_numIdEPKPS1_S1_EviT1_lS7_lT2_lT0_lPT3_i.kd
    .uniform_work_group_size: 1
    .uses_dynamic_stack: false
    .vgpr_count:     14
    .vgpr_spill_count: 0
    .wavefront_size: 64
  - .agpr_count:     0
    .args:
      - .offset:         0
        .size:           4
        .value_kind:     by_value
      - .offset:         8
        .size:           16
        .value_kind:     by_value
      - .offset:         24
        .size:           8
        .value_kind:     by_value
      - .address_space:  global
        .offset:         32
        .size:           8
        .value_kind:     global_buffer
      - .offset:         40
        .size:           8
        .value_kind:     by_value
      - .offset:         48
        .size:           8
        .value_kind:     by_value
      - .offset:         56
        .size:           8
        .value_kind:     by_value
      - .address_space:  global
        .offset:         64
        .size:           8
        .value_kind:     global_buffer
      - .offset:         72
        .size:           8
        .value_kind:     by_value
      - .offset:         80
        .size:           8
        .value_kind:     by_value
      - .offset:         88
        .size:           8
        .value_kind:     by_value
      - .offset:         96
        .size:           16
        .value_kind:     by_value
      - .offset:         112
        .size:           8
        .value_kind:     by_value
      - .address_space:  global
        .offset:         120
        .size:           8
        .value_kind:     global_buffer
      - .offset:         128
        .size:           4
        .value_kind:     by_value
      - .offset:         136
        .size:           4
        .value_kind:     hidden_block_count_x
      - .offset:         140
        .size:           4
        .value_kind:     hidden_block_count_y
      - .offset:         144
        .size:           4
        .value_kind:     hidden_block_count_z
      - .offset:         148
        .size:           2
        .value_kind:     hidden_group_size_x
      - .offset:         150
        .size:           2
        .value_kind:     hidden_group_size_y
      - .offset:         152
        .size:           2
        .value_kind:     hidden_group_size_z
      - .offset:         154
        .size:           2
        .value_kind:     hidden_remainder_x
      - .offset:         156
        .size:           2
        .value_kind:     hidden_remainder_y
      - .offset:         158
        .size:           2
        .value_kind:     hidden_remainder_z
      - .offset:         176
        .size:           8
        .value_kind:     hidden_global_offset_x
      - .offset:         184
        .size:           8
        .value_kind:     hidden_global_offset_y
      - .offset:         192
        .size:           8
        .value_kind:     hidden_global_offset_z
      - .offset:         200
        .size:           2
        .value_kind:     hidden_grid_dims
    .group_segment_fixed_size: 19200
    .kernarg_segment_align: 8
    .kernarg_segment_size: 392
    .language:       OpenCL C
    .language_version:
      - 2
      - 0
    .max_flat_workgroup_size: 256
    .name:           _ZL26rocblas_hemvn_kernel_upperILb1ELi64ELi4ELi33ELi32ELi16El19rocblas_complex_numIdEPKPKS1_PS1_EviT6_lT7_lT5_lS8_lS9_lS7_lT8_i
    .private_segment_fixed_size: 0
    .sgpr_count:     46
    .sgpr_spill_count: 0
    .symbol:         _ZL26rocblas_hemvn_kernel_upperILb1ELi64ELi4ELi33ELi32ELi16El19rocblas_complex_numIdEPKPKS1_PS1_EviT6_lT7_lT5_lS8_lS9_lS7_lT8_i.kd
    .uniform_work_group_size: 1
    .uses_dynamic_stack: false
    .vgpr_count:     231
    .vgpr_spill_count: 0
    .wavefront_size: 64
  - .agpr_count:     0
    .args:
      - .offset:         0
        .size:           4
        .value_kind:     by_value
      - .offset:         8
        .size:           16
        .value_kind:     by_value
      - .offset:         24
        .size:           8
        .value_kind:     by_value
      - .offset:         32
        .size:           16
        .value_kind:     by_value
      - .offset:         48
        .size:           8
        .value_kind:     by_value
      - .actual_access:  read_only
        .address_space:  global
        .offset:         56
        .size:           8
        .value_kind:     global_buffer
      - .offset:         64
        .size:           8
        .value_kind:     by_value
      - .offset:         72
        .size:           8
        .value_kind:     by_value
      - .offset:         80
        .size:           8
        .value_kind:     by_value
      - .address_space:  global
        .offset:         88
        .size:           8
        .value_kind:     global_buffer
      - .offset:         96
        .size:           4
        .value_kind:     by_value
      - .offset:         104
        .size:           4
        .value_kind:     hidden_block_count_x
      - .offset:         108
        .size:           4
        .value_kind:     hidden_block_count_y
      - .offset:         112
        .size:           4
        .value_kind:     hidden_block_count_z
      - .offset:         116
        .size:           2
        .value_kind:     hidden_group_size_x
      - .offset:         118
        .size:           2
        .value_kind:     hidden_group_size_y
      - .offset:         120
        .size:           2
        .value_kind:     hidden_group_size_z
      - .offset:         122
        .size:           2
        .value_kind:     hidden_remainder_x
      - .offset:         124
        .size:           2
        .value_kind:     hidden_remainder_y
      - .offset:         126
        .size:           2
        .value_kind:     hidden_remainder_z
      - .offset:         144
        .size:           8
        .value_kind:     hidden_global_offset_x
      - .offset:         152
        .size:           8
        .value_kind:     hidden_global_offset_y
      - .offset:         160
        .size:           8
        .value_kind:     hidden_global_offset_z
      - .offset:         168
        .size:           2
        .value_kind:     hidden_grid_dims
    .group_segment_fixed_size: 0
    .kernarg_segment_align: 8
    .kernarg_segment_size: 360
    .language:       OpenCL C
    .language_version:
      - 2
      - 0
    .max_flat_workgroup_size: 64
    .name:           _ZL36rocblas_hemvn_kernel_upper_block_sumILi64El19rocblas_complex_numIdEPKPS1_S1_EviT1_lS5_lT2_lT0_lPT3_i
    .private_segment_fixed_size: 0
    .sgpr_count:     36
    .sgpr_spill_count: 0
    .symbol:         _ZL36rocblas_hemvn_kernel_upper_block_sumILi64El19rocblas_complex_numIdEPKPS1_S1_EviT1_lS5_lT2_lT0_lPT3_i.kd
    .uniform_work_group_size: 1
    .uses_dynamic_stack: false
    .vgpr_count:     12
    .vgpr_spill_count: 0
    .wavefront_size: 64
  - .agpr_count:     0
    .args:
      - .offset:         0
        .size:           4
        .value_kind:     by_value
      - .offset:         8
        .size:           16
        .value_kind:     by_value
      - .offset:         24
        .size:           8
        .value_kind:     by_value
      - .address_space:  global
        .offset:         32
        .size:           8
        .value_kind:     global_buffer
      - .offset:         40
        .size:           8
        .value_kind:     by_value
      - .offset:         48
        .size:           4
        .value_kind:     by_value
      - .offset:         56
        .size:           8
        .value_kind:     by_value
      - .address_space:  global
        .offset:         64
        .size:           8
        .value_kind:     global_buffer
      - .offset:         72
        .size:           8
        .value_kind:     by_value
      - .offset:         80
        .size:           4
        .value_kind:     by_value
      - .offset:         88
        .size:           8
        .value_kind:     by_value
      - .offset:         96
        .size:           16
        .value_kind:     by_value
      - .offset:         112
        .size:           8
        .value_kind:     by_value
      - .address_space:  global
        .offset:         120
        .size:           8
        .value_kind:     global_buffer
      - .offset:         128
        .size:           4
        .value_kind:     by_value
      - .offset:         136
        .size:           4
        .value_kind:     hidden_block_count_x
      - .offset:         140
        .size:           4
        .value_kind:     hidden_block_count_y
      - .offset:         144
        .size:           4
        .value_kind:     hidden_block_count_z
      - .offset:         148
        .size:           2
        .value_kind:     hidden_group_size_x
      - .offset:         150
        .size:           2
        .value_kind:     hidden_group_size_y
      - .offset:         152
        .size:           2
        .value_kind:     hidden_group_size_z
      - .offset:         154
        .size:           2
        .value_kind:     hidden_remainder_x
      - .offset:         156
        .size:           2
        .value_kind:     hidden_remainder_y
      - .offset:         158
        .size:           2
        .value_kind:     hidden_remainder_z
      - .offset:         176
        .size:           8
        .value_kind:     hidden_global_offset_x
      - .offset:         184
        .size:           8
        .value_kind:     hidden_global_offset_y
      - .offset:         192
        .size:           8
        .value_kind:     hidden_global_offset_z
      - .offset:         200
        .size:           2
        .value_kind:     hidden_grid_dims
    .group_segment_fixed_size: 19200
    .kernarg_segment_align: 8
    .kernarg_segment_size: 392
    .language:       OpenCL C
    .language_version:
      - 2
      - 0
    .max_flat_workgroup_size: 256
    .name:           _ZL26rocblas_hemvn_kernel_upperILb1ELi64ELi4ELi33ELi32ELi16Ei19rocblas_complex_numIdEPKPKS1_PS1_EviT6_lT7_lT5_lS8_lS9_lS7_lT8_i
    .private_segment_fixed_size: 0
    .sgpr_count:     46
    .sgpr_spill_count: 0
    .symbol:         _ZL26rocblas_hemvn_kernel_upperILb1ELi64ELi4ELi33ELi32ELi16Ei19rocblas_complex_numIdEPKPKS1_PS1_EviT6_lT7_lT5_lS8_lS9_lS7_lT8_i.kd
    .uniform_work_group_size: 1
    .uses_dynamic_stack: false
    .vgpr_count:     240
    .vgpr_spill_count: 0
    .wavefront_size: 64
  - .agpr_count:     0
    .args:
      - .offset:         0
        .size:           4
        .value_kind:     by_value
      - .offset:         8
        .size:           16
        .value_kind:     by_value
      - .offset:         24
        .size:           8
        .value_kind:     by_value
      - .offset:         32
        .size:           16
        .value_kind:     by_value
      - .offset:         48
        .size:           8
        .value_kind:     by_value
      - .actual_access:  read_only
        .address_space:  global
        .offset:         56
        .size:           8
        .value_kind:     global_buffer
      - .offset:         64
        .size:           8
        .value_kind:     by_value
      - .offset:         72
        .size:           4
        .value_kind:     by_value
      - .offset:         80
        .size:           8
        .value_kind:     by_value
      - .address_space:  global
        .offset:         88
        .size:           8
        .value_kind:     global_buffer
      - .offset:         96
        .size:           4
        .value_kind:     by_value
      - .offset:         104
        .size:           4
        .value_kind:     hidden_block_count_x
      - .offset:         108
        .size:           4
        .value_kind:     hidden_block_count_y
      - .offset:         112
        .size:           4
        .value_kind:     hidden_block_count_z
      - .offset:         116
        .size:           2
        .value_kind:     hidden_group_size_x
      - .offset:         118
        .size:           2
        .value_kind:     hidden_group_size_y
      - .offset:         120
        .size:           2
        .value_kind:     hidden_group_size_z
      - .offset:         122
        .size:           2
        .value_kind:     hidden_remainder_x
      - .offset:         124
        .size:           2
        .value_kind:     hidden_remainder_y
      - .offset:         126
        .size:           2
        .value_kind:     hidden_remainder_z
      - .offset:         144
        .size:           8
        .value_kind:     hidden_global_offset_x
      - .offset:         152
        .size:           8
        .value_kind:     hidden_global_offset_y
      - .offset:         160
        .size:           8
        .value_kind:     hidden_global_offset_z
      - .offset:         168
        .size:           2
        .value_kind:     hidden_grid_dims
    .group_segment_fixed_size: 0
    .kernarg_segment_align: 8
    .kernarg_segment_size: 360
    .language:       OpenCL C
    .language_version:
      - 2
      - 0
    .max_flat_workgroup_size: 64
    .name:           _ZL36rocblas_hemvn_kernel_upper_block_sumILi64Ei19rocblas_complex_numIdEPKPS1_S1_EviT1_lS5_lT2_lT0_lPT3_i
    .private_segment_fixed_size: 0
    .sgpr_count:     34
    .sgpr_spill_count: 0
    .symbol:         _ZL36rocblas_hemvn_kernel_upper_block_sumILi64Ei19rocblas_complex_numIdEPKPS1_S1_EviT1_lS5_lT2_lT0_lPT3_i.kd
    .uniform_work_group_size: 1
    .uses_dynamic_stack: false
    .vgpr_count:     14
    .vgpr_spill_count: 0
    .wavefront_size: 64
  - .agpr_count:     0
    .args:
      - .offset:         0
        .size:           4
        .value_kind:     by_value
      - .address_space:  global
        .offset:         8
        .size:           8
        .value_kind:     global_buffer
      - .offset:         16
        .size:           8
        .value_kind:     by_value
      - .address_space:  global
        .offset:         24
        .size:           8
        .value_kind:     global_buffer
      - .offset:         32
        .size:           8
        .value_kind:     by_value
      - .offset:         40
        .size:           8
        .value_kind:     by_value
      - .offset:         48
        .size:           8
        .value_kind:     by_value
      - .address_space:  global
        .offset:         56
        .size:           8
        .value_kind:     global_buffer
      - .offset:         64
        .size:           8
        .value_kind:     by_value
      - .offset:         72
        .size:           8
        .value_kind:     by_value
      - .offset:         80
        .size:           8
        .value_kind:     by_value
      - .address_space:  global
        .offset:         88
        .size:           8
        .value_kind:     global_buffer
      - .offset:         96
        .size:           8
        .value_kind:     by_value
      - .address_space:  global
        .offset:         104
        .size:           8
        .value_kind:     global_buffer
      - .offset:         112
        .size:           4
        .value_kind:     by_value
      - .offset:         120
        .size:           4
        .value_kind:     hidden_block_count_x
      - .offset:         124
        .size:           4
        .value_kind:     hidden_block_count_y
      - .offset:         128
        .size:           4
        .value_kind:     hidden_block_count_z
      - .offset:         132
        .size:           2
        .value_kind:     hidden_group_size_x
      - .offset:         134
        .size:           2
        .value_kind:     hidden_group_size_y
      - .offset:         136
        .size:           2
        .value_kind:     hidden_group_size_z
      - .offset:         138
        .size:           2
        .value_kind:     hidden_remainder_x
      - .offset:         140
        .size:           2
        .value_kind:     hidden_remainder_y
      - .offset:         142
        .size:           2
        .value_kind:     hidden_remainder_z
      - .offset:         160
        .size:           8
        .value_kind:     hidden_global_offset_x
      - .offset:         168
        .size:           8
        .value_kind:     hidden_global_offset_y
      - .offset:         176
        .size:           8
        .value_kind:     hidden_global_offset_z
      - .offset:         184
        .size:           2
        .value_kind:     hidden_grid_dims
    .group_segment_fixed_size: 19200
    .kernarg_segment_align: 8
    .kernarg_segment_size: 376
    .language:       OpenCL C
    .language_version:
      - 2
      - 0
    .max_flat_workgroup_size: 256
    .name:           _ZL26rocblas_hemvn_kernel_lowerILb1ELi64ELi4ELi33ELi32ELi16ElPK19rocblas_complex_numIdEPKS3_PS1_EviT6_lT7_lT5_lS8_lS9_lS7_lT8_i
    .private_segment_fixed_size: 0
    .sgpr_count:     48
    .sgpr_spill_count: 0
    .symbol:         _ZL26rocblas_hemvn_kernel_lowerILb1ELi64ELi4ELi33ELi32ELi16ElPK19rocblas_complex_numIdEPKS3_PS1_EviT6_lT7_lT5_lS8_lS9_lS7_lT8_i.kd
    .uniform_work_group_size: 1
    .uses_dynamic_stack: false
    .vgpr_count:     188
    .vgpr_spill_count: 0
    .wavefront_size: 64
  - .agpr_count:     0
    .args:
      - .offset:         0
        .size:           4
        .value_kind:     by_value
      - .address_space:  global
        .offset:         8
        .size:           8
        .value_kind:     global_buffer
      - .offset:         16
        .size:           8
        .value_kind:     by_value
      - .address_space:  global
        .offset:         24
        .size:           8
        .value_kind:     global_buffer
      - .offset:         32
        .size:           8
        .value_kind:     by_value
      - .actual_access:  read_only
        .address_space:  global
        .offset:         40
        .size:           8
        .value_kind:     global_buffer
      - .offset:         48
        .size:           8
        .value_kind:     by_value
      - .offset:         56
        .size:           8
        .value_kind:     by_value
      - .offset:         64
        .size:           8
        .value_kind:     by_value
      - .actual_access:  read_only
        .address_space:  global
        .offset:         72
        .size:           8
        .value_kind:     global_buffer
      - .offset:         80
        .size:           4
        .value_kind:     by_value
      - .offset:         88
        .size:           4
        .value_kind:     hidden_block_count_x
      - .offset:         92
        .size:           4
        .value_kind:     hidden_block_count_y
      - .offset:         96
        .size:           4
        .value_kind:     hidden_block_count_z
      - .offset:         100
        .size:           2
        .value_kind:     hidden_group_size_x
      - .offset:         102
        .size:           2
        .value_kind:     hidden_group_size_y
      - .offset:         104
        .size:           2
        .value_kind:     hidden_group_size_z
      - .offset:         106
        .size:           2
        .value_kind:     hidden_remainder_x
      - .offset:         108
        .size:           2
        .value_kind:     hidden_remainder_y
      - .offset:         110
        .size:           2
        .value_kind:     hidden_remainder_z
      - .offset:         128
        .size:           8
        .value_kind:     hidden_global_offset_x
      - .offset:         136
        .size:           8
        .value_kind:     hidden_global_offset_y
      - .offset:         144
        .size:           8
        .value_kind:     hidden_global_offset_z
      - .offset:         152
        .size:           2
        .value_kind:     hidden_grid_dims
    .group_segment_fixed_size: 0
    .kernarg_segment_align: 8
    .kernarg_segment_size: 344
    .language:       OpenCL C
    .language_version:
      - 2
      - 0
    .max_flat_workgroup_size: 64
    .name:           _ZL36rocblas_hemvn_kernel_lower_block_sumILi64ElPK19rocblas_complex_numIdEPKPS1_S1_EviT1_lS7_lT2_lT0_lPT3_i
    .private_segment_fixed_size: 0
    .sgpr_count:     36
    .sgpr_spill_count: 0
    .symbol:         _ZL36rocblas_hemvn_kernel_lower_block_sumILi64ElPK19rocblas_complex_numIdEPKPS1_S1_EviT1_lS7_lT2_lT0_lPT3_i.kd
    .uniform_work_group_size: 1
    .uses_dynamic_stack: false
    .vgpr_count:     12
    .vgpr_spill_count: 0
    .wavefront_size: 64
  - .agpr_count:     0
    .args:
      - .offset:         0
        .size:           4
        .value_kind:     by_value
      - .address_space:  global
        .offset:         8
        .size:           8
        .value_kind:     global_buffer
      - .offset:         16
        .size:           8
        .value_kind:     by_value
      - .address_space:  global
        .offset:         24
        .size:           8
        .value_kind:     global_buffer
      - .offset:         32
        .size:           8
        .value_kind:     by_value
      - .offset:         40
        .size:           4
        .value_kind:     by_value
      - .offset:         48
        .size:           8
        .value_kind:     by_value
      - .address_space:  global
        .offset:         56
        .size:           8
        .value_kind:     global_buffer
      - .offset:         64
        .size:           8
        .value_kind:     by_value
      - .offset:         72
        .size:           4
        .value_kind:     by_value
      - .offset:         80
        .size:           8
        .value_kind:     by_value
      - .address_space:  global
        .offset:         88
        .size:           8
        .value_kind:     global_buffer
      - .offset:         96
        .size:           8
        .value_kind:     by_value
      - .address_space:  global
        .offset:         104
        .size:           8
        .value_kind:     global_buffer
      - .offset:         112
        .size:           4
        .value_kind:     by_value
      - .offset:         120
        .size:           4
        .value_kind:     hidden_block_count_x
      - .offset:         124
        .size:           4
        .value_kind:     hidden_block_count_y
      - .offset:         128
        .size:           4
        .value_kind:     hidden_block_count_z
      - .offset:         132
        .size:           2
        .value_kind:     hidden_group_size_x
      - .offset:         134
        .size:           2
        .value_kind:     hidden_group_size_y
      - .offset:         136
        .size:           2
        .value_kind:     hidden_group_size_z
      - .offset:         138
        .size:           2
        .value_kind:     hidden_remainder_x
      - .offset:         140
        .size:           2
        .value_kind:     hidden_remainder_y
      - .offset:         142
        .size:           2
        .value_kind:     hidden_remainder_z
      - .offset:         160
        .size:           8
        .value_kind:     hidden_global_offset_x
      - .offset:         168
        .size:           8
        .value_kind:     hidden_global_offset_y
      - .offset:         176
        .size:           8
        .value_kind:     hidden_global_offset_z
      - .offset:         184
        .size:           2
        .value_kind:     hidden_grid_dims
    .group_segment_fixed_size: 19200
    .kernarg_segment_align: 8
    .kernarg_segment_size: 376
    .language:       OpenCL C
    .language_version:
      - 2
      - 0
    .max_flat_workgroup_size: 256
    .name:           _ZL26rocblas_hemvn_kernel_lowerILb1ELi64ELi4ELi33ELi32ELi16EiPK19rocblas_complex_numIdEPKS3_PS1_EviT6_lT7_lT5_lS8_lS9_lS7_lT8_i
    .private_segment_fixed_size: 0
    .sgpr_count:     47
    .sgpr_spill_count: 0
    .symbol:         _ZL26rocblas_hemvn_kernel_lowerILb1ELi64ELi4ELi33ELi32ELi16EiPK19rocblas_complex_numIdEPKS3_PS1_EviT6_lT7_lT5_lS8_lS9_lS7_lT8_i.kd
    .uniform_work_group_size: 1
    .uses_dynamic_stack: false
    .vgpr_count:     186
    .vgpr_spill_count: 0
    .wavefront_size: 64
  - .agpr_count:     0
    .args:
      - .offset:         0
        .size:           4
        .value_kind:     by_value
      - .address_space:  global
        .offset:         8
        .size:           8
        .value_kind:     global_buffer
      - .offset:         16
        .size:           8
        .value_kind:     by_value
      - .address_space:  global
        .offset:         24
        .size:           8
        .value_kind:     global_buffer
      - .offset:         32
        .size:           8
        .value_kind:     by_value
      - .actual_access:  read_only
        .address_space:  global
        .offset:         40
        .size:           8
        .value_kind:     global_buffer
      - .offset:         48
        .size:           8
        .value_kind:     by_value
      - .offset:         56
        .size:           4
        .value_kind:     by_value
      - .offset:         64
        .size:           8
        .value_kind:     by_value
      - .actual_access:  read_only
        .address_space:  global
        .offset:         72
        .size:           8
        .value_kind:     global_buffer
      - .offset:         80
        .size:           4
        .value_kind:     by_value
      - .offset:         88
        .size:           4
        .value_kind:     hidden_block_count_x
      - .offset:         92
        .size:           4
        .value_kind:     hidden_block_count_y
      - .offset:         96
        .size:           4
        .value_kind:     hidden_block_count_z
      - .offset:         100
        .size:           2
        .value_kind:     hidden_group_size_x
      - .offset:         102
        .size:           2
        .value_kind:     hidden_group_size_y
      - .offset:         104
        .size:           2
        .value_kind:     hidden_group_size_z
      - .offset:         106
        .size:           2
        .value_kind:     hidden_remainder_x
      - .offset:         108
        .size:           2
        .value_kind:     hidden_remainder_y
      - .offset:         110
        .size:           2
        .value_kind:     hidden_remainder_z
      - .offset:         128
        .size:           8
        .value_kind:     hidden_global_offset_x
      - .offset:         136
        .size:           8
        .value_kind:     hidden_global_offset_y
      - .offset:         144
        .size:           8
        .value_kind:     hidden_global_offset_z
      - .offset:         152
        .size:           2
        .value_kind:     hidden_grid_dims
    .group_segment_fixed_size: 0
    .kernarg_segment_align: 8
    .kernarg_segment_size: 344
    .language:       OpenCL C
    .language_version:
      - 2
      - 0
    .max_flat_workgroup_size: 64
    .name:           _ZL36rocblas_hemvn_kernel_lower_block_sumILi64EiPK19rocblas_complex_numIdEPKPS1_S1_EviT1_lS7_lT2_lT0_lPT3_i
    .private_segment_fixed_size: 0
    .sgpr_count:     34
    .sgpr_spill_count: 0
    .symbol:         _ZL36rocblas_hemvn_kernel_lower_block_sumILi64EiPK19rocblas_complex_numIdEPKPS1_S1_EviT1_lS7_lT2_lT0_lPT3_i.kd
    .uniform_work_group_size: 1
    .uses_dynamic_stack: false
    .vgpr_count:     14
    .vgpr_spill_count: 0
    .wavefront_size: 64
  - .agpr_count:     0
    .args:
      - .offset:         0
        .size:           4
        .value_kind:     by_value
      - .offset:         8
        .size:           16
        .value_kind:     by_value
      - .offset:         24
        .size:           8
        .value_kind:     by_value
      - .address_space:  global
        .offset:         32
        .size:           8
        .value_kind:     global_buffer
      - .offset:         40
        .size:           8
        .value_kind:     by_value
      - .offset:         48
        .size:           8
        .value_kind:     by_value
      - .offset:         56
        .size:           8
        .value_kind:     by_value
      - .address_space:  global
        .offset:         64
        .size:           8
        .value_kind:     global_buffer
      - .offset:         72
        .size:           8
        .value_kind:     by_value
      - .offset:         80
        .size:           8
        .value_kind:     by_value
      - .offset:         88
        .size:           8
        .value_kind:     by_value
      - .offset:         96
        .size:           16
        .value_kind:     by_value
      - .offset:         112
        .size:           8
        .value_kind:     by_value
      - .address_space:  global
        .offset:         120
        .size:           8
        .value_kind:     global_buffer
      - .offset:         128
        .size:           4
        .value_kind:     by_value
      - .offset:         136
        .size:           4
        .value_kind:     hidden_block_count_x
      - .offset:         140
        .size:           4
        .value_kind:     hidden_block_count_y
      - .offset:         144
        .size:           4
        .value_kind:     hidden_block_count_z
      - .offset:         148
        .size:           2
        .value_kind:     hidden_group_size_x
      - .offset:         150
        .size:           2
        .value_kind:     hidden_group_size_y
      - .offset:         152
        .size:           2
        .value_kind:     hidden_group_size_z
      - .offset:         154
        .size:           2
        .value_kind:     hidden_remainder_x
      - .offset:         156
        .size:           2
        .value_kind:     hidden_remainder_y
      - .offset:         158
        .size:           2
        .value_kind:     hidden_remainder_z
      - .offset:         176
        .size:           8
        .value_kind:     hidden_global_offset_x
      - .offset:         184
        .size:           8
        .value_kind:     hidden_global_offset_y
      - .offset:         192
        .size:           8
        .value_kind:     hidden_global_offset_z
      - .offset:         200
        .size:           2
        .value_kind:     hidden_grid_dims
    .group_segment_fixed_size: 19200
    .kernarg_segment_align: 8
    .kernarg_segment_size: 392
    .language:       OpenCL C
    .language_version:
      - 2
      - 0
    .max_flat_workgroup_size: 256
    .name:           _ZL26rocblas_hemvn_kernel_lowerILb1ELi64ELi4ELi33ELi32ELi16El19rocblas_complex_numIdEPKPKS1_PS1_EviT6_lT7_lT5_lS8_lS9_lS7_lT8_i
    .private_segment_fixed_size: 0
    .sgpr_count:     48
    .sgpr_spill_count: 0
    .symbol:         _ZL26rocblas_hemvn_kernel_lowerILb1ELi64ELi4ELi33ELi32ELi16El19rocblas_complex_numIdEPKPKS1_PS1_EviT6_lT7_lT5_lS8_lS9_lS7_lT8_i.kd
    .uniform_work_group_size: 1
    .uses_dynamic_stack: false
    .vgpr_count:     188
    .vgpr_spill_count: 0
    .wavefront_size: 64
  - .agpr_count:     0
    .args:
      - .offset:         0
        .size:           4
        .value_kind:     by_value
      - .offset:         8
        .size:           16
        .value_kind:     by_value
      - .offset:         24
        .size:           8
        .value_kind:     by_value
      - .offset:         32
        .size:           16
        .value_kind:     by_value
      - .offset:         48
        .size:           8
        .value_kind:     by_value
      - .actual_access:  read_only
        .address_space:  global
        .offset:         56
        .size:           8
        .value_kind:     global_buffer
      - .offset:         64
        .size:           8
        .value_kind:     by_value
      - .offset:         72
        .size:           8
        .value_kind:     by_value
      - .offset:         80
        .size:           8
        .value_kind:     by_value
      - .actual_access:  read_only
        .address_space:  global
        .offset:         88
        .size:           8
        .value_kind:     global_buffer
      - .offset:         96
        .size:           4
        .value_kind:     by_value
      - .offset:         104
        .size:           4
        .value_kind:     hidden_block_count_x
      - .offset:         108
        .size:           4
        .value_kind:     hidden_block_count_y
      - .offset:         112
        .size:           4
        .value_kind:     hidden_block_count_z
      - .offset:         116
        .size:           2
        .value_kind:     hidden_group_size_x
      - .offset:         118
        .size:           2
        .value_kind:     hidden_group_size_y
      - .offset:         120
        .size:           2
        .value_kind:     hidden_group_size_z
      - .offset:         122
        .size:           2
        .value_kind:     hidden_remainder_x
      - .offset:         124
        .size:           2
        .value_kind:     hidden_remainder_y
      - .offset:         126
        .size:           2
        .value_kind:     hidden_remainder_z
      - .offset:         144
        .size:           8
        .value_kind:     hidden_global_offset_x
      - .offset:         152
        .size:           8
        .value_kind:     hidden_global_offset_y
      - .offset:         160
        .size:           8
        .value_kind:     hidden_global_offset_z
      - .offset:         168
        .size:           2
        .value_kind:     hidden_grid_dims
    .group_segment_fixed_size: 0
    .kernarg_segment_align: 8
    .kernarg_segment_size: 360
    .language:       OpenCL C
    .language_version:
      - 2
      - 0
    .max_flat_workgroup_size: 64
    .name:           _ZL36rocblas_hemvn_kernel_lower_block_sumILi64El19rocblas_complex_numIdEPKPS1_S1_EviT1_lS5_lT2_lT0_lPT3_i
    .private_segment_fixed_size: 0
    .sgpr_count:     36
    .sgpr_spill_count: 0
    .symbol:         _ZL36rocblas_hemvn_kernel_lower_block_sumILi64El19rocblas_complex_numIdEPKPS1_S1_EviT1_lS5_lT2_lT0_lPT3_i.kd
    .uniform_work_group_size: 1
    .uses_dynamic_stack: false
    .vgpr_count:     12
    .vgpr_spill_count: 0
    .wavefront_size: 64
  - .agpr_count:     0
    .args:
      - .offset:         0
        .size:           4
        .value_kind:     by_value
      - .offset:         8
        .size:           16
        .value_kind:     by_value
      - .offset:         24
        .size:           8
        .value_kind:     by_value
      - .address_space:  global
        .offset:         32
        .size:           8
        .value_kind:     global_buffer
      - .offset:         40
        .size:           8
        .value_kind:     by_value
      - .offset:         48
        .size:           4
        .value_kind:     by_value
      - .offset:         56
        .size:           8
        .value_kind:     by_value
      - .address_space:  global
        .offset:         64
        .size:           8
        .value_kind:     global_buffer
      - .offset:         72
        .size:           8
        .value_kind:     by_value
      - .offset:         80
        .size:           4
        .value_kind:     by_value
      - .offset:         88
        .size:           8
        .value_kind:     by_value
      - .offset:         96
        .size:           16
        .value_kind:     by_value
      - .offset:         112
        .size:           8
        .value_kind:     by_value
      - .address_space:  global
        .offset:         120
        .size:           8
        .value_kind:     global_buffer
      - .offset:         128
        .size:           4
        .value_kind:     by_value
      - .offset:         136
        .size:           4
        .value_kind:     hidden_block_count_x
      - .offset:         140
        .size:           4
        .value_kind:     hidden_block_count_y
      - .offset:         144
        .size:           4
        .value_kind:     hidden_block_count_z
      - .offset:         148
        .size:           2
        .value_kind:     hidden_group_size_x
      - .offset:         150
        .size:           2
        .value_kind:     hidden_group_size_y
      - .offset:         152
        .size:           2
        .value_kind:     hidden_group_size_z
      - .offset:         154
        .size:           2
        .value_kind:     hidden_remainder_x
      - .offset:         156
        .size:           2
        .value_kind:     hidden_remainder_y
      - .offset:         158
        .size:           2
        .value_kind:     hidden_remainder_z
      - .offset:         176
        .size:           8
        .value_kind:     hidden_global_offset_x
      - .offset:         184
        .size:           8
        .value_kind:     hidden_global_offset_y
      - .offset:         192
        .size:           8
        .value_kind:     hidden_global_offset_z
      - .offset:         200
        .size:           2
        .value_kind:     hidden_grid_dims
    .group_segment_fixed_size: 19200
    .kernarg_segment_align: 8
    .kernarg_segment_size: 392
    .language:       OpenCL C
    .language_version:
      - 2
      - 0
    .max_flat_workgroup_size: 256
    .name:           _ZL26rocblas_hemvn_kernel_lowerILb1ELi64ELi4ELi33ELi32ELi16Ei19rocblas_complex_numIdEPKPKS1_PS1_EviT6_lT7_lT5_lS8_lS9_lS7_lT8_i
    .private_segment_fixed_size: 0
    .sgpr_count:     48
    .sgpr_spill_count: 0
    .symbol:         _ZL26rocblas_hemvn_kernel_lowerILb1ELi64ELi4ELi33ELi32ELi16Ei19rocblas_complex_numIdEPKPKS1_PS1_EviT6_lT7_lT5_lS8_lS9_lS7_lT8_i.kd
    .uniform_work_group_size: 1
    .uses_dynamic_stack: false
    .vgpr_count:     186
    .vgpr_spill_count: 0
    .wavefront_size: 64
  - .agpr_count:     0
    .args:
      - .offset:         0
        .size:           4
        .value_kind:     by_value
      - .offset:         8
        .size:           16
        .value_kind:     by_value
      - .offset:         24
        .size:           8
        .value_kind:     by_value
      - .offset:         32
        .size:           16
        .value_kind:     by_value
      - .offset:         48
        .size:           8
        .value_kind:     by_value
      - .actual_access:  read_only
        .address_space:  global
        .offset:         56
        .size:           8
        .value_kind:     global_buffer
      - .offset:         64
        .size:           8
        .value_kind:     by_value
      - .offset:         72
        .size:           4
        .value_kind:     by_value
      - .offset:         80
        .size:           8
        .value_kind:     by_value
      - .actual_access:  read_only
        .address_space:  global
        .offset:         88
        .size:           8
        .value_kind:     global_buffer
      - .offset:         96
        .size:           4
        .value_kind:     by_value
      - .offset:         104
        .size:           4
        .value_kind:     hidden_block_count_x
      - .offset:         108
        .size:           4
        .value_kind:     hidden_block_count_y
      - .offset:         112
        .size:           4
        .value_kind:     hidden_block_count_z
      - .offset:         116
        .size:           2
        .value_kind:     hidden_group_size_x
      - .offset:         118
        .size:           2
        .value_kind:     hidden_group_size_y
      - .offset:         120
        .size:           2
        .value_kind:     hidden_group_size_z
      - .offset:         122
        .size:           2
        .value_kind:     hidden_remainder_x
      - .offset:         124
        .size:           2
        .value_kind:     hidden_remainder_y
      - .offset:         126
        .size:           2
        .value_kind:     hidden_remainder_z
      - .offset:         144
        .size:           8
        .value_kind:     hidden_global_offset_x
      - .offset:         152
        .size:           8
        .value_kind:     hidden_global_offset_y
      - .offset:         160
        .size:           8
        .value_kind:     hidden_global_offset_z
      - .offset:         168
        .size:           2
        .value_kind:     hidden_grid_dims
    .group_segment_fixed_size: 0
    .kernarg_segment_align: 8
    .kernarg_segment_size: 360
    .language:       OpenCL C
    .language_version:
      - 2
      - 0
    .max_flat_workgroup_size: 64
    .name:           _ZL36rocblas_hemvn_kernel_lower_block_sumILi64Ei19rocblas_complex_numIdEPKPS1_S1_EviT1_lS5_lT2_lT0_lPT3_i
    .private_segment_fixed_size: 0
    .sgpr_count:     34
    .sgpr_spill_count: 0
    .symbol:         _ZL36rocblas_hemvn_kernel_lower_block_sumILi64Ei19rocblas_complex_numIdEPKPS1_S1_EviT1_lS5_lT2_lT0_lPT3_i.kd
    .uniform_work_group_size: 1
    .uses_dynamic_stack: false
    .vgpr_count:     14
    .vgpr_spill_count: 0
    .wavefront_size: 64
  - .agpr_count:     0
    .args:
      - .offset:         0
        .size:           1
        .value_kind:     by_value
      - .offset:         4
        .size:           4
        .value_kind:     by_value
      - .offset:         8
        .size:           8
        .value_kind:     by_value
      - .offset:         16
        .size:           8
        .value_kind:     by_value
      - .address_space:  global
        .offset:         24
        .size:           8
        .value_kind:     global_buffer
      - .offset:         32
        .size:           8
        .value_kind:     by_value
      - .offset:         40
        .size:           8
        .value_kind:     by_value
      - .offset:         48
        .size:           8
        .value_kind:     by_value
      - .address_space:  global
        .offset:         56
        .size:           8
        .value_kind:     global_buffer
      - .offset:         64
        .size:           8
        .value_kind:     by_value
      - .offset:         72
        .size:           8
        .value_kind:     by_value
      - .offset:         80
        .size:           8
        .value_kind:     by_value
      - .offset:         88
        .size:           8
        .value_kind:     by_value
      - .offset:         96
        .size:           8
        .value_kind:     by_value
      - .address_space:  global
        .offset:         104
        .size:           8
        .value_kind:     global_buffer
      - .offset:         112
        .size:           8
        .value_kind:     by_value
      - .offset:         120
        .size:           8
        .value_kind:     by_value
      - .offset:         128
        .size:           8
        .value_kind:     by_value
      - .offset:         136
        .size:           4
        .value_kind:     by_value
    .group_segment_fixed_size: 5248
    .kernarg_segment_align: 8
    .kernarg_segment_size: 140
    .language:       OpenCL C
    .language_version:
      - 2
      - 0
    .max_flat_workgroup_size: 128
    .name:           _ZL50rocblas_symv_kernel_upper_double_buffered_diagonalILi32ELi4E24rocblas_internal_val_ptrIfEPKfPfEvbiT1_lT2_lllS6_lllS5_lT3_llli
    .private_segment_fixed_size: 0
    .sgpr_count:     40
    .sgpr_spill_count: 0
    .symbol:         _ZL50rocblas_symv_kernel_upper_double_buffered_diagonalILi32ELi4E24rocblas_internal_val_ptrIfEPKfPfEvbiT1_lT2_lllS6_lllS5_lT3_llli.kd
    .uniform_work_group_size: 1
    .uses_dynamic_stack: false
    .vgpr_count:     20
    .vgpr_spill_count: 0
    .wavefront_size: 64
  - .agpr_count:     0
    .args:
      - .offset:         0
        .size:           1
        .value_kind:     by_value
      - .offset:         4
        .size:           4
        .value_kind:     by_value
      - .offset:         8
        .size:           8
        .value_kind:     by_value
      - .offset:         16
        .size:           8
        .value_kind:     by_value
      - .address_space:  global
        .offset:         24
        .size:           8
        .value_kind:     global_buffer
      - .offset:         32
        .size:           8
        .value_kind:     by_value
      - .offset:         40
        .size:           8
        .value_kind:     by_value
      - .offset:         48
        .size:           8
        .value_kind:     by_value
      - .address_space:  global
        .offset:         56
        .size:           8
        .value_kind:     global_buffer
      - .offset:         64
        .size:           8
        .value_kind:     by_value
      - .offset:         72
        .size:           8
        .value_kind:     by_value
      - .offset:         80
        .size:           8
        .value_kind:     by_value
      - .address_space:  global
        .offset:         88
        .size:           8
        .value_kind:     global_buffer
      - .offset:         96
        .size:           8
        .value_kind:     by_value
      - .offset:         104
        .size:           8
        .value_kind:     by_value
      - .offset:         112
        .size:           8
        .value_kind:     by_value
      - .offset:         120
        .size:           4
        .value_kind:     by_value
      - .offset:         128
        .size:           4
        .value_kind:     hidden_block_count_x
      - .offset:         132
        .size:           4
        .value_kind:     hidden_block_count_y
      - .offset:         136
        .size:           4
        .value_kind:     hidden_block_count_z
      - .offset:         140
        .size:           2
        .value_kind:     hidden_group_size_x
      - .offset:         142
        .size:           2
        .value_kind:     hidden_group_size_y
      - .offset:         144
        .size:           2
        .value_kind:     hidden_group_size_z
      - .offset:         146
        .size:           2
        .value_kind:     hidden_remainder_x
      - .offset:         148
        .size:           2
        .value_kind:     hidden_remainder_y
      - .offset:         150
        .size:           2
        .value_kind:     hidden_remainder_z
      - .offset:         168
        .size:           8
        .value_kind:     hidden_global_offset_x
      - .offset:         176
        .size:           8
        .value_kind:     hidden_global_offset_y
      - .offset:         184
        .size:           8
        .value_kind:     hidden_global_offset_z
      - .offset:         192
        .size:           2
        .value_kind:     hidden_grid_dims
    .group_segment_fixed_size: 3200
    .kernarg_segment_align: 8
    .kernarg_segment_size: 384
    .language:       OpenCL C
    .language_version:
      - 2
      - 0
    .max_flat_workgroup_size: 128
    .name:           _ZL54rocblas_symv_kernel_upper_double_buffered_non_diagonalILi32ELi4ELi4E24rocblas_internal_val_ptrIfEPKfPfEvbiT2_lT3_lllS6_lllT4_llli
    .private_segment_fixed_size: 0
    .sgpr_count:     38
    .sgpr_spill_count: 0
    .symbol:         _ZL54rocblas_symv_kernel_upper_double_buffered_non_diagonalILi32ELi4ELi4E24rocblas_internal_val_ptrIfEPKfPfEvbiT2_lT3_lllS6_lllT4_llli.kd
    .uniform_work_group_size: 1
    .uses_dynamic_stack: false
    .vgpr_count:     55
    .vgpr_spill_count: 0
    .wavefront_size: 64
  - .agpr_count:     0
    .args:
      - .offset:         0
        .size:           1
        .value_kind:     by_value
      - .offset:         4
        .size:           4
        .value_kind:     by_value
      - .offset:         8
        .size:           8
        .value_kind:     by_value
      - .offset:         16
        .size:           8
        .value_kind:     by_value
      - .address_space:  global
        .offset:         24
        .size:           8
        .value_kind:     global_buffer
      - .offset:         32
        .size:           8
        .value_kind:     by_value
      - .offset:         40
        .size:           8
        .value_kind:     by_value
      - .offset:         48
        .size:           8
        .value_kind:     by_value
      - .address_space:  global
        .offset:         56
        .size:           8
        .value_kind:     global_buffer
      - .offset:         64
        .size:           8
        .value_kind:     by_value
      - .offset:         72
        .size:           8
        .value_kind:     by_value
      - .offset:         80
        .size:           8
        .value_kind:     by_value
      - .offset:         88
        .size:           8
        .value_kind:     by_value
      - .offset:         96
        .size:           8
        .value_kind:     by_value
      - .address_space:  global
        .offset:         104
        .size:           8
        .value_kind:     global_buffer
      - .offset:         112
        .size:           8
        .value_kind:     by_value
      - .offset:         120
        .size:           8
        .value_kind:     by_value
      - .offset:         128
        .size:           8
        .value_kind:     by_value
      - .offset:         136
        .size:           4
        .value_kind:     by_value
      - .offset:         140
        .size:           4
        .value_kind:     by_value
      - .offset:         144
        .size:           4
        .value_kind:     hidden_block_count_x
      - .offset:         148
        .size:           4
        .value_kind:     hidden_block_count_y
      - .offset:         152
        .size:           4
        .value_kind:     hidden_block_count_z
      - .offset:         156
        .size:           2
        .value_kind:     hidden_group_size_x
      - .offset:         158
        .size:           2
        .value_kind:     hidden_group_size_y
      - .offset:         160
        .size:           2
        .value_kind:     hidden_group_size_z
      - .offset:         162
        .size:           2
        .value_kind:     hidden_remainder_x
      - .offset:         164
        .size:           2
        .value_kind:     hidden_remainder_y
      - .offset:         166
        .size:           2
        .value_kind:     hidden_remainder_z
      - .offset:         184
        .size:           8
        .value_kind:     hidden_global_offset_x
      - .offset:         192
        .size:           8
        .value_kind:     hidden_global_offset_y
      - .offset:         200
        .size:           8
        .value_kind:     hidden_global_offset_z
      - .offset:         208
        .size:           2
        .value_kind:     hidden_grid_dims
    .group_segment_fixed_size: 6272
    .kernarg_segment_align: 8
    .kernarg_segment_size: 400
    .language:       OpenCL C
    .language_version:
      - 2
      - 0
    .max_flat_workgroup_size: 256
    .name:           _ZL58rocblas_symv_kernel_upper_double_buffered_diagonal_genericILi32ELi8E24rocblas_internal_val_ptrIfEPKfPfEvbiT1_lT2_lllS6_lllS5_lT3_lllii
    .private_segment_fixed_size: 0
    .sgpr_count:     50
    .sgpr_spill_count: 0
    .symbol:         _ZL58rocblas_symv_kernel_upper_double_buffered_diagonal_genericILi32ELi8E24rocblas_internal_val_ptrIfEPKfPfEvbiT1_lT2_lllS6_lllS5_lT3_lllii.kd
    .uniform_work_group_size: 1
    .uses_dynamic_stack: false
    .vgpr_count:     21
    .vgpr_spill_count: 0
    .wavefront_size: 64
  - .agpr_count:     0
    .args:
      - .offset:         0
        .size:           1
        .value_kind:     by_value
      - .offset:         4
        .size:           4
        .value_kind:     by_value
      - .offset:         8
        .size:           8
        .value_kind:     by_value
      - .offset:         16
        .size:           8
        .value_kind:     by_value
      - .address_space:  global
        .offset:         24
        .size:           8
        .value_kind:     global_buffer
      - .offset:         32
        .size:           8
        .value_kind:     by_value
      - .offset:         40
        .size:           8
        .value_kind:     by_value
      - .offset:         48
        .size:           8
        .value_kind:     by_value
      - .address_space:  global
        .offset:         56
        .size:           8
        .value_kind:     global_buffer
      - .offset:         64
        .size:           8
        .value_kind:     by_value
      - .offset:         72
        .size:           8
        .value_kind:     by_value
      - .offset:         80
        .size:           8
        .value_kind:     by_value
      - .address_space:  global
        .offset:         88
        .size:           8
        .value_kind:     global_buffer
      - .offset:         96
        .size:           8
        .value_kind:     by_value
      - .offset:         104
        .size:           8
        .value_kind:     by_value
      - .offset:         112
        .size:           8
        .value_kind:     by_value
      - .offset:         120
        .size:           4
        .value_kind:     by_value
      - .offset:         124
        .size:           4
        .value_kind:     by_value
      - .offset:         128
        .size:           4
        .value_kind:     hidden_block_count_x
      - .offset:         132
        .size:           4
        .value_kind:     hidden_block_count_y
      - .offset:         136
        .size:           4
        .value_kind:     hidden_block_count_z
      - .offset:         140
        .size:           2
        .value_kind:     hidden_group_size_x
      - .offset:         142
        .size:           2
        .value_kind:     hidden_group_size_y
      - .offset:         144
        .size:           2
        .value_kind:     hidden_group_size_z
      - .offset:         146
        .size:           2
        .value_kind:     hidden_remainder_x
      - .offset:         148
        .size:           2
        .value_kind:     hidden_remainder_y
      - .offset:         150
        .size:           2
        .value_kind:     hidden_remainder_z
      - .offset:         168
        .size:           8
        .value_kind:     hidden_global_offset_x
      - .offset:         176
        .size:           8
        .value_kind:     hidden_global_offset_y
      - .offset:         184
        .size:           8
        .value_kind:     hidden_global_offset_z
      - .offset:         192
        .size:           2
        .value_kind:     hidden_grid_dims
    .group_segment_fixed_size: 4224
    .kernarg_segment_align: 8
    .kernarg_segment_size: 384
    .language:       OpenCL C
    .language_version:
      - 2
      - 0
    .max_flat_workgroup_size: 256
    .name:           _ZL62rocblas_symv_kernel_upper_double_buffered_non_diagonal_genericILi32ELi8ELi2ELi0E24rocblas_internal_val_ptrIfEPKfPfEvbiT3_lT4_lllS6_lllT5_lllii
    .private_segment_fixed_size: 0
    .sgpr_count:     46
    .sgpr_spill_count: 0
    .symbol:         _ZL62rocblas_symv_kernel_upper_double_buffered_non_diagonal_genericILi32ELi8ELi2ELi0E24rocblas_internal_val_ptrIfEPKfPfEvbiT3_lT4_lllS6_lllT5_lllii.kd
    .uniform_work_group_size: 1
    .uses_dynamic_stack: false
    .vgpr_count:     41
    .vgpr_spill_count: 0
    .wavefront_size: 64
  - .agpr_count:     0
    .args:
      - .offset:         0
        .size:           1
        .value_kind:     by_value
      - .offset:         4
        .size:           4
        .value_kind:     by_value
      - .offset:         8
        .size:           8
        .value_kind:     by_value
      - .offset:         16
        .size:           8
        .value_kind:     by_value
      - .address_space:  global
        .offset:         24
        .size:           8
        .value_kind:     global_buffer
      - .offset:         32
        .size:           8
        .value_kind:     by_value
      - .offset:         40
        .size:           8
        .value_kind:     by_value
      - .offset:         48
        .size:           8
        .value_kind:     by_value
      - .address_space:  global
        .offset:         56
        .size:           8
        .value_kind:     global_buffer
      - .offset:         64
        .size:           8
        .value_kind:     by_value
      - .offset:         72
        .size:           8
        .value_kind:     by_value
      - .offset:         80
        .size:           8
        .value_kind:     by_value
      - .address_space:  global
        .offset:         88
        .size:           8
        .value_kind:     global_buffer
      - .offset:         96
        .size:           8
        .value_kind:     by_value
      - .offset:         104
        .size:           8
        .value_kind:     by_value
      - .offset:         112
        .size:           8
        .value_kind:     by_value
      - .offset:         120
        .size:           4
        .value_kind:     by_value
      - .offset:         124
        .size:           4
        .value_kind:     by_value
      - .offset:         128
        .size:           4
        .value_kind:     hidden_block_count_x
      - .offset:         132
        .size:           4
        .value_kind:     hidden_block_count_y
      - .offset:         136
        .size:           4
        .value_kind:     hidden_block_count_z
      - .offset:         140
        .size:           2
        .value_kind:     hidden_group_size_x
      - .offset:         142
        .size:           2
        .value_kind:     hidden_group_size_y
      - .offset:         144
        .size:           2
        .value_kind:     hidden_group_size_z
      - .offset:         146
        .size:           2
        .value_kind:     hidden_remainder_x
      - .offset:         148
        .size:           2
        .value_kind:     hidden_remainder_y
      - .offset:         150
        .size:           2
        .value_kind:     hidden_remainder_z
      - .offset:         168
        .size:           8
        .value_kind:     hidden_global_offset_x
      - .offset:         176
        .size:           8
        .value_kind:     hidden_global_offset_y
      - .offset:         184
        .size:           8
        .value_kind:     hidden_global_offset_z
      - .offset:         192
        .size:           2
        .value_kind:     hidden_grid_dims
    .group_segment_fixed_size: 4224
    .kernarg_segment_align: 8
    .kernarg_segment_size: 384
    .language:       OpenCL C
    .language_version:
      - 2
      - 0
    .max_flat_workgroup_size: 256
    .name:           _ZL62rocblas_symv_kernel_upper_double_buffered_non_diagonal_genericILi32ELi8ELi2ELi1E24rocblas_internal_val_ptrIfEPKfPfEvbiT3_lT4_lllS6_lllT5_lllii
    .private_segment_fixed_size: 0
    .sgpr_count:     47
    .sgpr_spill_count: 0
    .symbol:         _ZL62rocblas_symv_kernel_upper_double_buffered_non_diagonal_genericILi32ELi8ELi2ELi1E24rocblas_internal_val_ptrIfEPKfPfEvbiT3_lT4_lllS6_lllT5_lllii.kd
    .uniform_work_group_size: 1
    .uses_dynamic_stack: false
    .vgpr_count:     41
    .vgpr_spill_count: 0
    .wavefront_size: 64
  - .agpr_count:     0
    .args:
      - .offset:         0
        .size:           4
        .value_kind:     by_value
      - .address_space:  global
        .offset:         8
        .size:           8
        .value_kind:     global_buffer
      - .offset:         16
        .size:           8
        .value_kind:     by_value
      - .address_space:  global
        .offset:         24
        .size:           8
        .value_kind:     global_buffer
      - .offset:         32
        .size:           8
        .value_kind:     by_value
      - .offset:         40
        .size:           8
        .value_kind:     by_value
      - .offset:         48
        .size:           8
        .value_kind:     by_value
      - .address_space:  global
        .offset:         56
        .size:           8
        .value_kind:     global_buffer
      - .offset:         64
        .size:           8
        .value_kind:     by_value
      - .offset:         72
        .size:           8
        .value_kind:     by_value
      - .offset:         80
        .size:           8
        .value_kind:     by_value
      - .address_space:  global
        .offset:         88
        .size:           8
        .value_kind:     global_buffer
      - .offset:         96
        .size:           8
        .value_kind:     by_value
      - .address_space:  global
        .offset:         104
        .size:           8
        .value_kind:     global_buffer
      - .offset:         112
        .size:           4
        .value_kind:     by_value
      - .offset:         120
        .size:           4
        .value_kind:     hidden_block_count_x
      - .offset:         124
        .size:           4
        .value_kind:     hidden_block_count_y
      - .offset:         128
        .size:           4
        .value_kind:     hidden_block_count_z
      - .offset:         132
        .size:           2
        .value_kind:     hidden_group_size_x
      - .offset:         134
        .size:           2
        .value_kind:     hidden_group_size_y
      - .offset:         136
        .size:           2
        .value_kind:     hidden_group_size_z
      - .offset:         138
        .size:           2
        .value_kind:     hidden_remainder_x
      - .offset:         140
        .size:           2
        .value_kind:     hidden_remainder_y
      - .offset:         142
        .size:           2
        .value_kind:     hidden_remainder_z
      - .offset:         160
        .size:           8
        .value_kind:     hidden_global_offset_x
      - .offset:         168
        .size:           8
        .value_kind:     hidden_global_offset_y
      - .offset:         176
        .size:           8
        .value_kind:     hidden_global_offset_z
      - .offset:         184
        .size:           2
        .value_kind:     hidden_grid_dims
    .group_segment_fixed_size: 4800
    .kernarg_segment_align: 8
    .kernarg_segment_size: 376
    .language:       OpenCL C
    .language_version:
      - 2
      - 0
    .max_flat_workgroup_size: 256
    .name:           _ZL26rocblas_hemvn_kernel_upperILb0ELi64ELi4ELi33ELi32ELi16ElPKfS1_PfEviT6_lT7_lT5_lS4_lS5_lS3_lT8_i
    .private_segment_fixed_size: 0
    .sgpr_count:     47
    .sgpr_spill_count: 0
    .symbol:         _ZL26rocblas_hemvn_kernel_upperILb0ELi64ELi4ELi33ELi32ELi16ElPKfS1_PfEviT6_lT7_lT5_lS4_lS5_lS3_lT8_i.kd
    .uniform_work_group_size: 1
    .uses_dynamic_stack: false
    .vgpr_count:     110
    .vgpr_spill_count: 0
    .wavefront_size: 64
  - .agpr_count:     0
    .args:
      - .offset:         0
        .size:           4
        .value_kind:     by_value
      - .address_space:  global
        .offset:         8
        .size:           8
        .value_kind:     global_buffer
      - .offset:         16
        .size:           8
        .value_kind:     by_value
      - .address_space:  global
        .offset:         24
        .size:           8
        .value_kind:     global_buffer
      - .offset:         32
        .size:           8
        .value_kind:     by_value
      - .address_space:  global
        .offset:         40
        .size:           8
        .value_kind:     global_buffer
      - .offset:         48
        .size:           8
        .value_kind:     by_value
      - .offset:         56
        .size:           8
        .value_kind:     by_value
      - .offset:         64
        .size:           8
        .value_kind:     by_value
      - .address_space:  global
        .offset:         72
        .size:           8
        .value_kind:     global_buffer
      - .offset:         80
        .size:           4
        .value_kind:     by_value
      - .offset:         88
        .size:           4
        .value_kind:     hidden_block_count_x
      - .offset:         92
        .size:           4
        .value_kind:     hidden_block_count_y
      - .offset:         96
        .size:           4
        .value_kind:     hidden_block_count_z
      - .offset:         100
        .size:           2
        .value_kind:     hidden_group_size_x
      - .offset:         102
        .size:           2
        .value_kind:     hidden_group_size_y
      - .offset:         104
        .size:           2
        .value_kind:     hidden_group_size_z
      - .offset:         106
        .size:           2
        .value_kind:     hidden_remainder_x
      - .offset:         108
        .size:           2
        .value_kind:     hidden_remainder_y
      - .offset:         110
        .size:           2
        .value_kind:     hidden_remainder_z
      - .offset:         128
        .size:           8
        .value_kind:     hidden_global_offset_x
      - .offset:         136
        .size:           8
        .value_kind:     hidden_global_offset_y
      - .offset:         144
        .size:           8
        .value_kind:     hidden_global_offset_z
      - .offset:         152
        .size:           2
        .value_kind:     hidden_grid_dims
    .group_segment_fixed_size: 0
    .kernarg_segment_align: 8
    .kernarg_segment_size: 344
    .language:       OpenCL C
    .language_version:
      - 2
      - 0
    .max_flat_workgroup_size: 64
    .name:           _ZL36rocblas_hemvn_kernel_upper_block_sumILi64ElPKfPffEviT1_lS3_lT2_lT0_lPT3_i
    .private_segment_fixed_size: 0
    .sgpr_count:     28
    .sgpr_spill_count: 0
    .symbol:         _ZL36rocblas_hemvn_kernel_upper_block_sumILi64ElPKfPffEviT1_lS3_lT2_lT0_lPT3_i.kd
    .uniform_work_group_size: 1
    .uses_dynamic_stack: false
    .vgpr_count:     7
    .vgpr_spill_count: 0
    .wavefront_size: 64
  - .agpr_count:     0
    .args:
      - .offset:         0
        .size:           4
        .value_kind:     by_value
      - .address_space:  global
        .offset:         8
        .size:           8
        .value_kind:     global_buffer
      - .offset:         16
        .size:           8
        .value_kind:     by_value
      - .address_space:  global
        .offset:         24
        .size:           8
        .value_kind:     global_buffer
      - .offset:         32
        .size:           8
        .value_kind:     by_value
      - .offset:         40
        .size:           4
        .value_kind:     by_value
      - .offset:         48
        .size:           8
        .value_kind:     by_value
      - .address_space:  global
        .offset:         56
        .size:           8
        .value_kind:     global_buffer
      - .offset:         64
        .size:           8
        .value_kind:     by_value
      - .offset:         72
        .size:           4
        .value_kind:     by_value
      - .offset:         80
        .size:           8
        .value_kind:     by_value
      - .address_space:  global
        .offset:         88
        .size:           8
        .value_kind:     global_buffer
      - .offset:         96
        .size:           8
        .value_kind:     by_value
      - .address_space:  global
        .offset:         104
        .size:           8
        .value_kind:     global_buffer
      - .offset:         112
        .size:           4
        .value_kind:     by_value
      - .offset:         120
        .size:           4
        .value_kind:     hidden_block_count_x
      - .offset:         124
        .size:           4
        .value_kind:     hidden_block_count_y
      - .offset:         128
        .size:           4
        .value_kind:     hidden_block_count_z
      - .offset:         132
        .size:           2
        .value_kind:     hidden_group_size_x
      - .offset:         134
        .size:           2
        .value_kind:     hidden_group_size_y
      - .offset:         136
        .size:           2
        .value_kind:     hidden_group_size_z
      - .offset:         138
        .size:           2
        .value_kind:     hidden_remainder_x
      - .offset:         140
        .size:           2
        .value_kind:     hidden_remainder_y
      - .offset:         142
        .size:           2
        .value_kind:     hidden_remainder_z
      - .offset:         160
        .size:           8
        .value_kind:     hidden_global_offset_x
      - .offset:         168
        .size:           8
        .value_kind:     hidden_global_offset_y
      - .offset:         176
        .size:           8
        .value_kind:     hidden_global_offset_z
      - .offset:         184
        .size:           2
        .value_kind:     hidden_grid_dims
    .group_segment_fixed_size: 4800
    .kernarg_segment_align: 8
    .kernarg_segment_size: 376
    .language:       OpenCL C
    .language_version:
      - 2
      - 0
    .max_flat_workgroup_size: 256
    .name:           _ZL26rocblas_hemvn_kernel_upperILb0ELi64ELi4ELi33ELi32ELi16EiPKfS1_PfEviT6_lT7_lT5_lS4_lS5_lS3_lT8_i
    .private_segment_fixed_size: 0
    .sgpr_count:     51
    .sgpr_spill_count: 0
    .symbol:         _ZL26rocblas_hemvn_kernel_upperILb0ELi64ELi4ELi33ELi32ELi16EiPKfS1_PfEviT6_lT7_lT5_lS4_lS5_lS3_lT8_i.kd
    .uniform_work_group_size: 1
    .uses_dynamic_stack: false
    .vgpr_count:     130
    .vgpr_spill_count: 0
    .wavefront_size: 64
  - .agpr_count:     0
    .args:
      - .offset:         0
        .size:           4
        .value_kind:     by_value
      - .address_space:  global
        .offset:         8
        .size:           8
        .value_kind:     global_buffer
      - .offset:         16
        .size:           8
        .value_kind:     by_value
      - .address_space:  global
        .offset:         24
        .size:           8
        .value_kind:     global_buffer
      - .offset:         32
        .size:           8
        .value_kind:     by_value
      - .address_space:  global
        .offset:         40
        .size:           8
        .value_kind:     global_buffer
      - .offset:         48
        .size:           8
        .value_kind:     by_value
      - .offset:         56
        .size:           4
        .value_kind:     by_value
      - .offset:         64
        .size:           8
        .value_kind:     by_value
      - .address_space:  global
        .offset:         72
        .size:           8
        .value_kind:     global_buffer
      - .offset:         80
        .size:           4
        .value_kind:     by_value
      - .offset:         88
        .size:           4
        .value_kind:     hidden_block_count_x
      - .offset:         92
        .size:           4
        .value_kind:     hidden_block_count_y
      - .offset:         96
        .size:           4
        .value_kind:     hidden_block_count_z
      - .offset:         100
        .size:           2
        .value_kind:     hidden_group_size_x
      - .offset:         102
        .size:           2
        .value_kind:     hidden_group_size_y
      - .offset:         104
        .size:           2
        .value_kind:     hidden_group_size_z
      - .offset:         106
        .size:           2
        .value_kind:     hidden_remainder_x
      - .offset:         108
        .size:           2
        .value_kind:     hidden_remainder_y
      - .offset:         110
        .size:           2
        .value_kind:     hidden_remainder_z
      - .offset:         128
        .size:           8
        .value_kind:     hidden_global_offset_x
      - .offset:         136
        .size:           8
        .value_kind:     hidden_global_offset_y
      - .offset:         144
        .size:           8
        .value_kind:     hidden_global_offset_z
      - .offset:         152
        .size:           2
        .value_kind:     hidden_grid_dims
    .group_segment_fixed_size: 0
    .kernarg_segment_align: 8
    .kernarg_segment_size: 344
    .language:       OpenCL C
    .language_version:
      - 2
      - 0
    .max_flat_workgroup_size: 64
    .name:           _ZL36rocblas_hemvn_kernel_upper_block_sumILi64EiPKfPffEviT1_lS3_lT2_lT0_lPT3_i
    .private_segment_fixed_size: 0
    .sgpr_count:     27
    .sgpr_spill_count: 0
    .symbol:         _ZL36rocblas_hemvn_kernel_upper_block_sumILi64EiPKfPffEviT1_lS3_lT2_lT0_lPT3_i.kd
    .uniform_work_group_size: 1
    .uses_dynamic_stack: false
    .vgpr_count:     6
    .vgpr_spill_count: 0
    .wavefront_size: 64
  - .agpr_count:     0
    .args:
      - .offset:         0
        .size:           4
        .value_kind:     by_value
      - .offset:         4
        .size:           4
        .value_kind:     by_value
      - .offset:         8
        .size:           8
        .value_kind:     by_value
      - .address_space:  global
        .offset:         16
        .size:           8
        .value_kind:     global_buffer
      - .offset:         24
        .size:           8
        .value_kind:     by_value
      - .offset:         32
        .size:           8
        .value_kind:     by_value
      - .offset:         40
        .size:           8
        .value_kind:     by_value
      - .address_space:  global
        .offset:         48
        .size:           8
        .value_kind:     global_buffer
      - .offset:         56
        .size:           8
        .value_kind:     by_value
      - .offset:         64
        .size:           8
        .value_kind:     by_value
      - .offset:         72
        .size:           8
        .value_kind:     by_value
      - .offset:         80
        .size:           4
        .value_kind:     by_value
      - .offset:         88
        .size:           8
        .value_kind:     by_value
      - .address_space:  global
        .offset:         96
        .size:           8
        .value_kind:     global_buffer
      - .offset:         104
        .size:           4
        .value_kind:     by_value
      - .offset:         112
        .size:           4
        .value_kind:     hidden_block_count_x
      - .offset:         116
        .size:           4
        .value_kind:     hidden_block_count_y
      - .offset:         120
        .size:           4
        .value_kind:     hidden_block_count_z
      - .offset:         124
        .size:           2
        .value_kind:     hidden_group_size_x
      - .offset:         126
        .size:           2
        .value_kind:     hidden_group_size_y
      - .offset:         128
        .size:           2
        .value_kind:     hidden_group_size_z
      - .offset:         130
        .size:           2
        .value_kind:     hidden_remainder_x
      - .offset:         132
        .size:           2
        .value_kind:     hidden_remainder_y
      - .offset:         134
        .size:           2
        .value_kind:     hidden_remainder_z
      - .offset:         152
        .size:           8
        .value_kind:     hidden_global_offset_x
      - .offset:         160
        .size:           8
        .value_kind:     hidden_global_offset_y
      - .offset:         168
        .size:           8
        .value_kind:     hidden_global_offset_z
      - .offset:         176
        .size:           2
        .value_kind:     hidden_grid_dims
    .group_segment_fixed_size: 4800
    .kernarg_segment_align: 8
    .kernarg_segment_size: 368
    .language:       OpenCL C
    .language_version:
      - 2
      - 0
    .max_flat_workgroup_size: 256
    .name:           _ZL26rocblas_hemvn_kernel_upperILb0ELi64ELi4ELi33ELi32ELi16ElfPKfPfEviT6_lT7_lT5_lS4_lS5_lS3_lT8_i
    .private_segment_fixed_size: 0
    .sgpr_count:     47
    .sgpr_spill_count: 0
    .symbol:         _ZL26rocblas_hemvn_kernel_upperILb0ELi64ELi4ELi33ELi32ELi16ElfPKfPfEviT6_lT7_lT5_lS4_lS5_lS3_lT8_i.kd
    .uniform_work_group_size: 1
    .uses_dynamic_stack: false
    .vgpr_count:     110
    .vgpr_spill_count: 0
    .wavefront_size: 64
  - .agpr_count:     0
    .args:
      - .offset:         0
        .size:           4
        .value_kind:     by_value
      - .offset:         4
        .size:           4
        .value_kind:     by_value
      - .offset:         8
        .size:           8
        .value_kind:     by_value
      - .offset:         16
        .size:           4
        .value_kind:     by_value
      - .offset:         24
        .size:           8
        .value_kind:     by_value
      - .address_space:  global
        .offset:         32
        .size:           8
        .value_kind:     global_buffer
      - .offset:         40
        .size:           8
        .value_kind:     by_value
      - .offset:         48
        .size:           8
        .value_kind:     by_value
      - .offset:         56
        .size:           8
        .value_kind:     by_value
      - .address_space:  global
        .offset:         64
        .size:           8
        .value_kind:     global_buffer
      - .offset:         72
        .size:           4
        .value_kind:     by_value
      - .offset:         80
        .size:           4
        .value_kind:     hidden_block_count_x
      - .offset:         84
        .size:           4
        .value_kind:     hidden_block_count_y
      - .offset:         88
        .size:           4
        .value_kind:     hidden_block_count_z
      - .offset:         92
        .size:           2
        .value_kind:     hidden_group_size_x
      - .offset:         94
        .size:           2
        .value_kind:     hidden_group_size_y
      - .offset:         96
        .size:           2
        .value_kind:     hidden_group_size_z
      - .offset:         98
        .size:           2
        .value_kind:     hidden_remainder_x
      - .offset:         100
        .size:           2
        .value_kind:     hidden_remainder_y
      - .offset:         102
        .size:           2
        .value_kind:     hidden_remainder_z
      - .offset:         120
        .size:           8
        .value_kind:     hidden_global_offset_x
      - .offset:         128
        .size:           8
        .value_kind:     hidden_global_offset_y
      - .offset:         136
        .size:           8
        .value_kind:     hidden_global_offset_z
      - .offset:         144
        .size:           2
        .value_kind:     hidden_grid_dims
    .group_segment_fixed_size: 0
    .kernarg_segment_align: 8
    .kernarg_segment_size: 336
    .language:       OpenCL C
    .language_version:
      - 2
      - 0
    .max_flat_workgroup_size: 64
    .name:           _ZL36rocblas_hemvn_kernel_upper_block_sumILi64ElfPffEviT1_lS1_lT2_lT0_lPT3_i
    .private_segment_fixed_size: 0
    .sgpr_count:     27
    .sgpr_spill_count: 0
    .symbol:         _ZL36rocblas_hemvn_kernel_upper_block_sumILi64ElfPffEviT1_lS1_lT2_lT0_lPT3_i.kd
    .uniform_work_group_size: 1
    .uses_dynamic_stack: false
    .vgpr_count:     7
    .vgpr_spill_count: 0
    .wavefront_size: 64
  - .agpr_count:     0
    .args:
      - .offset:         0
        .size:           4
        .value_kind:     by_value
      - .offset:         4
        .size:           4
        .value_kind:     by_value
      - .offset:         8
        .size:           8
        .value_kind:     by_value
      - .address_space:  global
        .offset:         16
        .size:           8
        .value_kind:     global_buffer
      - .offset:         24
        .size:           8
        .value_kind:     by_value
      - .offset:         32
        .size:           4
        .value_kind:     by_value
      - .offset:         40
        .size:           8
        .value_kind:     by_value
      - .address_space:  global
        .offset:         48
        .size:           8
        .value_kind:     global_buffer
      - .offset:         56
        .size:           8
        .value_kind:     by_value
      - .offset:         64
        .size:           4
        .value_kind:     by_value
      - .offset:         72
        .size:           8
        .value_kind:     by_value
      - .offset:         80
        .size:           4
        .value_kind:     by_value
      - .offset:         88
        .size:           8
        .value_kind:     by_value
      - .address_space:  global
        .offset:         96
        .size:           8
        .value_kind:     global_buffer
      - .offset:         104
        .size:           4
        .value_kind:     by_value
      - .offset:         112
        .size:           4
        .value_kind:     hidden_block_count_x
      - .offset:         116
        .size:           4
        .value_kind:     hidden_block_count_y
      - .offset:         120
        .size:           4
        .value_kind:     hidden_block_count_z
      - .offset:         124
        .size:           2
        .value_kind:     hidden_group_size_x
      - .offset:         126
        .size:           2
        .value_kind:     hidden_group_size_y
      - .offset:         128
        .size:           2
        .value_kind:     hidden_group_size_z
      - .offset:         130
        .size:           2
        .value_kind:     hidden_remainder_x
      - .offset:         132
        .size:           2
        .value_kind:     hidden_remainder_y
      - .offset:         134
        .size:           2
        .value_kind:     hidden_remainder_z
      - .offset:         152
        .size:           8
        .value_kind:     hidden_global_offset_x
      - .offset:         160
        .size:           8
        .value_kind:     hidden_global_offset_y
      - .offset:         168
        .size:           8
        .value_kind:     hidden_global_offset_z
      - .offset:         176
        .size:           2
        .value_kind:     hidden_grid_dims
    .group_segment_fixed_size: 4800
    .kernarg_segment_align: 8
    .kernarg_segment_size: 368
    .language:       OpenCL C
    .language_version:
      - 2
      - 0
    .max_flat_workgroup_size: 256
    .name:           _ZL26rocblas_hemvn_kernel_upperILb0ELi64ELi4ELi33ELi32ELi16EifPKfPfEviT6_lT7_lT5_lS4_lS5_lS3_lT8_i
    .private_segment_fixed_size: 0
    .sgpr_count:     51
    .sgpr_spill_count: 0
    .symbol:         _ZL26rocblas_hemvn_kernel_upperILb0ELi64ELi4ELi33ELi32ELi16EifPKfPfEviT6_lT7_lT5_lS4_lS5_lS3_lT8_i.kd
    .uniform_work_group_size: 1
    .uses_dynamic_stack: false
    .vgpr_count:     130
    .vgpr_spill_count: 0
    .wavefront_size: 64
  - .agpr_count:     0
    .args:
      - .offset:         0
        .size:           4
        .value_kind:     by_value
      - .offset:         4
        .size:           4
        .value_kind:     by_value
      - .offset:         8
        .size:           8
        .value_kind:     by_value
      - .offset:         16
        .size:           4
        .value_kind:     by_value
      - .offset:         24
        .size:           8
        .value_kind:     by_value
      - .address_space:  global
        .offset:         32
        .size:           8
        .value_kind:     global_buffer
      - .offset:         40
        .size:           8
        .value_kind:     by_value
      - .offset:         48
        .size:           4
        .value_kind:     by_value
      - .offset:         56
        .size:           8
        .value_kind:     by_value
      - .address_space:  global
        .offset:         64
        .size:           8
        .value_kind:     global_buffer
      - .offset:         72
        .size:           4
        .value_kind:     by_value
      - .offset:         80
        .size:           4
        .value_kind:     hidden_block_count_x
      - .offset:         84
        .size:           4
        .value_kind:     hidden_block_count_y
      - .offset:         88
        .size:           4
        .value_kind:     hidden_block_count_z
      - .offset:         92
        .size:           2
        .value_kind:     hidden_group_size_x
      - .offset:         94
        .size:           2
        .value_kind:     hidden_group_size_y
      - .offset:         96
        .size:           2
        .value_kind:     hidden_group_size_z
      - .offset:         98
        .size:           2
        .value_kind:     hidden_remainder_x
      - .offset:         100
        .size:           2
        .value_kind:     hidden_remainder_y
      - .offset:         102
        .size:           2
        .value_kind:     hidden_remainder_z
      - .offset:         120
        .size:           8
        .value_kind:     hidden_global_offset_x
      - .offset:         128
        .size:           8
        .value_kind:     hidden_global_offset_y
      - .offset:         136
        .size:           8
        .value_kind:     hidden_global_offset_z
      - .offset:         144
        .size:           2
        .value_kind:     hidden_grid_dims
    .group_segment_fixed_size: 0
    .kernarg_segment_align: 8
    .kernarg_segment_size: 336
    .language:       OpenCL C
    .language_version:
      - 2
      - 0
    .max_flat_workgroup_size: 64
    .name:           _ZL36rocblas_hemvn_kernel_upper_block_sumILi64EifPffEviT1_lS1_lT2_lT0_lPT3_i
    .private_segment_fixed_size: 0
    .sgpr_count:     26
    .sgpr_spill_count: 0
    .symbol:         _ZL36rocblas_hemvn_kernel_upper_block_sumILi64EifPffEviT1_lS1_lT2_lT0_lPT3_i.kd
    .uniform_work_group_size: 1
    .uses_dynamic_stack: false
    .vgpr_count:     6
    .vgpr_spill_count: 0
    .wavefront_size: 64
  - .agpr_count:     0
    .args:
      - .offset:         0
        .size:           1
        .value_kind:     by_value
      - .offset:         4
        .size:           4
        .value_kind:     by_value
      - .offset:         8
        .size:           8
        .value_kind:     by_value
      - .offset:         16
        .size:           8
        .value_kind:     by_value
      - .address_space:  global
        .offset:         24
        .size:           8
        .value_kind:     global_buffer
      - .offset:         32
        .size:           8
        .value_kind:     by_value
      - .offset:         40
        .size:           8
        .value_kind:     by_value
      - .offset:         48
        .size:           8
        .value_kind:     by_value
      - .address_space:  global
        .offset:         56
        .size:           8
        .value_kind:     global_buffer
      - .offset:         64
        .size:           8
        .value_kind:     by_value
      - .offset:         72
        .size:           8
        .value_kind:     by_value
      - .offset:         80
        .size:           8
        .value_kind:     by_value
      - .offset:         88
        .size:           8
        .value_kind:     by_value
      - .offset:         96
        .size:           8
        .value_kind:     by_value
      - .address_space:  global
        .offset:         104
        .size:           8
        .value_kind:     global_buffer
      - .offset:         112
        .size:           8
        .value_kind:     by_value
      - .offset:         120
        .size:           8
        .value_kind:     by_value
      - .offset:         128
        .size:           8
        .value_kind:     by_value
      - .offset:         136
        .size:           4
        .value_kind:     by_value
    .group_segment_fixed_size: 5248
    .kernarg_segment_align: 8
    .kernarg_segment_size: 140
    .language:       OpenCL C
    .language_version:
      - 2
      - 0
    .max_flat_workgroup_size: 128
    .name:           _ZL50rocblas_symv_kernel_lower_double_buffered_diagonalILi32ELi4E24rocblas_internal_val_ptrIfEPKfPfEvbiT1_lT2_lllS6_lllS5_lT3_llli
    .private_segment_fixed_size: 0
    .sgpr_count:     40
    .sgpr_spill_count: 0
    .symbol:         _ZL50rocblas_symv_kernel_lower_double_buffered_diagonalILi32ELi4E24rocblas_internal_val_ptrIfEPKfPfEvbiT1_lT2_lllS6_lllS5_lT3_llli.kd
    .uniform_work_group_size: 1
    .uses_dynamic_stack: false
    .vgpr_count:     22
    .vgpr_spill_count: 0
    .wavefront_size: 64
  - .agpr_count:     0
    .args:
      - .offset:         0
        .size:           1
        .value_kind:     by_value
      - .offset:         4
        .size:           4
        .value_kind:     by_value
      - .offset:         8
        .size:           8
        .value_kind:     by_value
      - .offset:         16
        .size:           8
        .value_kind:     by_value
      - .address_space:  global
        .offset:         24
        .size:           8
        .value_kind:     global_buffer
      - .offset:         32
        .size:           8
        .value_kind:     by_value
      - .offset:         40
        .size:           8
        .value_kind:     by_value
      - .offset:         48
        .size:           8
        .value_kind:     by_value
      - .address_space:  global
        .offset:         56
        .size:           8
        .value_kind:     global_buffer
      - .offset:         64
        .size:           8
        .value_kind:     by_value
      - .offset:         72
        .size:           8
        .value_kind:     by_value
      - .offset:         80
        .size:           8
        .value_kind:     by_value
      - .address_space:  global
        .offset:         88
        .size:           8
        .value_kind:     global_buffer
      - .offset:         96
        .size:           8
        .value_kind:     by_value
      - .offset:         104
        .size:           8
        .value_kind:     by_value
      - .offset:         112
        .size:           8
        .value_kind:     by_value
      - .offset:         120
        .size:           4
        .value_kind:     by_value
      - .offset:         128
        .size:           4
        .value_kind:     hidden_block_count_x
      - .offset:         132
        .size:           4
        .value_kind:     hidden_block_count_y
      - .offset:         136
        .size:           4
        .value_kind:     hidden_block_count_z
      - .offset:         140
        .size:           2
        .value_kind:     hidden_group_size_x
      - .offset:         142
        .size:           2
        .value_kind:     hidden_group_size_y
      - .offset:         144
        .size:           2
        .value_kind:     hidden_group_size_z
      - .offset:         146
        .size:           2
        .value_kind:     hidden_remainder_x
      - .offset:         148
        .size:           2
        .value_kind:     hidden_remainder_y
      - .offset:         150
        .size:           2
        .value_kind:     hidden_remainder_z
      - .offset:         168
        .size:           8
        .value_kind:     hidden_global_offset_x
      - .offset:         176
        .size:           8
        .value_kind:     hidden_global_offset_y
      - .offset:         184
        .size:           8
        .value_kind:     hidden_global_offset_z
      - .offset:         192
        .size:           2
        .value_kind:     hidden_grid_dims
    .group_segment_fixed_size: 3200
    .kernarg_segment_align: 8
    .kernarg_segment_size: 384
    .language:       OpenCL C
    .language_version:
      - 2
      - 0
    .max_flat_workgroup_size: 128
    .name:           _ZL54rocblas_symv_kernel_lower_double_buffered_non_diagonalILi32ELi4ELi4E24rocblas_internal_val_ptrIfEPKfPfEvbiT2_lT3_lllS6_lllT4_llli
    .private_segment_fixed_size: 0
    .sgpr_count:     46
    .sgpr_spill_count: 0
    .symbol:         _ZL54rocblas_symv_kernel_lower_double_buffered_non_diagonalILi32ELi4ELi4E24rocblas_internal_val_ptrIfEPKfPfEvbiT2_lT3_lllS6_lllT4_llli.kd
    .uniform_work_group_size: 1
    .uses_dynamic_stack: false
    .vgpr_count:     54
    .vgpr_spill_count: 0
    .wavefront_size: 64
  - .agpr_count:     0
    .args:
      - .offset:         0
        .size:           1
        .value_kind:     by_value
      - .offset:         4
        .size:           4
        .value_kind:     by_value
      - .offset:         8
        .size:           8
        .value_kind:     by_value
      - .offset:         16
        .size:           8
        .value_kind:     by_value
      - .address_space:  global
        .offset:         24
        .size:           8
        .value_kind:     global_buffer
      - .offset:         32
        .size:           8
        .value_kind:     by_value
      - .offset:         40
        .size:           8
        .value_kind:     by_value
      - .offset:         48
        .size:           8
        .value_kind:     by_value
      - .address_space:  global
        .offset:         56
        .size:           8
        .value_kind:     global_buffer
      - .offset:         64
        .size:           8
        .value_kind:     by_value
      - .offset:         72
        .size:           8
        .value_kind:     by_value
      - .offset:         80
        .size:           8
        .value_kind:     by_value
      - .offset:         88
        .size:           8
        .value_kind:     by_value
      - .offset:         96
        .size:           8
        .value_kind:     by_value
      - .address_space:  global
        .offset:         104
        .size:           8
        .value_kind:     global_buffer
      - .offset:         112
        .size:           8
        .value_kind:     by_value
      - .offset:         120
        .size:           8
        .value_kind:     by_value
      - .offset:         128
        .size:           8
        .value_kind:     by_value
      - .offset:         136
        .size:           4
        .value_kind:     by_value
      - .offset:         140
        .size:           4
        .value_kind:     by_value
      - .offset:         144
        .size:           4
        .value_kind:     hidden_block_count_x
      - .offset:         148
        .size:           4
        .value_kind:     hidden_block_count_y
      - .offset:         152
        .size:           4
        .value_kind:     hidden_block_count_z
      - .offset:         156
        .size:           2
        .value_kind:     hidden_group_size_x
      - .offset:         158
        .size:           2
        .value_kind:     hidden_group_size_y
      - .offset:         160
        .size:           2
        .value_kind:     hidden_group_size_z
      - .offset:         162
        .size:           2
        .value_kind:     hidden_remainder_x
      - .offset:         164
        .size:           2
        .value_kind:     hidden_remainder_y
      - .offset:         166
        .size:           2
        .value_kind:     hidden_remainder_z
      - .offset:         184
        .size:           8
        .value_kind:     hidden_global_offset_x
      - .offset:         192
        .size:           8
        .value_kind:     hidden_global_offset_y
      - .offset:         200
        .size:           8
        .value_kind:     hidden_global_offset_z
      - .offset:         208
        .size:           2
        .value_kind:     hidden_grid_dims
    .group_segment_fixed_size: 5248
    .kernarg_segment_align: 8
    .kernarg_segment_size: 400
    .language:       OpenCL C
    .language_version:
      - 2
      - 0
    .max_flat_workgroup_size: 128
    .name:           _ZL58rocblas_symv_kernel_lower_double_buffered_diagonal_genericILi32ELi4E24rocblas_internal_val_ptrIfEPKfPfEvbiT1_lT2_lllS6_lllS5_lT3_lllii
    .private_segment_fixed_size: 0
    .sgpr_count:     50
    .sgpr_spill_count: 0
    .symbol:         _ZL58rocblas_symv_kernel_lower_double_buffered_diagonal_genericILi32ELi4E24rocblas_internal_val_ptrIfEPKfPfEvbiT1_lT2_lllS6_lllS5_lT3_lllii.kd
    .uniform_work_group_size: 1
    .uses_dynamic_stack: false
    .vgpr_count:     22
    .vgpr_spill_count: 0
    .wavefront_size: 64
  - .agpr_count:     0
    .args:
      - .offset:         0
        .size:           1
        .value_kind:     by_value
      - .offset:         4
        .size:           4
        .value_kind:     by_value
      - .offset:         8
        .size:           8
        .value_kind:     by_value
      - .offset:         16
        .size:           8
        .value_kind:     by_value
      - .address_space:  global
        .offset:         24
        .size:           8
        .value_kind:     global_buffer
      - .offset:         32
        .size:           8
        .value_kind:     by_value
      - .offset:         40
        .size:           8
        .value_kind:     by_value
      - .offset:         48
        .size:           8
        .value_kind:     by_value
      - .address_space:  global
        .offset:         56
        .size:           8
        .value_kind:     global_buffer
      - .offset:         64
        .size:           8
        .value_kind:     by_value
      - .offset:         72
        .size:           8
        .value_kind:     by_value
      - .offset:         80
        .size:           8
        .value_kind:     by_value
      - .address_space:  global
        .offset:         88
        .size:           8
        .value_kind:     global_buffer
      - .offset:         96
        .size:           8
        .value_kind:     by_value
      - .offset:         104
        .size:           8
        .value_kind:     by_value
      - .offset:         112
        .size:           8
        .value_kind:     by_value
      - .offset:         120
        .size:           4
        .value_kind:     by_value
      - .offset:         124
        .size:           4
        .value_kind:     by_value
      - .offset:         128
        .size:           4
        .value_kind:     hidden_block_count_x
      - .offset:         132
        .size:           4
        .value_kind:     hidden_block_count_y
      - .offset:         136
        .size:           4
        .value_kind:     hidden_block_count_z
      - .offset:         140
        .size:           2
        .value_kind:     hidden_group_size_x
      - .offset:         142
        .size:           2
        .value_kind:     hidden_group_size_y
      - .offset:         144
        .size:           2
        .value_kind:     hidden_group_size_z
      - .offset:         146
        .size:           2
        .value_kind:     hidden_remainder_x
      - .offset:         148
        .size:           2
        .value_kind:     hidden_remainder_y
      - .offset:         150
        .size:           2
        .value_kind:     hidden_remainder_z
      - .offset:         168
        .size:           8
        .value_kind:     hidden_global_offset_x
      - .offset:         176
        .size:           8
        .value_kind:     hidden_global_offset_y
      - .offset:         184
        .size:           8
        .value_kind:     hidden_global_offset_z
      - .offset:         192
        .size:           2
        .value_kind:     hidden_grid_dims
    .group_segment_fixed_size: 3200
    .kernarg_segment_align: 8
    .kernarg_segment_size: 384
    .language:       OpenCL C
    .language_version:
      - 2
      - 0
    .max_flat_workgroup_size: 128
    .name:           _ZL62rocblas_symv_kernel_lower_double_buffered_non_diagonal_genericILi32ELi4ELi4E24rocblas_internal_val_ptrIfEPKfPfEvbiT2_lT3_lllS6_lllT4_lllii
    .private_segment_fixed_size: 0
    .sgpr_count:     48
    .sgpr_spill_count: 0
    .symbol:         _ZL62rocblas_symv_kernel_lower_double_buffered_non_diagonal_genericILi32ELi4ELi4E24rocblas_internal_val_ptrIfEPKfPfEvbiT2_lT3_lllS6_lllT4_lllii.kd
    .uniform_work_group_size: 1
    .uses_dynamic_stack: false
    .vgpr_count:     57
    .vgpr_spill_count: 0
    .wavefront_size: 64
  - .agpr_count:     0
    .args:
      - .offset:         0
        .size:           4
        .value_kind:     by_value
      - .address_space:  global
        .offset:         8
        .size:           8
        .value_kind:     global_buffer
      - .offset:         16
        .size:           8
        .value_kind:     by_value
      - .address_space:  global
        .offset:         24
        .size:           8
        .value_kind:     global_buffer
      - .offset:         32
        .size:           8
        .value_kind:     by_value
      - .offset:         40
        .size:           8
        .value_kind:     by_value
      - .offset:         48
        .size:           8
        .value_kind:     by_value
      - .address_space:  global
        .offset:         56
        .size:           8
        .value_kind:     global_buffer
      - .offset:         64
        .size:           8
        .value_kind:     by_value
      - .offset:         72
        .size:           8
        .value_kind:     by_value
      - .offset:         80
        .size:           8
        .value_kind:     by_value
      - .address_space:  global
        .offset:         88
        .size:           8
        .value_kind:     global_buffer
      - .offset:         96
        .size:           8
        .value_kind:     by_value
      - .address_space:  global
        .offset:         104
        .size:           8
        .value_kind:     global_buffer
      - .offset:         112
        .size:           4
        .value_kind:     by_value
      - .offset:         120
        .size:           4
        .value_kind:     hidden_block_count_x
      - .offset:         124
        .size:           4
        .value_kind:     hidden_block_count_y
      - .offset:         128
        .size:           4
        .value_kind:     hidden_block_count_z
      - .offset:         132
        .size:           2
        .value_kind:     hidden_group_size_x
      - .offset:         134
        .size:           2
        .value_kind:     hidden_group_size_y
      - .offset:         136
        .size:           2
        .value_kind:     hidden_group_size_z
      - .offset:         138
        .size:           2
        .value_kind:     hidden_remainder_x
      - .offset:         140
        .size:           2
        .value_kind:     hidden_remainder_y
      - .offset:         142
        .size:           2
        .value_kind:     hidden_remainder_z
      - .offset:         160
        .size:           8
        .value_kind:     hidden_global_offset_x
      - .offset:         168
        .size:           8
        .value_kind:     hidden_global_offset_y
      - .offset:         176
        .size:           8
        .value_kind:     hidden_global_offset_z
      - .offset:         184
        .size:           2
        .value_kind:     hidden_grid_dims
    .group_segment_fixed_size: 4800
    .kernarg_segment_align: 8
    .kernarg_segment_size: 376
    .language:       OpenCL C
    .language_version:
      - 2
      - 0
    .max_flat_workgroup_size: 256
    .name:           _ZL26rocblas_hemvn_kernel_lowerILb0ELi64ELi4ELi33ELi32ELi16ElPKfS1_PfEviT6_lT7_lT5_lS4_lS5_lS3_lT8_i
    .private_segment_fixed_size: 0
    .sgpr_count:     56
    .sgpr_spill_count: 0
    .symbol:         _ZL26rocblas_hemvn_kernel_lowerILb0ELi64ELi4ELi33ELi32ELi16ElPKfS1_PfEviT6_lT7_lT5_lS4_lS5_lS3_lT8_i.kd
    .uniform_work_group_size: 1
    .uses_dynamic_stack: false
    .vgpr_count:     66
    .vgpr_spill_count: 0
    .wavefront_size: 64
  - .agpr_count:     0
    .args:
      - .offset:         0
        .size:           4
        .value_kind:     by_value
      - .address_space:  global
        .offset:         8
        .size:           8
        .value_kind:     global_buffer
      - .offset:         16
        .size:           8
        .value_kind:     by_value
      - .address_space:  global
        .offset:         24
        .size:           8
        .value_kind:     global_buffer
      - .offset:         32
        .size:           8
        .value_kind:     by_value
      - .address_space:  global
        .offset:         40
        .size:           8
        .value_kind:     global_buffer
      - .offset:         48
        .size:           8
        .value_kind:     by_value
      - .offset:         56
        .size:           8
        .value_kind:     by_value
      - .offset:         64
        .size:           8
        .value_kind:     by_value
      - .actual_access:  read_only
        .address_space:  global
        .offset:         72
        .size:           8
        .value_kind:     global_buffer
      - .offset:         80
        .size:           4
        .value_kind:     by_value
      - .offset:         88
        .size:           4
        .value_kind:     hidden_block_count_x
      - .offset:         92
        .size:           4
        .value_kind:     hidden_block_count_y
      - .offset:         96
        .size:           4
        .value_kind:     hidden_block_count_z
      - .offset:         100
        .size:           2
        .value_kind:     hidden_group_size_x
      - .offset:         102
        .size:           2
        .value_kind:     hidden_group_size_y
      - .offset:         104
        .size:           2
        .value_kind:     hidden_group_size_z
      - .offset:         106
        .size:           2
        .value_kind:     hidden_remainder_x
      - .offset:         108
        .size:           2
        .value_kind:     hidden_remainder_y
      - .offset:         110
        .size:           2
        .value_kind:     hidden_remainder_z
      - .offset:         128
        .size:           8
        .value_kind:     hidden_global_offset_x
      - .offset:         136
        .size:           8
        .value_kind:     hidden_global_offset_y
      - .offset:         144
        .size:           8
        .value_kind:     hidden_global_offset_z
      - .offset:         152
        .size:           2
        .value_kind:     hidden_grid_dims
    .group_segment_fixed_size: 0
    .kernarg_segment_align: 8
    .kernarg_segment_size: 344
    .language:       OpenCL C
    .language_version:
      - 2
      - 0
    .max_flat_workgroup_size: 64
    .name:           _ZL36rocblas_hemvn_kernel_lower_block_sumILi64ElPKfPffEviT1_lS3_lT2_lT0_lPT3_i
    .private_segment_fixed_size: 0
    .sgpr_count:     26
    .sgpr_spill_count: 0
    .symbol:         _ZL36rocblas_hemvn_kernel_lower_block_sumILi64ElPKfPffEviT1_lS3_lT2_lT0_lPT3_i.kd
    .uniform_work_group_size: 1
    .uses_dynamic_stack: false
    .vgpr_count:     7
    .vgpr_spill_count: 0
    .wavefront_size: 64
  - .agpr_count:     0
    .args:
      - .offset:         0
        .size:           4
        .value_kind:     by_value
      - .address_space:  global
        .offset:         8
        .size:           8
        .value_kind:     global_buffer
      - .offset:         16
        .size:           8
        .value_kind:     by_value
      - .address_space:  global
        .offset:         24
        .size:           8
        .value_kind:     global_buffer
      - .offset:         32
        .size:           8
        .value_kind:     by_value
      - .offset:         40
        .size:           4
        .value_kind:     by_value
      - .offset:         48
        .size:           8
        .value_kind:     by_value
      - .address_space:  global
        .offset:         56
        .size:           8
        .value_kind:     global_buffer
      - .offset:         64
        .size:           8
        .value_kind:     by_value
      - .offset:         72
        .size:           4
        .value_kind:     by_value
      - .offset:         80
        .size:           8
        .value_kind:     by_value
      - .address_space:  global
        .offset:         88
        .size:           8
        .value_kind:     global_buffer
      - .offset:         96
        .size:           8
        .value_kind:     by_value
      - .address_space:  global
        .offset:         104
        .size:           8
        .value_kind:     global_buffer
      - .offset:         112
        .size:           4
        .value_kind:     by_value
      - .offset:         120
        .size:           4
        .value_kind:     hidden_block_count_x
      - .offset:         124
        .size:           4
        .value_kind:     hidden_block_count_y
      - .offset:         128
        .size:           4
        .value_kind:     hidden_block_count_z
      - .offset:         132
        .size:           2
        .value_kind:     hidden_group_size_x
      - .offset:         134
        .size:           2
        .value_kind:     hidden_group_size_y
      - .offset:         136
        .size:           2
        .value_kind:     hidden_group_size_z
      - .offset:         138
        .size:           2
        .value_kind:     hidden_remainder_x
      - .offset:         140
        .size:           2
        .value_kind:     hidden_remainder_y
      - .offset:         142
        .size:           2
        .value_kind:     hidden_remainder_z
      - .offset:         160
        .size:           8
        .value_kind:     hidden_global_offset_x
      - .offset:         168
        .size:           8
        .value_kind:     hidden_global_offset_y
      - .offset:         176
        .size:           8
        .value_kind:     hidden_global_offset_z
      - .offset:         184
        .size:           2
        .value_kind:     hidden_grid_dims
    .group_segment_fixed_size: 4800
    .kernarg_segment_align: 8
    .kernarg_segment_size: 376
    .language:       OpenCL C
    .language_version:
      - 2
      - 0
    .max_flat_workgroup_size: 256
    .name:           _ZL26rocblas_hemvn_kernel_lowerILb0ELi64ELi4ELi33ELi32ELi16EiPKfS1_PfEviT6_lT7_lT5_lS4_lS5_lS3_lT8_i
    .private_segment_fixed_size: 0
    .sgpr_count:     54
    .sgpr_spill_count: 0
    .symbol:         _ZL26rocblas_hemvn_kernel_lowerILb0ELi64ELi4ELi33ELi32ELi16EiPKfS1_PfEviT6_lT7_lT5_lS4_lS5_lS3_lT8_i.kd
    .uniform_work_group_size: 1
    .uses_dynamic_stack: false
    .vgpr_count:     66
    .vgpr_spill_count: 0
    .wavefront_size: 64
  - .agpr_count:     0
    .args:
      - .offset:         0
        .size:           4
        .value_kind:     by_value
      - .address_space:  global
        .offset:         8
        .size:           8
        .value_kind:     global_buffer
      - .offset:         16
        .size:           8
        .value_kind:     by_value
      - .address_space:  global
        .offset:         24
        .size:           8
        .value_kind:     global_buffer
      - .offset:         32
        .size:           8
        .value_kind:     by_value
      - .address_space:  global
        .offset:         40
        .size:           8
        .value_kind:     global_buffer
      - .offset:         48
        .size:           8
        .value_kind:     by_value
      - .offset:         56
        .size:           4
        .value_kind:     by_value
      - .offset:         64
        .size:           8
        .value_kind:     by_value
      - .actual_access:  read_only
        .address_space:  global
        .offset:         72
        .size:           8
        .value_kind:     global_buffer
      - .offset:         80
        .size:           4
        .value_kind:     by_value
      - .offset:         88
        .size:           4
        .value_kind:     hidden_block_count_x
      - .offset:         92
        .size:           4
        .value_kind:     hidden_block_count_y
      - .offset:         96
        .size:           4
        .value_kind:     hidden_block_count_z
      - .offset:         100
        .size:           2
        .value_kind:     hidden_group_size_x
      - .offset:         102
        .size:           2
        .value_kind:     hidden_group_size_y
      - .offset:         104
        .size:           2
        .value_kind:     hidden_group_size_z
      - .offset:         106
        .size:           2
        .value_kind:     hidden_remainder_x
      - .offset:         108
        .size:           2
        .value_kind:     hidden_remainder_y
      - .offset:         110
        .size:           2
        .value_kind:     hidden_remainder_z
      - .offset:         128
        .size:           8
        .value_kind:     hidden_global_offset_x
      - .offset:         136
        .size:           8
        .value_kind:     hidden_global_offset_y
      - .offset:         144
        .size:           8
        .value_kind:     hidden_global_offset_z
      - .offset:         152
        .size:           2
        .value_kind:     hidden_grid_dims
    .group_segment_fixed_size: 0
    .kernarg_segment_align: 8
    .kernarg_segment_size: 344
    .language:       OpenCL C
    .language_version:
      - 2
      - 0
    .max_flat_workgroup_size: 64
    .name:           _ZL36rocblas_hemvn_kernel_lower_block_sumILi64EiPKfPffEviT1_lS3_lT2_lT0_lPT3_i
    .private_segment_fixed_size: 0
    .sgpr_count:     25
    .sgpr_spill_count: 0
    .symbol:         _ZL36rocblas_hemvn_kernel_lower_block_sumILi64EiPKfPffEviT1_lS3_lT2_lT0_lPT3_i.kd
    .uniform_work_group_size: 1
    .uses_dynamic_stack: false
    .vgpr_count:     6
    .vgpr_spill_count: 0
    .wavefront_size: 64
  - .agpr_count:     0
    .args:
      - .offset:         0
        .size:           4
        .value_kind:     by_value
      - .offset:         4
        .size:           4
        .value_kind:     by_value
      - .offset:         8
        .size:           8
        .value_kind:     by_value
      - .address_space:  global
        .offset:         16
        .size:           8
        .value_kind:     global_buffer
      - .offset:         24
        .size:           8
        .value_kind:     by_value
      - .offset:         32
        .size:           8
        .value_kind:     by_value
      - .offset:         40
        .size:           8
        .value_kind:     by_value
      - .address_space:  global
        .offset:         48
        .size:           8
        .value_kind:     global_buffer
      - .offset:         56
        .size:           8
        .value_kind:     by_value
      - .offset:         64
        .size:           8
        .value_kind:     by_value
      - .offset:         72
        .size:           8
        .value_kind:     by_value
      - .offset:         80
        .size:           4
        .value_kind:     by_value
      - .offset:         88
        .size:           8
        .value_kind:     by_value
      - .address_space:  global
        .offset:         96
        .size:           8
        .value_kind:     global_buffer
      - .offset:         104
        .size:           4
        .value_kind:     by_value
      - .offset:         112
        .size:           4
        .value_kind:     hidden_block_count_x
      - .offset:         116
        .size:           4
        .value_kind:     hidden_block_count_y
      - .offset:         120
        .size:           4
        .value_kind:     hidden_block_count_z
      - .offset:         124
        .size:           2
        .value_kind:     hidden_group_size_x
      - .offset:         126
        .size:           2
        .value_kind:     hidden_group_size_y
      - .offset:         128
        .size:           2
        .value_kind:     hidden_group_size_z
      - .offset:         130
        .size:           2
        .value_kind:     hidden_remainder_x
      - .offset:         132
        .size:           2
        .value_kind:     hidden_remainder_y
      - .offset:         134
        .size:           2
        .value_kind:     hidden_remainder_z
      - .offset:         152
        .size:           8
        .value_kind:     hidden_global_offset_x
      - .offset:         160
        .size:           8
        .value_kind:     hidden_global_offset_y
      - .offset:         168
        .size:           8
        .value_kind:     hidden_global_offset_z
      - .offset:         176
        .size:           2
        .value_kind:     hidden_grid_dims
    .group_segment_fixed_size: 4800
    .kernarg_segment_align: 8
    .kernarg_segment_size: 368
    .language:       OpenCL C
    .language_version:
      - 2
      - 0
    .max_flat_workgroup_size: 256
    .name:           _ZL26rocblas_hemvn_kernel_lowerILb0ELi64ELi4ELi33ELi32ELi16ElfPKfPfEviT6_lT7_lT5_lS4_lS5_lS3_lT8_i
    .private_segment_fixed_size: 0
    .sgpr_count:     58
    .sgpr_spill_count: 0
    .symbol:         _ZL26rocblas_hemvn_kernel_lowerILb0ELi64ELi4ELi33ELi32ELi16ElfPKfPfEviT6_lT7_lT5_lS4_lS5_lS3_lT8_i.kd
    .uniform_work_group_size: 1
    .uses_dynamic_stack: false
    .vgpr_count:     68
    .vgpr_spill_count: 0
    .wavefront_size: 64
  - .agpr_count:     0
    .args:
      - .offset:         0
        .size:           4
        .value_kind:     by_value
      - .offset:         4
        .size:           4
        .value_kind:     by_value
      - .offset:         8
        .size:           8
        .value_kind:     by_value
      - .offset:         16
        .size:           4
        .value_kind:     by_value
      - .offset:         24
        .size:           8
        .value_kind:     by_value
      - .address_space:  global
        .offset:         32
        .size:           8
        .value_kind:     global_buffer
      - .offset:         40
        .size:           8
        .value_kind:     by_value
      - .offset:         48
        .size:           8
        .value_kind:     by_value
      - .offset:         56
        .size:           8
        .value_kind:     by_value
      - .actual_access:  read_only
        .address_space:  global
        .offset:         64
        .size:           8
        .value_kind:     global_buffer
      - .offset:         72
        .size:           4
        .value_kind:     by_value
      - .offset:         80
        .size:           4
        .value_kind:     hidden_block_count_x
      - .offset:         84
        .size:           4
        .value_kind:     hidden_block_count_y
      - .offset:         88
        .size:           4
        .value_kind:     hidden_block_count_z
      - .offset:         92
        .size:           2
        .value_kind:     hidden_group_size_x
      - .offset:         94
        .size:           2
        .value_kind:     hidden_group_size_y
      - .offset:         96
        .size:           2
        .value_kind:     hidden_group_size_z
      - .offset:         98
        .size:           2
        .value_kind:     hidden_remainder_x
      - .offset:         100
        .size:           2
        .value_kind:     hidden_remainder_y
      - .offset:         102
        .size:           2
        .value_kind:     hidden_remainder_z
      - .offset:         120
        .size:           8
        .value_kind:     hidden_global_offset_x
      - .offset:         128
        .size:           8
        .value_kind:     hidden_global_offset_y
      - .offset:         136
        .size:           8
        .value_kind:     hidden_global_offset_z
      - .offset:         144
        .size:           2
        .value_kind:     hidden_grid_dims
    .group_segment_fixed_size: 0
    .kernarg_segment_align: 8
    .kernarg_segment_size: 336
    .language:       OpenCL C
    .language_version:
      - 2
      - 0
    .max_flat_workgroup_size: 64
    .name:           _ZL36rocblas_hemvn_kernel_lower_block_sumILi64ElfPffEviT1_lS1_lT2_lT0_lPT3_i
    .private_segment_fixed_size: 0
    .sgpr_count:     28
    .sgpr_spill_count: 0
    .symbol:         _ZL36rocblas_hemvn_kernel_lower_block_sumILi64ElfPffEviT1_lS1_lT2_lT0_lPT3_i.kd
    .uniform_work_group_size: 1
    .uses_dynamic_stack: false
    .vgpr_count:     7
    .vgpr_spill_count: 0
    .wavefront_size: 64
  - .agpr_count:     0
    .args:
      - .offset:         0
        .size:           4
        .value_kind:     by_value
      - .offset:         4
        .size:           4
        .value_kind:     by_value
      - .offset:         8
        .size:           8
        .value_kind:     by_value
      - .address_space:  global
        .offset:         16
        .size:           8
        .value_kind:     global_buffer
      - .offset:         24
        .size:           8
        .value_kind:     by_value
      - .offset:         32
        .size:           4
        .value_kind:     by_value
      - .offset:         40
        .size:           8
        .value_kind:     by_value
      - .address_space:  global
        .offset:         48
        .size:           8
        .value_kind:     global_buffer
      - .offset:         56
        .size:           8
        .value_kind:     by_value
      - .offset:         64
        .size:           4
        .value_kind:     by_value
      - .offset:         72
        .size:           8
        .value_kind:     by_value
      - .offset:         80
        .size:           4
        .value_kind:     by_value
      - .offset:         88
        .size:           8
        .value_kind:     by_value
      - .address_space:  global
        .offset:         96
        .size:           8
        .value_kind:     global_buffer
      - .offset:         104
        .size:           4
        .value_kind:     by_value
      - .offset:         112
        .size:           4
        .value_kind:     hidden_block_count_x
      - .offset:         116
        .size:           4
        .value_kind:     hidden_block_count_y
      - .offset:         120
        .size:           4
        .value_kind:     hidden_block_count_z
      - .offset:         124
        .size:           2
        .value_kind:     hidden_group_size_x
      - .offset:         126
        .size:           2
        .value_kind:     hidden_group_size_y
      - .offset:         128
        .size:           2
        .value_kind:     hidden_group_size_z
      - .offset:         130
        .size:           2
        .value_kind:     hidden_remainder_x
      - .offset:         132
        .size:           2
        .value_kind:     hidden_remainder_y
      - .offset:         134
        .size:           2
        .value_kind:     hidden_remainder_z
      - .offset:         152
        .size:           8
        .value_kind:     hidden_global_offset_x
      - .offset:         160
        .size:           8
        .value_kind:     hidden_global_offset_y
      - .offset:         168
        .size:           8
        .value_kind:     hidden_global_offset_z
      - .offset:         176
        .size:           2
        .value_kind:     hidden_grid_dims
    .group_segment_fixed_size: 4800
    .kernarg_segment_align: 8
    .kernarg_segment_size: 368
    .language:       OpenCL C
    .language_version:
      - 2
      - 0
    .max_flat_workgroup_size: 256
    .name:           _ZL26rocblas_hemvn_kernel_lowerILb0ELi64ELi4ELi33ELi32ELi16EifPKfPfEviT6_lT7_lT5_lS4_lS5_lS3_lT8_i
    .private_segment_fixed_size: 0
    .sgpr_count:     54
    .sgpr_spill_count: 0
    .symbol:         _ZL26rocblas_hemvn_kernel_lowerILb0ELi64ELi4ELi33ELi32ELi16EifPKfPfEviT6_lT7_lT5_lS4_lS5_lS3_lT8_i.kd
    .uniform_work_group_size: 1
    .uses_dynamic_stack: false
    .vgpr_count:     66
    .vgpr_spill_count: 0
    .wavefront_size: 64
  - .agpr_count:     0
    .args:
      - .offset:         0
        .size:           4
        .value_kind:     by_value
      - .offset:         4
        .size:           4
        .value_kind:     by_value
      - .offset:         8
        .size:           8
        .value_kind:     by_value
      - .offset:         16
        .size:           4
        .value_kind:     by_value
      - .offset:         24
        .size:           8
        .value_kind:     by_value
      - .address_space:  global
        .offset:         32
        .size:           8
        .value_kind:     global_buffer
      - .offset:         40
        .size:           8
        .value_kind:     by_value
      - .offset:         48
        .size:           4
        .value_kind:     by_value
      - .offset:         56
        .size:           8
        .value_kind:     by_value
      - .actual_access:  read_only
        .address_space:  global
        .offset:         64
        .size:           8
        .value_kind:     global_buffer
      - .offset:         72
        .size:           4
        .value_kind:     by_value
      - .offset:         80
        .size:           4
        .value_kind:     hidden_block_count_x
      - .offset:         84
        .size:           4
        .value_kind:     hidden_block_count_y
      - .offset:         88
        .size:           4
        .value_kind:     hidden_block_count_z
      - .offset:         92
        .size:           2
        .value_kind:     hidden_group_size_x
      - .offset:         94
        .size:           2
        .value_kind:     hidden_group_size_y
      - .offset:         96
        .size:           2
        .value_kind:     hidden_group_size_z
      - .offset:         98
        .size:           2
        .value_kind:     hidden_remainder_x
      - .offset:         100
        .size:           2
        .value_kind:     hidden_remainder_y
      - .offset:         102
        .size:           2
        .value_kind:     hidden_remainder_z
      - .offset:         120
        .size:           8
        .value_kind:     hidden_global_offset_x
      - .offset:         128
        .size:           8
        .value_kind:     hidden_global_offset_y
      - .offset:         136
        .size:           8
        .value_kind:     hidden_global_offset_z
      - .offset:         144
        .size:           2
        .value_kind:     hidden_grid_dims
    .group_segment_fixed_size: 0
    .kernarg_segment_align: 8
    .kernarg_segment_size: 336
    .language:       OpenCL C
    .language_version:
      - 2
      - 0
    .max_flat_workgroup_size: 64
    .name:           _ZL36rocblas_hemvn_kernel_lower_block_sumILi64EifPffEviT1_lS1_lT2_lT0_lPT3_i
    .private_segment_fixed_size: 0
    .sgpr_count:     26
    .sgpr_spill_count: 0
    .symbol:         _ZL36rocblas_hemvn_kernel_lower_block_sumILi64EifPffEviT1_lS1_lT2_lT0_lPT3_i.kd
    .uniform_work_group_size: 1
    .uses_dynamic_stack: false
    .vgpr_count:     6
    .vgpr_spill_count: 0
    .wavefront_size: 64
  - .agpr_count:     0
    .args:
      - .offset:         0
        .size:           1
        .value_kind:     by_value
      - .offset:         4
        .size:           4
        .value_kind:     by_value
      - .offset:         8
        .size:           8
        .value_kind:     by_value
      - .offset:         16
        .size:           8
        .value_kind:     by_value
      - .address_space:  global
        .offset:         24
        .size:           8
        .value_kind:     global_buffer
      - .offset:         32
        .size:           8
        .value_kind:     by_value
      - .offset:         40
        .size:           8
        .value_kind:     by_value
      - .offset:         48
        .size:           8
        .value_kind:     by_value
      - .address_space:  global
        .offset:         56
        .size:           8
        .value_kind:     global_buffer
      - .offset:         64
        .size:           8
        .value_kind:     by_value
      - .offset:         72
        .size:           8
        .value_kind:     by_value
      - .offset:         80
        .size:           8
        .value_kind:     by_value
      - .offset:         88
        .size:           8
        .value_kind:     by_value
      - .offset:         96
        .size:           8
        .value_kind:     by_value
      - .address_space:  global
        .offset:         104
        .size:           8
        .value_kind:     global_buffer
      - .offset:         112
        .size:           8
        .value_kind:     by_value
      - .offset:         120
        .size:           8
        .value_kind:     by_value
      - .offset:         128
        .size:           8
        .value_kind:     by_value
      - .offset:         136
        .size:           4
        .value_kind:     by_value
    .group_segment_fixed_size: 10496
    .kernarg_segment_align: 8
    .kernarg_segment_size: 140
    .language:       OpenCL C
    .language_version:
      - 2
      - 0
    .max_flat_workgroup_size: 128
    .name:           _ZL50rocblas_symv_kernel_upper_double_buffered_diagonalILi32ELi4E24rocblas_internal_val_ptrIdEPKdPdEvbiT1_lT2_lllS6_lllS5_lT3_llli
    .private_segment_fixed_size: 0
    .sgpr_count:     38
    .sgpr_spill_count: 0
    .symbol:         _ZL50rocblas_symv_kernel_upper_double_buffered_diagonalILi32ELi4E24rocblas_internal_val_ptrIdEPKdPdEvbiT1_lT2_lllS6_lllS5_lT3_llli.kd
    .uniform_work_group_size: 1
    .uses_dynamic_stack: false
    .vgpr_count:     34
    .vgpr_spill_count: 0
    .wavefront_size: 64
  - .agpr_count:     0
    .args:
      - .offset:         0
        .size:           1
        .value_kind:     by_value
      - .offset:         4
        .size:           4
        .value_kind:     by_value
      - .offset:         8
        .size:           8
        .value_kind:     by_value
      - .offset:         16
        .size:           8
        .value_kind:     by_value
      - .address_space:  global
        .offset:         24
        .size:           8
        .value_kind:     global_buffer
      - .offset:         32
        .size:           8
        .value_kind:     by_value
      - .offset:         40
        .size:           8
        .value_kind:     by_value
      - .offset:         48
        .size:           8
        .value_kind:     by_value
      - .address_space:  global
        .offset:         56
        .size:           8
        .value_kind:     global_buffer
      - .offset:         64
        .size:           8
        .value_kind:     by_value
      - .offset:         72
        .size:           8
        .value_kind:     by_value
      - .offset:         80
        .size:           8
        .value_kind:     by_value
      - .address_space:  global
        .offset:         88
        .size:           8
        .value_kind:     global_buffer
      - .offset:         96
        .size:           8
        .value_kind:     by_value
      - .offset:         104
        .size:           8
        .value_kind:     by_value
      - .offset:         112
        .size:           8
        .value_kind:     by_value
      - .offset:         120
        .size:           4
        .value_kind:     by_value
      - .offset:         128
        .size:           4
        .value_kind:     hidden_block_count_x
      - .offset:         132
        .size:           4
        .value_kind:     hidden_block_count_y
      - .offset:         136
        .size:           4
        .value_kind:     hidden_block_count_z
      - .offset:         140
        .size:           2
        .value_kind:     hidden_group_size_x
      - .offset:         142
        .size:           2
        .value_kind:     hidden_group_size_y
      - .offset:         144
        .size:           2
        .value_kind:     hidden_group_size_z
      - .offset:         146
        .size:           2
        .value_kind:     hidden_remainder_x
      - .offset:         148
        .size:           2
        .value_kind:     hidden_remainder_y
      - .offset:         150
        .size:           2
        .value_kind:     hidden_remainder_z
      - .offset:         168
        .size:           8
        .value_kind:     hidden_global_offset_x
      - .offset:         176
        .size:           8
        .value_kind:     hidden_global_offset_y
      - .offset:         184
        .size:           8
        .value_kind:     hidden_global_offset_z
      - .offset:         192
        .size:           2
        .value_kind:     hidden_grid_dims
    .group_segment_fixed_size: 6400
    .kernarg_segment_align: 8
    .kernarg_segment_size: 384
    .language:       OpenCL C
    .language_version:
      - 2
      - 0
    .max_flat_workgroup_size: 128
    .name:           _ZL54rocblas_symv_kernel_upper_double_buffered_non_diagonalILi32ELi4ELi4E24rocblas_internal_val_ptrIdEPKdPdEvbiT2_lT3_lllS6_lllT4_llli
    .private_segment_fixed_size: 0
    .sgpr_count:     36
    .sgpr_spill_count: 0
    .symbol:         _ZL54rocblas_symv_kernel_upper_double_buffered_non_diagonalILi32ELi4ELi4E24rocblas_internal_val_ptrIdEPKdPdEvbiT2_lT3_lllS6_lllT4_llli.kd
    .uniform_work_group_size: 1
    .uses_dynamic_stack: false
    .vgpr_count:     81
    .vgpr_spill_count: 0
    .wavefront_size: 64
  - .agpr_count:     0
    .args:
      - .offset:         0
        .size:           1
        .value_kind:     by_value
      - .offset:         4
        .size:           4
        .value_kind:     by_value
      - .offset:         8
        .size:           8
        .value_kind:     by_value
      - .offset:         16
        .size:           8
        .value_kind:     by_value
      - .address_space:  global
        .offset:         24
        .size:           8
        .value_kind:     global_buffer
      - .offset:         32
        .size:           8
        .value_kind:     by_value
      - .offset:         40
        .size:           8
        .value_kind:     by_value
      - .offset:         48
        .size:           8
        .value_kind:     by_value
      - .address_space:  global
        .offset:         56
        .size:           8
        .value_kind:     global_buffer
      - .offset:         64
        .size:           8
        .value_kind:     by_value
      - .offset:         72
        .size:           8
        .value_kind:     by_value
      - .offset:         80
        .size:           8
        .value_kind:     by_value
      - .offset:         88
        .size:           8
        .value_kind:     by_value
      - .offset:         96
        .size:           8
        .value_kind:     by_value
      - .address_space:  global
        .offset:         104
        .size:           8
        .value_kind:     global_buffer
      - .offset:         112
        .size:           8
        .value_kind:     by_value
      - .offset:         120
        .size:           8
        .value_kind:     by_value
      - .offset:         128
        .size:           8
        .value_kind:     by_value
      - .offset:         136
        .size:           4
        .value_kind:     by_value
      - .offset:         140
        .size:           4
        .value_kind:     by_value
      - .offset:         144
        .size:           4
        .value_kind:     hidden_block_count_x
      - .offset:         148
        .size:           4
        .value_kind:     hidden_block_count_y
      - .offset:         152
        .size:           4
        .value_kind:     hidden_block_count_z
      - .offset:         156
        .size:           2
        .value_kind:     hidden_group_size_x
      - .offset:         158
        .size:           2
        .value_kind:     hidden_group_size_y
      - .offset:         160
        .size:           2
        .value_kind:     hidden_group_size_z
      - .offset:         162
        .size:           2
        .value_kind:     hidden_remainder_x
      - .offset:         164
        .size:           2
        .value_kind:     hidden_remainder_y
      - .offset:         166
        .size:           2
        .value_kind:     hidden_remainder_z
      - .offset:         184
        .size:           8
        .value_kind:     hidden_global_offset_x
      - .offset:         192
        .size:           8
        .value_kind:     hidden_global_offset_y
      - .offset:         200
        .size:           8
        .value_kind:     hidden_global_offset_z
      - .offset:         208
        .size:           2
        .value_kind:     hidden_grid_dims
    .group_segment_fixed_size: 12544
    .kernarg_segment_align: 8
    .kernarg_segment_size: 400
    .language:       OpenCL C
    .language_version:
      - 2
      - 0
    .max_flat_workgroup_size: 256
    .name:           _ZL58rocblas_symv_kernel_upper_double_buffered_diagonal_genericILi32ELi8E24rocblas_internal_val_ptrIdEPKdPdEvbiT1_lT2_lllS6_lllS5_lT3_lllii
    .private_segment_fixed_size: 0
    .sgpr_count:     48
    .sgpr_spill_count: 0
    .symbol:         _ZL58rocblas_symv_kernel_upper_double_buffered_diagonal_genericILi32ELi8E24rocblas_internal_val_ptrIdEPKdPdEvbiT1_lT2_lllS6_lllS5_lT3_lllii.kd
    .uniform_work_group_size: 1
    .uses_dynamic_stack: false
    .vgpr_count:     40
    .vgpr_spill_count: 0
    .wavefront_size: 64
  - .agpr_count:     0
    .args:
      - .offset:         0
        .size:           1
        .value_kind:     by_value
      - .offset:         4
        .size:           4
        .value_kind:     by_value
      - .offset:         8
        .size:           8
        .value_kind:     by_value
      - .offset:         16
        .size:           8
        .value_kind:     by_value
      - .address_space:  global
        .offset:         24
        .size:           8
        .value_kind:     global_buffer
      - .offset:         32
        .size:           8
        .value_kind:     by_value
      - .offset:         40
        .size:           8
        .value_kind:     by_value
      - .offset:         48
        .size:           8
        .value_kind:     by_value
      - .address_space:  global
        .offset:         56
        .size:           8
        .value_kind:     global_buffer
      - .offset:         64
        .size:           8
        .value_kind:     by_value
      - .offset:         72
        .size:           8
        .value_kind:     by_value
      - .offset:         80
        .size:           8
        .value_kind:     by_value
      - .address_space:  global
        .offset:         88
        .size:           8
        .value_kind:     global_buffer
      - .offset:         96
        .size:           8
        .value_kind:     by_value
      - .offset:         104
        .size:           8
        .value_kind:     by_value
      - .offset:         112
        .size:           8
        .value_kind:     by_value
      - .offset:         120
        .size:           4
        .value_kind:     by_value
      - .offset:         124
        .size:           4
        .value_kind:     by_value
      - .offset:         128
        .size:           4
        .value_kind:     hidden_block_count_x
      - .offset:         132
        .size:           4
        .value_kind:     hidden_block_count_y
      - .offset:         136
        .size:           4
        .value_kind:     hidden_block_count_z
      - .offset:         140
        .size:           2
        .value_kind:     hidden_group_size_x
      - .offset:         142
        .size:           2
        .value_kind:     hidden_group_size_y
      - .offset:         144
        .size:           2
        .value_kind:     hidden_group_size_z
      - .offset:         146
        .size:           2
        .value_kind:     hidden_remainder_x
      - .offset:         148
        .size:           2
        .value_kind:     hidden_remainder_y
      - .offset:         150
        .size:           2
        .value_kind:     hidden_remainder_z
      - .offset:         168
        .size:           8
        .value_kind:     hidden_global_offset_x
      - .offset:         176
        .size:           8
        .value_kind:     hidden_global_offset_y
      - .offset:         184
        .size:           8
        .value_kind:     hidden_global_offset_z
      - .offset:         192
        .size:           2
        .value_kind:     hidden_grid_dims
    .group_segment_fixed_size: 8448
    .kernarg_segment_align: 8
    .kernarg_segment_size: 384
    .language:       OpenCL C
    .language_version:
      - 2
      - 0
    .max_flat_workgroup_size: 256
    .name:           _ZL62rocblas_symv_kernel_upper_double_buffered_non_diagonal_genericILi32ELi8ELi2ELi0E24rocblas_internal_val_ptrIdEPKdPdEvbiT3_lT4_lllS6_lllT5_lllii
    .private_segment_fixed_size: 0
    .sgpr_count:     44
    .sgpr_spill_count: 0
    .symbol:         _ZL62rocblas_symv_kernel_upper_double_buffered_non_diagonal_genericILi32ELi8ELi2ELi0E24rocblas_internal_val_ptrIdEPKdPdEvbiT3_lT4_lllS6_lllT5_lllii.kd
    .uniform_work_group_size: 1
    .uses_dynamic_stack: false
    .vgpr_count:     62
    .vgpr_spill_count: 0
    .wavefront_size: 64
  - .agpr_count:     0
    .args:
      - .offset:         0
        .size:           1
        .value_kind:     by_value
      - .offset:         4
        .size:           4
        .value_kind:     by_value
      - .offset:         8
        .size:           8
        .value_kind:     by_value
      - .offset:         16
        .size:           8
        .value_kind:     by_value
      - .address_space:  global
        .offset:         24
        .size:           8
        .value_kind:     global_buffer
      - .offset:         32
        .size:           8
        .value_kind:     by_value
      - .offset:         40
        .size:           8
        .value_kind:     by_value
      - .offset:         48
        .size:           8
        .value_kind:     by_value
      - .address_space:  global
        .offset:         56
        .size:           8
        .value_kind:     global_buffer
      - .offset:         64
        .size:           8
        .value_kind:     by_value
      - .offset:         72
        .size:           8
        .value_kind:     by_value
      - .offset:         80
        .size:           8
        .value_kind:     by_value
      - .address_space:  global
        .offset:         88
        .size:           8
        .value_kind:     global_buffer
      - .offset:         96
        .size:           8
        .value_kind:     by_value
      - .offset:         104
        .size:           8
        .value_kind:     by_value
      - .offset:         112
        .size:           8
        .value_kind:     by_value
      - .offset:         120
        .size:           4
        .value_kind:     by_value
      - .offset:         124
        .size:           4
        .value_kind:     by_value
      - .offset:         128
        .size:           4
        .value_kind:     hidden_block_count_x
      - .offset:         132
        .size:           4
        .value_kind:     hidden_block_count_y
      - .offset:         136
        .size:           4
        .value_kind:     hidden_block_count_z
      - .offset:         140
        .size:           2
        .value_kind:     hidden_group_size_x
      - .offset:         142
        .size:           2
        .value_kind:     hidden_group_size_y
      - .offset:         144
        .size:           2
        .value_kind:     hidden_group_size_z
      - .offset:         146
        .size:           2
        .value_kind:     hidden_remainder_x
      - .offset:         148
        .size:           2
        .value_kind:     hidden_remainder_y
      - .offset:         150
        .size:           2
        .value_kind:     hidden_remainder_z
      - .offset:         168
        .size:           8
        .value_kind:     hidden_global_offset_x
      - .offset:         176
        .size:           8
        .value_kind:     hidden_global_offset_y
      - .offset:         184
        .size:           8
        .value_kind:     hidden_global_offset_z
      - .offset:         192
        .size:           2
        .value_kind:     hidden_grid_dims
    .group_segment_fixed_size: 8448
    .kernarg_segment_align: 8
    .kernarg_segment_size: 384
    .language:       OpenCL C
    .language_version:
      - 2
      - 0
    .max_flat_workgroup_size: 256
    .name:           _ZL62rocblas_symv_kernel_upper_double_buffered_non_diagonal_genericILi32ELi8ELi2ELi1E24rocblas_internal_val_ptrIdEPKdPdEvbiT3_lT4_lllS6_lllT5_lllii
    .private_segment_fixed_size: 0
    .sgpr_count:     54
    .sgpr_spill_count: 0
    .symbol:         _ZL62rocblas_symv_kernel_upper_double_buffered_non_diagonal_genericILi32ELi8ELi2ELi1E24rocblas_internal_val_ptrIdEPKdPdEvbiT3_lT4_lllS6_lllT5_lllii.kd
    .uniform_work_group_size: 1
    .uses_dynamic_stack: false
    .vgpr_count:     62
    .vgpr_spill_count: 0
    .wavefront_size: 64
  - .agpr_count:     0
    .args:
      - .offset:         0
        .size:           4
        .value_kind:     by_value
      - .address_space:  global
        .offset:         8
        .size:           8
        .value_kind:     global_buffer
      - .offset:         16
        .size:           8
        .value_kind:     by_value
      - .address_space:  global
        .offset:         24
        .size:           8
        .value_kind:     global_buffer
      - .offset:         32
        .size:           8
        .value_kind:     by_value
      - .offset:         40
        .size:           8
        .value_kind:     by_value
      - .offset:         48
        .size:           8
        .value_kind:     by_value
      - .address_space:  global
        .offset:         56
        .size:           8
        .value_kind:     global_buffer
      - .offset:         64
        .size:           8
        .value_kind:     by_value
      - .offset:         72
        .size:           8
        .value_kind:     by_value
      - .offset:         80
        .size:           8
        .value_kind:     by_value
      - .address_space:  global
        .offset:         88
        .size:           8
        .value_kind:     global_buffer
      - .offset:         96
        .size:           8
        .value_kind:     by_value
      - .address_space:  global
        .offset:         104
        .size:           8
        .value_kind:     global_buffer
      - .offset:         112
        .size:           4
        .value_kind:     by_value
      - .offset:         120
        .size:           4
        .value_kind:     hidden_block_count_x
      - .offset:         124
        .size:           4
        .value_kind:     hidden_block_count_y
      - .offset:         128
        .size:           4
        .value_kind:     hidden_block_count_z
      - .offset:         132
        .size:           2
        .value_kind:     hidden_group_size_x
      - .offset:         134
        .size:           2
        .value_kind:     hidden_group_size_y
      - .offset:         136
        .size:           2
        .value_kind:     hidden_group_size_z
      - .offset:         138
        .size:           2
        .value_kind:     hidden_remainder_x
      - .offset:         140
        .size:           2
        .value_kind:     hidden_remainder_y
      - .offset:         142
        .size:           2
        .value_kind:     hidden_remainder_z
      - .offset:         160
        .size:           8
        .value_kind:     hidden_global_offset_x
      - .offset:         168
        .size:           8
        .value_kind:     hidden_global_offset_y
      - .offset:         176
        .size:           8
        .value_kind:     hidden_global_offset_z
      - .offset:         184
        .size:           2
        .value_kind:     hidden_grid_dims
    .group_segment_fixed_size: 9600
    .kernarg_segment_align: 8
    .kernarg_segment_size: 376
    .language:       OpenCL C
    .language_version:
      - 2
      - 0
    .max_flat_workgroup_size: 256
    .name:           _ZL26rocblas_hemvn_kernel_upperILb0ELi64ELi4ELi33ELi32ELi16ElPKdS1_PdEviT6_lT7_lT5_lS4_lS5_lS3_lT8_i
    .private_segment_fixed_size: 0
    .sgpr_count:     45
    .sgpr_spill_count: 0
    .symbol:         _ZL26rocblas_hemvn_kernel_upperILb0ELi64ELi4ELi33ELi32ELi16ElPKdS1_PdEviT6_lT7_lT5_lS4_lS5_lS3_lT8_i.kd
    .uniform_work_group_size: 1
    .uses_dynamic_stack: false
    .vgpr_count:     154
    .vgpr_spill_count: 0
    .wavefront_size: 64
  - .agpr_count:     0
    .args:
      - .offset:         0
        .size:           4
        .value_kind:     by_value
      - .address_space:  global
        .offset:         8
        .size:           8
        .value_kind:     global_buffer
      - .offset:         16
        .size:           8
        .value_kind:     by_value
      - .address_space:  global
        .offset:         24
        .size:           8
        .value_kind:     global_buffer
      - .offset:         32
        .size:           8
        .value_kind:     by_value
      - .address_space:  global
        .offset:         40
        .size:           8
        .value_kind:     global_buffer
      - .offset:         48
        .size:           8
        .value_kind:     by_value
      - .offset:         56
        .size:           8
        .value_kind:     by_value
      - .offset:         64
        .size:           8
        .value_kind:     by_value
      - .address_space:  global
        .offset:         72
        .size:           8
        .value_kind:     global_buffer
      - .offset:         80
        .size:           4
        .value_kind:     by_value
      - .offset:         88
        .size:           4
        .value_kind:     hidden_block_count_x
      - .offset:         92
        .size:           4
        .value_kind:     hidden_block_count_y
      - .offset:         96
        .size:           4
        .value_kind:     hidden_block_count_z
      - .offset:         100
        .size:           2
        .value_kind:     hidden_group_size_x
      - .offset:         102
        .size:           2
        .value_kind:     hidden_group_size_y
      - .offset:         104
        .size:           2
        .value_kind:     hidden_group_size_z
      - .offset:         106
        .size:           2
        .value_kind:     hidden_remainder_x
      - .offset:         108
        .size:           2
        .value_kind:     hidden_remainder_y
      - .offset:         110
        .size:           2
        .value_kind:     hidden_remainder_z
      - .offset:         128
        .size:           8
        .value_kind:     hidden_global_offset_x
      - .offset:         136
        .size:           8
        .value_kind:     hidden_global_offset_y
      - .offset:         144
        .size:           8
        .value_kind:     hidden_global_offset_z
      - .offset:         152
        .size:           2
        .value_kind:     hidden_grid_dims
    .group_segment_fixed_size: 0
    .kernarg_segment_align: 8
    .kernarg_segment_size: 344
    .language:       OpenCL C
    .language_version:
      - 2
      - 0
    .max_flat_workgroup_size: 64
    .name:           _ZL36rocblas_hemvn_kernel_upper_block_sumILi64ElPKdPddEviT1_lS3_lT2_lT0_lPT3_i
    .private_segment_fixed_size: 0
    .sgpr_count:     30
    .sgpr_spill_count: 0
    .symbol:         _ZL36rocblas_hemvn_kernel_upper_block_sumILi64ElPKdPddEviT1_lS3_lT2_lT0_lPT3_i.kd
    .uniform_work_group_size: 1
    .uses_dynamic_stack: false
    .vgpr_count:     9
    .vgpr_spill_count: 0
    .wavefront_size: 64
  - .agpr_count:     0
    .args:
      - .offset:         0
        .size:           4
        .value_kind:     by_value
      - .address_space:  global
        .offset:         8
        .size:           8
        .value_kind:     global_buffer
      - .offset:         16
        .size:           8
        .value_kind:     by_value
      - .address_space:  global
        .offset:         24
        .size:           8
        .value_kind:     global_buffer
      - .offset:         32
        .size:           8
        .value_kind:     by_value
      - .offset:         40
        .size:           4
        .value_kind:     by_value
      - .offset:         48
        .size:           8
        .value_kind:     by_value
      - .address_space:  global
        .offset:         56
        .size:           8
        .value_kind:     global_buffer
      - .offset:         64
        .size:           8
        .value_kind:     by_value
      - .offset:         72
        .size:           4
        .value_kind:     by_value
      - .offset:         80
        .size:           8
        .value_kind:     by_value
      - .address_space:  global
        .offset:         88
        .size:           8
        .value_kind:     global_buffer
      - .offset:         96
        .size:           8
        .value_kind:     by_value
      - .address_space:  global
        .offset:         104
        .size:           8
        .value_kind:     global_buffer
      - .offset:         112
        .size:           4
        .value_kind:     by_value
      - .offset:         120
        .size:           4
        .value_kind:     hidden_block_count_x
      - .offset:         124
        .size:           4
        .value_kind:     hidden_block_count_y
      - .offset:         128
        .size:           4
        .value_kind:     hidden_block_count_z
      - .offset:         132
        .size:           2
        .value_kind:     hidden_group_size_x
      - .offset:         134
        .size:           2
        .value_kind:     hidden_group_size_y
      - .offset:         136
        .size:           2
        .value_kind:     hidden_group_size_z
      - .offset:         138
        .size:           2
        .value_kind:     hidden_remainder_x
      - .offset:         140
        .size:           2
        .value_kind:     hidden_remainder_y
      - .offset:         142
        .size:           2
        .value_kind:     hidden_remainder_z
      - .offset:         160
        .size:           8
        .value_kind:     hidden_global_offset_x
      - .offset:         168
        .size:           8
        .value_kind:     hidden_global_offset_y
      - .offset:         176
        .size:           8
        .value_kind:     hidden_global_offset_z
      - .offset:         184
        .size:           2
        .value_kind:     hidden_grid_dims
    .group_segment_fixed_size: 9600
    .kernarg_segment_align: 8
    .kernarg_segment_size: 376
    .language:       OpenCL C
    .language_version:
      - 2
      - 0
    .max_flat_workgroup_size: 256
    .name:           _ZL26rocblas_hemvn_kernel_upperILb0ELi64ELi4ELi33ELi32ELi16EiPKdS1_PdEviT6_lT7_lT5_lS4_lS5_lS3_lT8_i
    .private_segment_fixed_size: 0
    .sgpr_count:     50
    .sgpr_spill_count: 0
    .symbol:         _ZL26rocblas_hemvn_kernel_upperILb0ELi64ELi4ELi33ELi32ELi16EiPKdS1_PdEviT6_lT7_lT5_lS4_lS5_lS3_lT8_i.kd
    .uniform_work_group_size: 1
    .uses_dynamic_stack: false
    .vgpr_count:     172
    .vgpr_spill_count: 0
    .wavefront_size: 64
  - .agpr_count:     0
    .args:
      - .offset:         0
        .size:           4
        .value_kind:     by_value
      - .address_space:  global
        .offset:         8
        .size:           8
        .value_kind:     global_buffer
      - .offset:         16
        .size:           8
        .value_kind:     by_value
      - .address_space:  global
        .offset:         24
        .size:           8
        .value_kind:     global_buffer
      - .offset:         32
        .size:           8
        .value_kind:     by_value
      - .address_space:  global
        .offset:         40
        .size:           8
        .value_kind:     global_buffer
      - .offset:         48
        .size:           8
        .value_kind:     by_value
      - .offset:         56
        .size:           4
        .value_kind:     by_value
      - .offset:         64
        .size:           8
        .value_kind:     by_value
      - .address_space:  global
        .offset:         72
        .size:           8
        .value_kind:     global_buffer
      - .offset:         80
        .size:           4
        .value_kind:     by_value
      - .offset:         88
        .size:           4
        .value_kind:     hidden_block_count_x
      - .offset:         92
        .size:           4
        .value_kind:     hidden_block_count_y
      - .offset:         96
        .size:           4
        .value_kind:     hidden_block_count_z
      - .offset:         100
        .size:           2
        .value_kind:     hidden_group_size_x
      - .offset:         102
        .size:           2
        .value_kind:     hidden_group_size_y
      - .offset:         104
        .size:           2
        .value_kind:     hidden_group_size_z
      - .offset:         106
        .size:           2
        .value_kind:     hidden_remainder_x
      - .offset:         108
        .size:           2
        .value_kind:     hidden_remainder_y
      - .offset:         110
        .size:           2
        .value_kind:     hidden_remainder_z
      - .offset:         128
        .size:           8
        .value_kind:     hidden_global_offset_x
      - .offset:         136
        .size:           8
        .value_kind:     hidden_global_offset_y
      - .offset:         144
        .size:           8
        .value_kind:     hidden_global_offset_z
      - .offset:         152
        .size:           2
        .value_kind:     hidden_grid_dims
    .group_segment_fixed_size: 0
    .kernarg_segment_align: 8
    .kernarg_segment_size: 344
    .language:       OpenCL C
    .language_version:
      - 2
      - 0
    .max_flat_workgroup_size: 64
    .name:           _ZL36rocblas_hemvn_kernel_upper_block_sumILi64EiPKdPddEviT1_lS3_lT2_lT0_lPT3_i
    .private_segment_fixed_size: 0
    .sgpr_count:     34
    .sgpr_spill_count: 0
    .symbol:         _ZL36rocblas_hemvn_kernel_upper_block_sumILi64EiPKdPddEviT1_lS3_lT2_lT0_lPT3_i.kd
    .uniform_work_group_size: 1
    .uses_dynamic_stack: false
    .vgpr_count:     8
    .vgpr_spill_count: 0
    .wavefront_size: 64
  - .agpr_count:     0
    .args:
      - .offset:         0
        .size:           4
        .value_kind:     by_value
      - .offset:         8
        .size:           8
        .value_kind:     by_value
      - .offset:         16
        .size:           8
        .value_kind:     by_value
      - .address_space:  global
        .offset:         24
        .size:           8
        .value_kind:     global_buffer
      - .offset:         32
        .size:           8
        .value_kind:     by_value
      - .offset:         40
        .size:           8
        .value_kind:     by_value
      - .offset:         48
        .size:           8
        .value_kind:     by_value
      - .address_space:  global
        .offset:         56
        .size:           8
        .value_kind:     global_buffer
      - .offset:         64
        .size:           8
        .value_kind:     by_value
      - .offset:         72
        .size:           8
        .value_kind:     by_value
      - .offset:         80
        .size:           8
        .value_kind:     by_value
      - .offset:         88
        .size:           8
        .value_kind:     by_value
      - .offset:         96
        .size:           8
        .value_kind:     by_value
      - .address_space:  global
        .offset:         104
        .size:           8
        .value_kind:     global_buffer
      - .offset:         112
        .size:           4
        .value_kind:     by_value
      - .offset:         120
        .size:           4
        .value_kind:     hidden_block_count_x
      - .offset:         124
        .size:           4
        .value_kind:     hidden_block_count_y
      - .offset:         128
        .size:           4
        .value_kind:     hidden_block_count_z
      - .offset:         132
        .size:           2
        .value_kind:     hidden_group_size_x
      - .offset:         134
        .size:           2
        .value_kind:     hidden_group_size_y
      - .offset:         136
        .size:           2
        .value_kind:     hidden_group_size_z
      - .offset:         138
        .size:           2
        .value_kind:     hidden_remainder_x
      - .offset:         140
        .size:           2
        .value_kind:     hidden_remainder_y
      - .offset:         142
        .size:           2
        .value_kind:     hidden_remainder_z
      - .offset:         160
        .size:           8
        .value_kind:     hidden_global_offset_x
      - .offset:         168
        .size:           8
        .value_kind:     hidden_global_offset_y
      - .offset:         176
        .size:           8
        .value_kind:     hidden_global_offset_z
      - .offset:         184
        .size:           2
        .value_kind:     hidden_grid_dims
    .group_segment_fixed_size: 9600
    .kernarg_segment_align: 8
    .kernarg_segment_size: 376
    .language:       OpenCL C
    .language_version:
      - 2
      - 0
    .max_flat_workgroup_size: 256
    .name:           _ZL26rocblas_hemvn_kernel_upperILb0ELi64ELi4ELi33ELi32ELi16EldPKdPdEviT6_lT7_lT5_lS4_lS5_lS3_lT8_i
    .private_segment_fixed_size: 0
    .sgpr_count:     45
    .sgpr_spill_count: 0
    .symbol:         _ZL26rocblas_hemvn_kernel_upperILb0ELi64ELi4ELi33ELi32ELi16EldPKdPdEviT6_lT7_lT5_lS4_lS5_lS3_lT8_i.kd
    .uniform_work_group_size: 1
    .uses_dynamic_stack: false
    .vgpr_count:     154
    .vgpr_spill_count: 0
    .wavefront_size: 64
  - .agpr_count:     0
    .args:
      - .offset:         0
        .size:           4
        .value_kind:     by_value
      - .offset:         8
        .size:           8
        .value_kind:     by_value
      - .offset:         16
        .size:           8
        .value_kind:     by_value
      - .offset:         24
        .size:           8
        .value_kind:     by_value
      - .offset:         32
        .size:           8
        .value_kind:     by_value
      - .address_space:  global
        .offset:         40
        .size:           8
        .value_kind:     global_buffer
      - .offset:         48
        .size:           8
        .value_kind:     by_value
      - .offset:         56
        .size:           8
        .value_kind:     by_value
      - .offset:         64
        .size:           8
        .value_kind:     by_value
      - .address_space:  global
        .offset:         72
        .size:           8
        .value_kind:     global_buffer
      - .offset:         80
        .size:           4
        .value_kind:     by_value
      - .offset:         88
        .size:           4
        .value_kind:     hidden_block_count_x
      - .offset:         92
        .size:           4
        .value_kind:     hidden_block_count_y
      - .offset:         96
        .size:           4
        .value_kind:     hidden_block_count_z
      - .offset:         100
        .size:           2
        .value_kind:     hidden_group_size_x
      - .offset:         102
        .size:           2
        .value_kind:     hidden_group_size_y
      - .offset:         104
        .size:           2
        .value_kind:     hidden_group_size_z
      - .offset:         106
        .size:           2
        .value_kind:     hidden_remainder_x
      - .offset:         108
        .size:           2
        .value_kind:     hidden_remainder_y
      - .offset:         110
        .size:           2
        .value_kind:     hidden_remainder_z
      - .offset:         128
        .size:           8
        .value_kind:     hidden_global_offset_x
      - .offset:         136
        .size:           8
        .value_kind:     hidden_global_offset_y
      - .offset:         144
        .size:           8
        .value_kind:     hidden_global_offset_z
      - .offset:         152
        .size:           2
        .value_kind:     hidden_grid_dims
    .group_segment_fixed_size: 0
    .kernarg_segment_align: 8
    .kernarg_segment_size: 344
    .language:       OpenCL C
    .language_version:
      - 2
      - 0
    .max_flat_workgroup_size: 64
    .name:           _ZL36rocblas_hemvn_kernel_upper_block_sumILi64EldPddEviT1_lS1_lT2_lT0_lPT3_i
    .private_segment_fixed_size: 0
    .sgpr_count:     30
    .sgpr_spill_count: 0
    .symbol:         _ZL36rocblas_hemvn_kernel_upper_block_sumILi64EldPddEviT1_lS1_lT2_lT0_lPT3_i.kd
    .uniform_work_group_size: 1
    .uses_dynamic_stack: false
    .vgpr_count:     9
    .vgpr_spill_count: 0
    .wavefront_size: 64
  - .agpr_count:     0
    .args:
      - .offset:         0
        .size:           4
        .value_kind:     by_value
      - .offset:         8
        .size:           8
        .value_kind:     by_value
      - .offset:         16
        .size:           8
        .value_kind:     by_value
      - .address_space:  global
        .offset:         24
        .size:           8
        .value_kind:     global_buffer
      - .offset:         32
        .size:           8
        .value_kind:     by_value
      - .offset:         40
        .size:           4
        .value_kind:     by_value
      - .offset:         48
        .size:           8
        .value_kind:     by_value
      - .address_space:  global
        .offset:         56
        .size:           8
        .value_kind:     global_buffer
      - .offset:         64
        .size:           8
        .value_kind:     by_value
      - .offset:         72
        .size:           4
        .value_kind:     by_value
      - .offset:         80
        .size:           8
        .value_kind:     by_value
      - .offset:         88
        .size:           8
        .value_kind:     by_value
      - .offset:         96
        .size:           8
        .value_kind:     by_value
      - .address_space:  global
        .offset:         104
        .size:           8
        .value_kind:     global_buffer
      - .offset:         112
        .size:           4
        .value_kind:     by_value
      - .offset:         120
        .size:           4
        .value_kind:     hidden_block_count_x
      - .offset:         124
        .size:           4
        .value_kind:     hidden_block_count_y
      - .offset:         128
        .size:           4
        .value_kind:     hidden_block_count_z
      - .offset:         132
        .size:           2
        .value_kind:     hidden_group_size_x
      - .offset:         134
        .size:           2
        .value_kind:     hidden_group_size_y
      - .offset:         136
        .size:           2
        .value_kind:     hidden_group_size_z
      - .offset:         138
        .size:           2
        .value_kind:     hidden_remainder_x
      - .offset:         140
        .size:           2
        .value_kind:     hidden_remainder_y
      - .offset:         142
        .size:           2
        .value_kind:     hidden_remainder_z
      - .offset:         160
        .size:           8
        .value_kind:     hidden_global_offset_x
      - .offset:         168
        .size:           8
        .value_kind:     hidden_global_offset_y
      - .offset:         176
        .size:           8
        .value_kind:     hidden_global_offset_z
      - .offset:         184
        .size:           2
        .value_kind:     hidden_grid_dims
    .group_segment_fixed_size: 9600
    .kernarg_segment_align: 8
    .kernarg_segment_size: 376
    .language:       OpenCL C
    .language_version:
      - 2
      - 0
    .max_flat_workgroup_size: 256
    .name:           _ZL26rocblas_hemvn_kernel_upperILb0ELi64ELi4ELi33ELi32ELi16EidPKdPdEviT6_lT7_lT5_lS4_lS5_lS3_lT8_i
    .private_segment_fixed_size: 0
    .sgpr_count:     50
    .sgpr_spill_count: 0
    .symbol:         _ZL26rocblas_hemvn_kernel_upperILb0ELi64ELi4ELi33ELi32ELi16EidPKdPdEviT6_lT7_lT5_lS4_lS5_lS3_lT8_i.kd
    .uniform_work_group_size: 1
    .uses_dynamic_stack: false
    .vgpr_count:     172
    .vgpr_spill_count: 0
    .wavefront_size: 64
  - .agpr_count:     0
    .args:
      - .offset:         0
        .size:           4
        .value_kind:     by_value
      - .offset:         8
        .size:           8
        .value_kind:     by_value
      - .offset:         16
        .size:           8
        .value_kind:     by_value
      - .offset:         24
        .size:           8
        .value_kind:     by_value
      - .offset:         32
        .size:           8
        .value_kind:     by_value
      - .address_space:  global
        .offset:         40
        .size:           8
        .value_kind:     global_buffer
      - .offset:         48
        .size:           8
        .value_kind:     by_value
      - .offset:         56
        .size:           4
        .value_kind:     by_value
      - .offset:         64
        .size:           8
        .value_kind:     by_value
      - .address_space:  global
        .offset:         72
        .size:           8
        .value_kind:     global_buffer
      - .offset:         80
        .size:           4
        .value_kind:     by_value
      - .offset:         88
        .size:           4
        .value_kind:     hidden_block_count_x
      - .offset:         92
        .size:           4
        .value_kind:     hidden_block_count_y
      - .offset:         96
        .size:           4
        .value_kind:     hidden_block_count_z
      - .offset:         100
        .size:           2
        .value_kind:     hidden_group_size_x
      - .offset:         102
        .size:           2
        .value_kind:     hidden_group_size_y
      - .offset:         104
        .size:           2
        .value_kind:     hidden_group_size_z
      - .offset:         106
        .size:           2
        .value_kind:     hidden_remainder_x
      - .offset:         108
        .size:           2
        .value_kind:     hidden_remainder_y
      - .offset:         110
        .size:           2
        .value_kind:     hidden_remainder_z
      - .offset:         128
        .size:           8
        .value_kind:     hidden_global_offset_x
      - .offset:         136
        .size:           8
        .value_kind:     hidden_global_offset_y
      - .offset:         144
        .size:           8
        .value_kind:     hidden_global_offset_z
      - .offset:         152
        .size:           2
        .value_kind:     hidden_grid_dims
    .group_segment_fixed_size: 0
    .kernarg_segment_align: 8
    .kernarg_segment_size: 344
    .language:       OpenCL C
    .language_version:
      - 2
      - 0
    .max_flat_workgroup_size: 64
    .name:           _ZL36rocblas_hemvn_kernel_upper_block_sumILi64EidPddEviT1_lS1_lT2_lT0_lPT3_i
    .private_segment_fixed_size: 0
    .sgpr_count:     34
    .sgpr_spill_count: 0
    .symbol:         _ZL36rocblas_hemvn_kernel_upper_block_sumILi64EidPddEviT1_lS1_lT2_lT0_lPT3_i.kd
    .uniform_work_group_size: 1
    .uses_dynamic_stack: false
    .vgpr_count:     8
    .vgpr_spill_count: 0
    .wavefront_size: 64
  - .agpr_count:     0
    .args:
      - .offset:         0
        .size:           1
        .value_kind:     by_value
      - .offset:         4
        .size:           4
        .value_kind:     by_value
      - .offset:         8
        .size:           8
        .value_kind:     by_value
      - .offset:         16
        .size:           8
        .value_kind:     by_value
      - .address_space:  global
        .offset:         24
        .size:           8
        .value_kind:     global_buffer
      - .offset:         32
        .size:           8
        .value_kind:     by_value
      - .offset:         40
        .size:           8
        .value_kind:     by_value
      - .offset:         48
        .size:           8
        .value_kind:     by_value
      - .address_space:  global
        .offset:         56
        .size:           8
        .value_kind:     global_buffer
      - .offset:         64
        .size:           8
        .value_kind:     by_value
      - .offset:         72
        .size:           8
        .value_kind:     by_value
      - .offset:         80
        .size:           8
        .value_kind:     by_value
      - .offset:         88
        .size:           8
        .value_kind:     by_value
      - .offset:         96
        .size:           8
        .value_kind:     by_value
      - .address_space:  global
        .offset:         104
        .size:           8
        .value_kind:     global_buffer
      - .offset:         112
        .size:           8
        .value_kind:     by_value
      - .offset:         120
        .size:           8
        .value_kind:     by_value
      - .offset:         128
        .size:           8
        .value_kind:     by_value
      - .offset:         136
        .size:           4
        .value_kind:     by_value
    .group_segment_fixed_size: 10496
    .kernarg_segment_align: 8
    .kernarg_segment_size: 140
    .language:       OpenCL C
    .language_version:
      - 2
      - 0
    .max_flat_workgroup_size: 128
    .name:           _ZL50rocblas_symv_kernel_lower_double_buffered_diagonalILi32ELi4E24rocblas_internal_val_ptrIdEPKdPdEvbiT1_lT2_lllS6_lllS5_lT3_llli
    .private_segment_fixed_size: 0
    .sgpr_count:     38
    .sgpr_spill_count: 0
    .symbol:         _ZL50rocblas_symv_kernel_lower_double_buffered_diagonalILi32ELi4E24rocblas_internal_val_ptrIdEPKdPdEvbiT1_lT2_lllS6_lllS5_lT3_llli.kd
    .uniform_work_group_size: 1
    .uses_dynamic_stack: false
    .vgpr_count:     36
    .vgpr_spill_count: 0
    .wavefront_size: 64
  - .agpr_count:     0
    .args:
      - .offset:         0
        .size:           1
        .value_kind:     by_value
      - .offset:         4
        .size:           4
        .value_kind:     by_value
      - .offset:         8
        .size:           8
        .value_kind:     by_value
      - .offset:         16
        .size:           8
        .value_kind:     by_value
      - .address_space:  global
        .offset:         24
        .size:           8
        .value_kind:     global_buffer
      - .offset:         32
        .size:           8
        .value_kind:     by_value
      - .offset:         40
        .size:           8
        .value_kind:     by_value
      - .offset:         48
        .size:           8
        .value_kind:     by_value
      - .address_space:  global
        .offset:         56
        .size:           8
        .value_kind:     global_buffer
      - .offset:         64
        .size:           8
        .value_kind:     by_value
      - .offset:         72
        .size:           8
        .value_kind:     by_value
      - .offset:         80
        .size:           8
        .value_kind:     by_value
      - .address_space:  global
        .offset:         88
        .size:           8
        .value_kind:     global_buffer
      - .offset:         96
        .size:           8
        .value_kind:     by_value
      - .offset:         104
        .size:           8
        .value_kind:     by_value
      - .offset:         112
        .size:           8
        .value_kind:     by_value
      - .offset:         120
        .size:           4
        .value_kind:     by_value
      - .offset:         128
        .size:           4
        .value_kind:     hidden_block_count_x
      - .offset:         132
        .size:           4
        .value_kind:     hidden_block_count_y
      - .offset:         136
        .size:           4
        .value_kind:     hidden_block_count_z
      - .offset:         140
        .size:           2
        .value_kind:     hidden_group_size_x
      - .offset:         142
        .size:           2
        .value_kind:     hidden_group_size_y
      - .offset:         144
        .size:           2
        .value_kind:     hidden_group_size_z
      - .offset:         146
        .size:           2
        .value_kind:     hidden_remainder_x
      - .offset:         148
        .size:           2
        .value_kind:     hidden_remainder_y
      - .offset:         150
        .size:           2
        .value_kind:     hidden_remainder_z
      - .offset:         168
        .size:           8
        .value_kind:     hidden_global_offset_x
      - .offset:         176
        .size:           8
        .value_kind:     hidden_global_offset_y
      - .offset:         184
        .size:           8
        .value_kind:     hidden_global_offset_z
      - .offset:         192
        .size:           2
        .value_kind:     hidden_grid_dims
    .group_segment_fixed_size: 6400
    .kernarg_segment_align: 8
    .kernarg_segment_size: 384
    .language:       OpenCL C
    .language_version:
      - 2
      - 0
    .max_flat_workgroup_size: 128
    .name:           _ZL54rocblas_symv_kernel_lower_double_buffered_non_diagonalILi32ELi4ELi4E24rocblas_internal_val_ptrIdEPKdPdEvbiT2_lT3_lllS6_lllT4_llli
    .private_segment_fixed_size: 0
    .sgpr_count:     44
    .sgpr_spill_count: 0
    .symbol:         _ZL54rocblas_symv_kernel_lower_double_buffered_non_diagonalILi32ELi4ELi4E24rocblas_internal_val_ptrIdEPKdPdEvbiT2_lT3_lllS6_lllT4_llli.kd
    .uniform_work_group_size: 1
    .uses_dynamic_stack: false
    .vgpr_count:     79
    .vgpr_spill_count: 0
    .wavefront_size: 64
  - .agpr_count:     0
    .args:
      - .offset:         0
        .size:           1
        .value_kind:     by_value
      - .offset:         4
        .size:           4
        .value_kind:     by_value
      - .offset:         8
        .size:           8
        .value_kind:     by_value
      - .offset:         16
        .size:           8
        .value_kind:     by_value
      - .address_space:  global
        .offset:         24
        .size:           8
        .value_kind:     global_buffer
      - .offset:         32
        .size:           8
        .value_kind:     by_value
      - .offset:         40
        .size:           8
        .value_kind:     by_value
      - .offset:         48
        .size:           8
        .value_kind:     by_value
      - .address_space:  global
        .offset:         56
        .size:           8
        .value_kind:     global_buffer
      - .offset:         64
        .size:           8
        .value_kind:     by_value
      - .offset:         72
        .size:           8
        .value_kind:     by_value
      - .offset:         80
        .size:           8
        .value_kind:     by_value
      - .offset:         88
        .size:           8
        .value_kind:     by_value
      - .offset:         96
        .size:           8
        .value_kind:     by_value
      - .address_space:  global
        .offset:         104
        .size:           8
        .value_kind:     global_buffer
      - .offset:         112
        .size:           8
        .value_kind:     by_value
      - .offset:         120
        .size:           8
        .value_kind:     by_value
      - .offset:         128
        .size:           8
        .value_kind:     by_value
      - .offset:         136
        .size:           4
        .value_kind:     by_value
      - .offset:         140
        .size:           4
        .value_kind:     by_value
      - .offset:         144
        .size:           4
        .value_kind:     hidden_block_count_x
      - .offset:         148
        .size:           4
        .value_kind:     hidden_block_count_y
      - .offset:         152
        .size:           4
        .value_kind:     hidden_block_count_z
      - .offset:         156
        .size:           2
        .value_kind:     hidden_group_size_x
      - .offset:         158
        .size:           2
        .value_kind:     hidden_group_size_y
      - .offset:         160
        .size:           2
        .value_kind:     hidden_group_size_z
      - .offset:         162
        .size:           2
        .value_kind:     hidden_remainder_x
      - .offset:         164
        .size:           2
        .value_kind:     hidden_remainder_y
      - .offset:         166
        .size:           2
        .value_kind:     hidden_remainder_z
      - .offset:         184
        .size:           8
        .value_kind:     hidden_global_offset_x
      - .offset:         192
        .size:           8
        .value_kind:     hidden_global_offset_y
      - .offset:         200
        .size:           8
        .value_kind:     hidden_global_offset_z
      - .offset:         208
        .size:           2
        .value_kind:     hidden_grid_dims
    .group_segment_fixed_size: 10496
    .kernarg_segment_align: 8
    .kernarg_segment_size: 400
    .language:       OpenCL C
    .language_version:
      - 2
      - 0
    .max_flat_workgroup_size: 128
    .name:           _ZL58rocblas_symv_kernel_lower_double_buffered_diagonal_genericILi32ELi4E24rocblas_internal_val_ptrIdEPKdPdEvbiT1_lT2_lllS6_lllS5_lT3_lllii
    .private_segment_fixed_size: 0
    .sgpr_count:     44
    .sgpr_spill_count: 0
    .symbol:         _ZL58rocblas_symv_kernel_lower_double_buffered_diagonal_genericILi32ELi4E24rocblas_internal_val_ptrIdEPKdPdEvbiT1_lT2_lllS6_lllS5_lT3_lllii.kd
    .uniform_work_group_size: 1
    .uses_dynamic_stack: false
    .vgpr_count:     40
    .vgpr_spill_count: 0
    .wavefront_size: 64
  - .agpr_count:     0
    .args:
      - .offset:         0
        .size:           1
        .value_kind:     by_value
      - .offset:         4
        .size:           4
        .value_kind:     by_value
      - .offset:         8
        .size:           8
        .value_kind:     by_value
      - .offset:         16
        .size:           8
        .value_kind:     by_value
      - .address_space:  global
        .offset:         24
        .size:           8
        .value_kind:     global_buffer
      - .offset:         32
        .size:           8
        .value_kind:     by_value
      - .offset:         40
        .size:           8
        .value_kind:     by_value
      - .offset:         48
        .size:           8
        .value_kind:     by_value
      - .address_space:  global
        .offset:         56
        .size:           8
        .value_kind:     global_buffer
      - .offset:         64
        .size:           8
        .value_kind:     by_value
      - .offset:         72
        .size:           8
        .value_kind:     by_value
      - .offset:         80
        .size:           8
        .value_kind:     by_value
      - .address_space:  global
        .offset:         88
        .size:           8
        .value_kind:     global_buffer
      - .offset:         96
        .size:           8
        .value_kind:     by_value
      - .offset:         104
        .size:           8
        .value_kind:     by_value
      - .offset:         112
        .size:           8
        .value_kind:     by_value
      - .offset:         120
        .size:           4
        .value_kind:     by_value
      - .offset:         124
        .size:           4
        .value_kind:     by_value
      - .offset:         128
        .size:           4
        .value_kind:     hidden_block_count_x
      - .offset:         132
        .size:           4
        .value_kind:     hidden_block_count_y
      - .offset:         136
        .size:           4
        .value_kind:     hidden_block_count_z
      - .offset:         140
        .size:           2
        .value_kind:     hidden_group_size_x
      - .offset:         142
        .size:           2
        .value_kind:     hidden_group_size_y
      - .offset:         144
        .size:           2
        .value_kind:     hidden_group_size_z
      - .offset:         146
        .size:           2
        .value_kind:     hidden_remainder_x
      - .offset:         148
        .size:           2
        .value_kind:     hidden_remainder_y
      - .offset:         150
        .size:           2
        .value_kind:     hidden_remainder_z
      - .offset:         168
        .size:           8
        .value_kind:     hidden_global_offset_x
      - .offset:         176
        .size:           8
        .value_kind:     hidden_global_offset_y
      - .offset:         184
        .size:           8
        .value_kind:     hidden_global_offset_z
      - .offset:         192
        .size:           2
        .value_kind:     hidden_grid_dims
    .group_segment_fixed_size: 6400
    .kernarg_segment_align: 8
    .kernarg_segment_size: 384
    .language:       OpenCL C
    .language_version:
      - 2
      - 0
    .max_flat_workgroup_size: 128
    .name:           _ZL62rocblas_symv_kernel_lower_double_buffered_non_diagonal_genericILi32ELi4ELi4E24rocblas_internal_val_ptrIdEPKdPdEvbiT2_lT3_lllS6_lllT4_lllii
    .private_segment_fixed_size: 0
    .sgpr_count:     46
    .sgpr_spill_count: 0
    .symbol:         _ZL62rocblas_symv_kernel_lower_double_buffered_non_diagonal_genericILi32ELi4ELi4E24rocblas_internal_val_ptrIdEPKdPdEvbiT2_lT3_lllS6_lllT4_lllii.kd
    .uniform_work_group_size: 1
    .uses_dynamic_stack: false
    .vgpr_count:     82
    .vgpr_spill_count: 0
    .wavefront_size: 64
  - .agpr_count:     0
    .args:
      - .offset:         0
        .size:           4
        .value_kind:     by_value
      - .address_space:  global
        .offset:         8
        .size:           8
        .value_kind:     global_buffer
      - .offset:         16
        .size:           8
        .value_kind:     by_value
      - .address_space:  global
        .offset:         24
        .size:           8
        .value_kind:     global_buffer
      - .offset:         32
        .size:           8
        .value_kind:     by_value
      - .offset:         40
        .size:           8
        .value_kind:     by_value
      - .offset:         48
        .size:           8
        .value_kind:     by_value
      - .address_space:  global
        .offset:         56
        .size:           8
        .value_kind:     global_buffer
      - .offset:         64
        .size:           8
        .value_kind:     by_value
      - .offset:         72
        .size:           8
        .value_kind:     by_value
      - .offset:         80
        .size:           8
        .value_kind:     by_value
      - .address_space:  global
        .offset:         88
        .size:           8
        .value_kind:     global_buffer
      - .offset:         96
        .size:           8
        .value_kind:     by_value
      - .address_space:  global
        .offset:         104
        .size:           8
        .value_kind:     global_buffer
      - .offset:         112
        .size:           4
        .value_kind:     by_value
      - .offset:         120
        .size:           4
        .value_kind:     hidden_block_count_x
      - .offset:         124
        .size:           4
        .value_kind:     hidden_block_count_y
      - .offset:         128
        .size:           4
        .value_kind:     hidden_block_count_z
      - .offset:         132
        .size:           2
        .value_kind:     hidden_group_size_x
      - .offset:         134
        .size:           2
        .value_kind:     hidden_group_size_y
      - .offset:         136
        .size:           2
        .value_kind:     hidden_group_size_z
      - .offset:         138
        .size:           2
        .value_kind:     hidden_remainder_x
      - .offset:         140
        .size:           2
        .value_kind:     hidden_remainder_y
      - .offset:         142
        .size:           2
        .value_kind:     hidden_remainder_z
      - .offset:         160
        .size:           8
        .value_kind:     hidden_global_offset_x
      - .offset:         168
        .size:           8
        .value_kind:     hidden_global_offset_y
      - .offset:         176
        .size:           8
        .value_kind:     hidden_global_offset_z
      - .offset:         184
        .size:           2
        .value_kind:     hidden_grid_dims
    .group_segment_fixed_size: 9600
    .kernarg_segment_align: 8
    .kernarg_segment_size: 376
    .language:       OpenCL C
    .language_version:
      - 2
      - 0
    .max_flat_workgroup_size: 256
    .name:           _ZL26rocblas_hemvn_kernel_lowerILb0ELi64ELi4ELi33ELi32ELi16ElPKdS1_PdEviT6_lT7_lT5_lS4_lS5_lS3_lT8_i
    .private_segment_fixed_size: 0
    .sgpr_count:     56
    .sgpr_spill_count: 0
    .symbol:         _ZL26rocblas_hemvn_kernel_lowerILb0ELi64ELi4ELi33ELi32ELi16ElPKdS1_PdEviT6_lT7_lT5_lS4_lS5_lS3_lT8_i.kd
    .uniform_work_group_size: 1
    .uses_dynamic_stack: false
    .vgpr_count:     110
    .vgpr_spill_count: 0
    .wavefront_size: 64
  - .agpr_count:     0
    .args:
      - .offset:         0
        .size:           4
        .value_kind:     by_value
      - .address_space:  global
        .offset:         8
        .size:           8
        .value_kind:     global_buffer
      - .offset:         16
        .size:           8
        .value_kind:     by_value
      - .address_space:  global
        .offset:         24
        .size:           8
        .value_kind:     global_buffer
      - .offset:         32
        .size:           8
        .value_kind:     by_value
      - .address_space:  global
        .offset:         40
        .size:           8
        .value_kind:     global_buffer
      - .offset:         48
        .size:           8
        .value_kind:     by_value
      - .offset:         56
        .size:           8
        .value_kind:     by_value
      - .offset:         64
        .size:           8
        .value_kind:     by_value
      - .actual_access:  read_only
        .address_space:  global
        .offset:         72
        .size:           8
        .value_kind:     global_buffer
      - .offset:         80
        .size:           4
        .value_kind:     by_value
      - .offset:         88
        .size:           4
        .value_kind:     hidden_block_count_x
      - .offset:         92
        .size:           4
        .value_kind:     hidden_block_count_y
      - .offset:         96
        .size:           4
        .value_kind:     hidden_block_count_z
      - .offset:         100
        .size:           2
        .value_kind:     hidden_group_size_x
      - .offset:         102
        .size:           2
        .value_kind:     hidden_group_size_y
      - .offset:         104
        .size:           2
        .value_kind:     hidden_group_size_z
      - .offset:         106
        .size:           2
        .value_kind:     hidden_remainder_x
      - .offset:         108
        .size:           2
        .value_kind:     hidden_remainder_y
      - .offset:         110
        .size:           2
        .value_kind:     hidden_remainder_z
      - .offset:         128
        .size:           8
        .value_kind:     hidden_global_offset_x
      - .offset:         136
        .size:           8
        .value_kind:     hidden_global_offset_y
      - .offset:         144
        .size:           8
        .value_kind:     hidden_global_offset_z
      - .offset:         152
        .size:           2
        .value_kind:     hidden_grid_dims
    .group_segment_fixed_size: 0
    .kernarg_segment_align: 8
    .kernarg_segment_size: 344
    .language:       OpenCL C
    .language_version:
      - 2
      - 0
    .max_flat_workgroup_size: 64
    .name:           _ZL36rocblas_hemvn_kernel_lower_block_sumILi64ElPKdPddEviT1_lS3_lT2_lT0_lPT3_i
    .private_segment_fixed_size: 0
    .sgpr_count:     28
    .sgpr_spill_count: 0
    .symbol:         _ZL36rocblas_hemvn_kernel_lower_block_sumILi64ElPKdPddEviT1_lS3_lT2_lT0_lPT3_i.kd
    .uniform_work_group_size: 1
    .uses_dynamic_stack: false
    .vgpr_count:     9
    .vgpr_spill_count: 0
    .wavefront_size: 64
  - .agpr_count:     0
    .args:
      - .offset:         0
        .size:           4
        .value_kind:     by_value
      - .address_space:  global
        .offset:         8
        .size:           8
        .value_kind:     global_buffer
      - .offset:         16
        .size:           8
        .value_kind:     by_value
      - .address_space:  global
        .offset:         24
        .size:           8
        .value_kind:     global_buffer
      - .offset:         32
        .size:           8
        .value_kind:     by_value
      - .offset:         40
        .size:           4
        .value_kind:     by_value
      - .offset:         48
        .size:           8
        .value_kind:     by_value
      - .address_space:  global
        .offset:         56
        .size:           8
        .value_kind:     global_buffer
      - .offset:         64
        .size:           8
        .value_kind:     by_value
      - .offset:         72
        .size:           4
        .value_kind:     by_value
      - .offset:         80
        .size:           8
        .value_kind:     by_value
      - .address_space:  global
        .offset:         88
        .size:           8
        .value_kind:     global_buffer
      - .offset:         96
        .size:           8
        .value_kind:     by_value
      - .address_space:  global
        .offset:         104
        .size:           8
        .value_kind:     global_buffer
      - .offset:         112
        .size:           4
        .value_kind:     by_value
      - .offset:         120
        .size:           4
        .value_kind:     hidden_block_count_x
      - .offset:         124
        .size:           4
        .value_kind:     hidden_block_count_y
      - .offset:         128
        .size:           4
        .value_kind:     hidden_block_count_z
      - .offset:         132
        .size:           2
        .value_kind:     hidden_group_size_x
      - .offset:         134
        .size:           2
        .value_kind:     hidden_group_size_y
      - .offset:         136
        .size:           2
        .value_kind:     hidden_group_size_z
      - .offset:         138
        .size:           2
        .value_kind:     hidden_remainder_x
      - .offset:         140
        .size:           2
        .value_kind:     hidden_remainder_y
      - .offset:         142
        .size:           2
        .value_kind:     hidden_remainder_z
      - .offset:         160
        .size:           8
        .value_kind:     hidden_global_offset_x
      - .offset:         168
        .size:           8
        .value_kind:     hidden_global_offset_y
      - .offset:         176
        .size:           8
        .value_kind:     hidden_global_offset_z
      - .offset:         184
        .size:           2
        .value_kind:     hidden_grid_dims
    .group_segment_fixed_size: 9600
    .kernarg_segment_align: 8
    .kernarg_segment_size: 376
    .language:       OpenCL C
    .language_version:
      - 2
      - 0
    .max_flat_workgroup_size: 256
    .name:           _ZL26rocblas_hemvn_kernel_lowerILb0ELi64ELi4ELi33ELi32ELi16EiPKdS1_PdEviT6_lT7_lT5_lS4_lS5_lS3_lT8_i
    .private_segment_fixed_size: 0
    .sgpr_count:     54
    .sgpr_spill_count: 0
    .symbol:         _ZL26rocblas_hemvn_kernel_lowerILb0ELi64ELi4ELi33ELi32ELi16EiPKdS1_PdEviT6_lT7_lT5_lS4_lS5_lS3_lT8_i.kd
    .uniform_work_group_size: 1
    .uses_dynamic_stack: false
    .vgpr_count:     108
    .vgpr_spill_count: 0
    .wavefront_size: 64
  - .agpr_count:     0
    .args:
      - .offset:         0
        .size:           4
        .value_kind:     by_value
      - .address_space:  global
        .offset:         8
        .size:           8
        .value_kind:     global_buffer
      - .offset:         16
        .size:           8
        .value_kind:     by_value
      - .address_space:  global
        .offset:         24
        .size:           8
        .value_kind:     global_buffer
      - .offset:         32
        .size:           8
        .value_kind:     by_value
      - .address_space:  global
        .offset:         40
        .size:           8
        .value_kind:     global_buffer
      - .offset:         48
        .size:           8
        .value_kind:     by_value
      - .offset:         56
        .size:           4
        .value_kind:     by_value
      - .offset:         64
        .size:           8
        .value_kind:     by_value
      - .actual_access:  read_only
        .address_space:  global
        .offset:         72
        .size:           8
        .value_kind:     global_buffer
      - .offset:         80
        .size:           4
        .value_kind:     by_value
      - .offset:         88
        .size:           4
        .value_kind:     hidden_block_count_x
      - .offset:         92
        .size:           4
        .value_kind:     hidden_block_count_y
      - .offset:         96
        .size:           4
        .value_kind:     hidden_block_count_z
      - .offset:         100
        .size:           2
        .value_kind:     hidden_group_size_x
      - .offset:         102
        .size:           2
        .value_kind:     hidden_group_size_y
      - .offset:         104
        .size:           2
        .value_kind:     hidden_group_size_z
      - .offset:         106
        .size:           2
        .value_kind:     hidden_remainder_x
      - .offset:         108
        .size:           2
        .value_kind:     hidden_remainder_y
      - .offset:         110
        .size:           2
        .value_kind:     hidden_remainder_z
      - .offset:         128
        .size:           8
        .value_kind:     hidden_global_offset_x
      - .offset:         136
        .size:           8
        .value_kind:     hidden_global_offset_y
      - .offset:         144
        .size:           8
        .value_kind:     hidden_global_offset_z
      - .offset:         152
        .size:           2
        .value_kind:     hidden_grid_dims
    .group_segment_fixed_size: 0
    .kernarg_segment_align: 8
    .kernarg_segment_size: 344
    .language:       OpenCL C
    .language_version:
      - 2
      - 0
    .max_flat_workgroup_size: 64
    .name:           _ZL36rocblas_hemvn_kernel_lower_block_sumILi64EiPKdPddEviT1_lS3_lT2_lT0_lPT3_i
    .private_segment_fixed_size: 0
    .sgpr_count:     27
    .sgpr_spill_count: 0
    .symbol:         _ZL36rocblas_hemvn_kernel_lower_block_sumILi64EiPKdPddEviT1_lS3_lT2_lT0_lPT3_i.kd
    .uniform_work_group_size: 1
    .uses_dynamic_stack: false
    .vgpr_count:     7
    .vgpr_spill_count: 0
    .wavefront_size: 64
  - .agpr_count:     0
    .args:
      - .offset:         0
        .size:           4
        .value_kind:     by_value
      - .offset:         8
        .size:           8
        .value_kind:     by_value
      - .offset:         16
        .size:           8
        .value_kind:     by_value
      - .address_space:  global
        .offset:         24
        .size:           8
        .value_kind:     global_buffer
      - .offset:         32
        .size:           8
        .value_kind:     by_value
      - .offset:         40
        .size:           8
        .value_kind:     by_value
      - .offset:         48
        .size:           8
        .value_kind:     by_value
      - .address_space:  global
        .offset:         56
        .size:           8
        .value_kind:     global_buffer
      - .offset:         64
        .size:           8
        .value_kind:     by_value
      - .offset:         72
        .size:           8
        .value_kind:     by_value
      - .offset:         80
        .size:           8
        .value_kind:     by_value
      - .offset:         88
        .size:           8
        .value_kind:     by_value
      - .offset:         96
        .size:           8
        .value_kind:     by_value
      - .address_space:  global
        .offset:         104
        .size:           8
        .value_kind:     global_buffer
      - .offset:         112
        .size:           4
        .value_kind:     by_value
      - .offset:         120
        .size:           4
        .value_kind:     hidden_block_count_x
      - .offset:         124
        .size:           4
        .value_kind:     hidden_block_count_y
      - .offset:         128
        .size:           4
        .value_kind:     hidden_block_count_z
      - .offset:         132
        .size:           2
        .value_kind:     hidden_group_size_x
      - .offset:         134
        .size:           2
        .value_kind:     hidden_group_size_y
      - .offset:         136
        .size:           2
        .value_kind:     hidden_group_size_z
      - .offset:         138
        .size:           2
        .value_kind:     hidden_remainder_x
      - .offset:         140
        .size:           2
        .value_kind:     hidden_remainder_y
      - .offset:         142
        .size:           2
        .value_kind:     hidden_remainder_z
      - .offset:         160
        .size:           8
        .value_kind:     hidden_global_offset_x
      - .offset:         168
        .size:           8
        .value_kind:     hidden_global_offset_y
      - .offset:         176
        .size:           8
        .value_kind:     hidden_global_offset_z
      - .offset:         184
        .size:           2
        .value_kind:     hidden_grid_dims
    .group_segment_fixed_size: 9600
    .kernarg_segment_align: 8
    .kernarg_segment_size: 376
    .language:       OpenCL C
    .language_version:
      - 2
      - 0
    .max_flat_workgroup_size: 256
    .name:           _ZL26rocblas_hemvn_kernel_lowerILb0ELi64ELi4ELi33ELi32ELi16EldPKdPdEviT6_lT7_lT5_lS4_lS5_lS3_lT8_i
    .private_segment_fixed_size: 0
    .sgpr_count:     59
    .sgpr_spill_count: 0
    .symbol:         _ZL26rocblas_hemvn_kernel_lowerILb0ELi64ELi4ELi33ELi32ELi16EldPKdPdEviT6_lT7_lT5_lS4_lS5_lS3_lT8_i.kd
    .uniform_work_group_size: 1
    .uses_dynamic_stack: false
    .vgpr_count:     110
    .vgpr_spill_count: 0
    .wavefront_size: 64
  - .agpr_count:     0
    .args:
      - .offset:         0
        .size:           4
        .value_kind:     by_value
      - .offset:         8
        .size:           8
        .value_kind:     by_value
      - .offset:         16
        .size:           8
        .value_kind:     by_value
      - .offset:         24
        .size:           8
        .value_kind:     by_value
      - .offset:         32
        .size:           8
        .value_kind:     by_value
      - .address_space:  global
        .offset:         40
        .size:           8
        .value_kind:     global_buffer
      - .offset:         48
        .size:           8
        .value_kind:     by_value
      - .offset:         56
        .size:           8
        .value_kind:     by_value
      - .offset:         64
        .size:           8
        .value_kind:     by_value
      - .actual_access:  read_only
        .address_space:  global
        .offset:         72
        .size:           8
        .value_kind:     global_buffer
      - .offset:         80
        .size:           4
        .value_kind:     by_value
      - .offset:         88
        .size:           4
        .value_kind:     hidden_block_count_x
      - .offset:         92
        .size:           4
        .value_kind:     hidden_block_count_y
      - .offset:         96
        .size:           4
        .value_kind:     hidden_block_count_z
      - .offset:         100
        .size:           2
        .value_kind:     hidden_group_size_x
      - .offset:         102
        .size:           2
        .value_kind:     hidden_group_size_y
      - .offset:         104
        .size:           2
        .value_kind:     hidden_group_size_z
      - .offset:         106
        .size:           2
        .value_kind:     hidden_remainder_x
      - .offset:         108
        .size:           2
        .value_kind:     hidden_remainder_y
      - .offset:         110
        .size:           2
        .value_kind:     hidden_remainder_z
      - .offset:         128
        .size:           8
        .value_kind:     hidden_global_offset_x
      - .offset:         136
        .size:           8
        .value_kind:     hidden_global_offset_y
      - .offset:         144
        .size:           8
        .value_kind:     hidden_global_offset_z
      - .offset:         152
        .size:           2
        .value_kind:     hidden_grid_dims
    .group_segment_fixed_size: 0
    .kernarg_segment_align: 8
    .kernarg_segment_size: 344
    .language:       OpenCL C
    .language_version:
      - 2
      - 0
    .max_flat_workgroup_size: 64
    .name:           _ZL36rocblas_hemvn_kernel_lower_block_sumILi64EldPddEviT1_lS1_lT2_lT0_lPT3_i
    .private_segment_fixed_size: 0
    .sgpr_count:     28
    .sgpr_spill_count: 0
    .symbol:         _ZL36rocblas_hemvn_kernel_lower_block_sumILi64EldPddEviT1_lS1_lT2_lT0_lPT3_i.kd
    .uniform_work_group_size: 1
    .uses_dynamic_stack: false
    .vgpr_count:     9
    .vgpr_spill_count: 0
    .wavefront_size: 64
  - .agpr_count:     0
    .args:
      - .offset:         0
        .size:           4
        .value_kind:     by_value
      - .offset:         8
        .size:           8
        .value_kind:     by_value
      - .offset:         16
        .size:           8
        .value_kind:     by_value
      - .address_space:  global
        .offset:         24
        .size:           8
        .value_kind:     global_buffer
      - .offset:         32
        .size:           8
        .value_kind:     by_value
      - .offset:         40
        .size:           4
        .value_kind:     by_value
      - .offset:         48
        .size:           8
        .value_kind:     by_value
      - .address_space:  global
        .offset:         56
        .size:           8
        .value_kind:     global_buffer
      - .offset:         64
        .size:           8
        .value_kind:     by_value
      - .offset:         72
        .size:           4
        .value_kind:     by_value
      - .offset:         80
        .size:           8
        .value_kind:     by_value
      - .offset:         88
        .size:           8
        .value_kind:     by_value
      - .offset:         96
        .size:           8
        .value_kind:     by_value
      - .address_space:  global
        .offset:         104
        .size:           8
        .value_kind:     global_buffer
      - .offset:         112
        .size:           4
        .value_kind:     by_value
      - .offset:         120
        .size:           4
        .value_kind:     hidden_block_count_x
      - .offset:         124
        .size:           4
        .value_kind:     hidden_block_count_y
      - .offset:         128
        .size:           4
        .value_kind:     hidden_block_count_z
      - .offset:         132
        .size:           2
        .value_kind:     hidden_group_size_x
      - .offset:         134
        .size:           2
        .value_kind:     hidden_group_size_y
      - .offset:         136
        .size:           2
        .value_kind:     hidden_group_size_z
      - .offset:         138
        .size:           2
        .value_kind:     hidden_remainder_x
      - .offset:         140
        .size:           2
        .value_kind:     hidden_remainder_y
      - .offset:         142
        .size:           2
        .value_kind:     hidden_remainder_z
      - .offset:         160
        .size:           8
        .value_kind:     hidden_global_offset_x
      - .offset:         168
        .size:           8
        .value_kind:     hidden_global_offset_y
      - .offset:         176
        .size:           8
        .value_kind:     hidden_global_offset_z
      - .offset:         184
        .size:           2
        .value_kind:     hidden_grid_dims
    .group_segment_fixed_size: 9600
    .kernarg_segment_align: 8
    .kernarg_segment_size: 376
    .language:       OpenCL C
    .language_version:
      - 2
      - 0
    .max_flat_workgroup_size: 256
    .name:           _ZL26rocblas_hemvn_kernel_lowerILb0ELi64ELi4ELi33ELi32ELi16EidPKdPdEviT6_lT7_lT5_lS4_lS5_lS3_lT8_i
    .private_segment_fixed_size: 0
    .sgpr_count:     54
    .sgpr_spill_count: 0
    .symbol:         _ZL26rocblas_hemvn_kernel_lowerILb0ELi64ELi4ELi33ELi32ELi16EidPKdPdEviT6_lT7_lT5_lS4_lS5_lS3_lT8_i.kd
    .uniform_work_group_size: 1
    .uses_dynamic_stack: false
    .vgpr_count:     108
    .vgpr_spill_count: 0
    .wavefront_size: 64
  - .agpr_count:     0
    .args:
      - .offset:         0
        .size:           4
        .value_kind:     by_value
      - .offset:         8
        .size:           8
        .value_kind:     by_value
      - .offset:         16
        .size:           8
        .value_kind:     by_value
      - .offset:         24
        .size:           8
        .value_kind:     by_value
      - .offset:         32
        .size:           8
        .value_kind:     by_value
      - .address_space:  global
        .offset:         40
        .size:           8
        .value_kind:     global_buffer
      - .offset:         48
        .size:           8
        .value_kind:     by_value
      - .offset:         56
        .size:           4
        .value_kind:     by_value
      - .offset:         64
        .size:           8
        .value_kind:     by_value
      - .actual_access:  read_only
        .address_space:  global
        .offset:         72
        .size:           8
        .value_kind:     global_buffer
      - .offset:         80
        .size:           4
        .value_kind:     by_value
      - .offset:         88
        .size:           4
        .value_kind:     hidden_block_count_x
      - .offset:         92
        .size:           4
        .value_kind:     hidden_block_count_y
      - .offset:         96
        .size:           4
        .value_kind:     hidden_block_count_z
      - .offset:         100
        .size:           2
        .value_kind:     hidden_group_size_x
      - .offset:         102
        .size:           2
        .value_kind:     hidden_group_size_y
      - .offset:         104
        .size:           2
        .value_kind:     hidden_group_size_z
      - .offset:         106
        .size:           2
        .value_kind:     hidden_remainder_x
      - .offset:         108
        .size:           2
        .value_kind:     hidden_remainder_y
      - .offset:         110
        .size:           2
        .value_kind:     hidden_remainder_z
      - .offset:         128
        .size:           8
        .value_kind:     hidden_global_offset_x
      - .offset:         136
        .size:           8
        .value_kind:     hidden_global_offset_y
      - .offset:         144
        .size:           8
        .value_kind:     hidden_global_offset_z
      - .offset:         152
        .size:           2
        .value_kind:     hidden_grid_dims
    .group_segment_fixed_size: 0
    .kernarg_segment_align: 8
    .kernarg_segment_size: 344
    .language:       OpenCL C
    .language_version:
      - 2
      - 0
    .max_flat_workgroup_size: 64
    .name:           _ZL36rocblas_hemvn_kernel_lower_block_sumILi64EidPddEviT1_lS1_lT2_lT0_lPT3_i
    .private_segment_fixed_size: 0
    .sgpr_count:     27
    .sgpr_spill_count: 0
    .symbol:         _ZL36rocblas_hemvn_kernel_lower_block_sumILi64EidPddEviT1_lS1_lT2_lT0_lPT3_i.kd
    .uniform_work_group_size: 1
    .uses_dynamic_stack: false
    .vgpr_count:     7
    .vgpr_spill_count: 0
    .wavefront_size: 64
  - .agpr_count:     0
    .args:
      - .offset:         0
        .size:           4
        .value_kind:     by_value
      - .address_space:  global
        .offset:         8
        .size:           8
        .value_kind:     global_buffer
      - .offset:         16
        .size:           8
        .value_kind:     by_value
      - .address_space:  global
        .offset:         24
        .size:           8
        .value_kind:     global_buffer
      - .offset:         32
        .size:           8
        .value_kind:     by_value
      - .offset:         40
        .size:           8
        .value_kind:     by_value
      - .offset:         48
        .size:           8
        .value_kind:     by_value
      - .address_space:  global
        .offset:         56
        .size:           8
        .value_kind:     global_buffer
      - .offset:         64
        .size:           8
        .value_kind:     by_value
      - .offset:         72
        .size:           8
        .value_kind:     by_value
      - .offset:         80
        .size:           8
        .value_kind:     by_value
      - .address_space:  global
        .offset:         88
        .size:           8
        .value_kind:     global_buffer
      - .offset:         96
        .size:           8
        .value_kind:     by_value
      - .address_space:  global
        .offset:         104
        .size:           8
        .value_kind:     global_buffer
      - .offset:         112
        .size:           4
        .value_kind:     by_value
      - .offset:         120
        .size:           4
        .value_kind:     hidden_block_count_x
      - .offset:         124
        .size:           4
        .value_kind:     hidden_block_count_y
      - .offset:         128
        .size:           4
        .value_kind:     hidden_block_count_z
      - .offset:         132
        .size:           2
        .value_kind:     hidden_group_size_x
      - .offset:         134
        .size:           2
        .value_kind:     hidden_group_size_y
      - .offset:         136
        .size:           2
        .value_kind:     hidden_group_size_z
      - .offset:         138
        .size:           2
        .value_kind:     hidden_remainder_x
      - .offset:         140
        .size:           2
        .value_kind:     hidden_remainder_y
      - .offset:         142
        .size:           2
        .value_kind:     hidden_remainder_z
      - .offset:         160
        .size:           8
        .value_kind:     hidden_global_offset_x
      - .offset:         168
        .size:           8
        .value_kind:     hidden_global_offset_y
      - .offset:         176
        .size:           8
        .value_kind:     hidden_global_offset_z
      - .offset:         184
        .size:           2
        .value_kind:     hidden_grid_dims
    .group_segment_fixed_size: 9600
    .kernarg_segment_align: 8
    .kernarg_segment_size: 376
    .language:       OpenCL C
    .language_version:
      - 2
      - 0
    .max_flat_workgroup_size: 256
    .name:           _ZL26rocblas_hemvn_kernel_upperILb0ELi64ELi4ELi33ELi32ELi16ElPK19rocblas_complex_numIfES3_PS1_EviT6_lT7_lT5_lS6_lS7_lS5_lT8_i
    .private_segment_fixed_size: 0
    .sgpr_count:     45
    .sgpr_spill_count: 0
    .symbol:         _ZL26rocblas_hemvn_kernel_upperILb0ELi64ELi4ELi33ELi32ELi16ElPK19rocblas_complex_numIfES3_PS1_EviT6_lT7_lT5_lS6_lS7_lS5_lT8_i.kd
    .uniform_work_group_size: 1
    .uses_dynamic_stack: false
    .vgpr_count:     152
    .vgpr_spill_count: 0
    .wavefront_size: 64
  - .agpr_count:     0
    .args:
      - .offset:         0
        .size:           4
        .value_kind:     by_value
      - .address_space:  global
        .offset:         8
        .size:           8
        .value_kind:     global_buffer
      - .offset:         16
        .size:           8
        .value_kind:     by_value
      - .address_space:  global
        .offset:         24
        .size:           8
        .value_kind:     global_buffer
      - .offset:         32
        .size:           8
        .value_kind:     by_value
      - .offset:         40
        .size:           4
        .value_kind:     by_value
      - .offset:         48
        .size:           8
        .value_kind:     by_value
      - .address_space:  global
        .offset:         56
        .size:           8
        .value_kind:     global_buffer
      - .offset:         64
        .size:           8
        .value_kind:     by_value
      - .offset:         72
        .size:           4
        .value_kind:     by_value
      - .offset:         80
        .size:           8
        .value_kind:     by_value
      - .address_space:  global
        .offset:         88
        .size:           8
        .value_kind:     global_buffer
      - .offset:         96
        .size:           8
        .value_kind:     by_value
      - .address_space:  global
        .offset:         104
        .size:           8
        .value_kind:     global_buffer
      - .offset:         112
        .size:           4
        .value_kind:     by_value
      - .offset:         120
        .size:           4
        .value_kind:     hidden_block_count_x
      - .offset:         124
        .size:           4
        .value_kind:     hidden_block_count_y
      - .offset:         128
        .size:           4
        .value_kind:     hidden_block_count_z
      - .offset:         132
        .size:           2
        .value_kind:     hidden_group_size_x
      - .offset:         134
        .size:           2
        .value_kind:     hidden_group_size_y
      - .offset:         136
        .size:           2
        .value_kind:     hidden_group_size_z
      - .offset:         138
        .size:           2
        .value_kind:     hidden_remainder_x
      - .offset:         140
        .size:           2
        .value_kind:     hidden_remainder_y
      - .offset:         142
        .size:           2
        .value_kind:     hidden_remainder_z
      - .offset:         160
        .size:           8
        .value_kind:     hidden_global_offset_x
      - .offset:         168
        .size:           8
        .value_kind:     hidden_global_offset_y
      - .offset:         176
        .size:           8
        .value_kind:     hidden_global_offset_z
      - .offset:         184
        .size:           2
        .value_kind:     hidden_grid_dims
    .group_segment_fixed_size: 9600
    .kernarg_segment_align: 8
    .kernarg_segment_size: 376
    .language:       OpenCL C
    .language_version:
      - 2
      - 0
    .max_flat_workgroup_size: 256
    .name:           _ZL26rocblas_hemvn_kernel_upperILb0ELi64ELi4ELi33ELi32ELi16EiPK19rocblas_complex_numIfES3_PS1_EviT6_lT7_lT5_lS6_lS7_lS5_lT8_i
    .private_segment_fixed_size: 0
    .sgpr_count:     50
    .sgpr_spill_count: 0
    .symbol:         _ZL26rocblas_hemvn_kernel_upperILb0ELi64ELi4ELi33ELi32ELi16EiPK19rocblas_complex_numIfES3_PS1_EviT6_lT7_lT5_lS6_lS7_lS5_lT8_i.kd
    .uniform_work_group_size: 1
    .uses_dynamic_stack: false
    .vgpr_count:     160
    .vgpr_spill_count: 0
    .wavefront_size: 64
  - .agpr_count:     0
    .args:
      - .offset:         0
        .size:           4
        .value_kind:     by_value
      - .offset:         4
        .size:           8
        .value_kind:     by_value
      - .offset:         16
        .size:           8
        .value_kind:     by_value
      - .address_space:  global
        .offset:         24
        .size:           8
        .value_kind:     global_buffer
      - .offset:         32
        .size:           8
        .value_kind:     by_value
      - .offset:         40
        .size:           8
        .value_kind:     by_value
      - .offset:         48
        .size:           8
        .value_kind:     by_value
      - .address_space:  global
        .offset:         56
        .size:           8
        .value_kind:     global_buffer
      - .offset:         64
        .size:           8
        .value_kind:     by_value
      - .offset:         72
        .size:           8
        .value_kind:     by_value
      - .offset:         80
        .size:           8
        .value_kind:     by_value
      - .offset:         88
        .size:           8
        .value_kind:     by_value
      - .offset:         96
        .size:           8
        .value_kind:     by_value
      - .address_space:  global
        .offset:         104
        .size:           8
        .value_kind:     global_buffer
      - .offset:         112
        .size:           4
        .value_kind:     by_value
      - .offset:         120
        .size:           4
        .value_kind:     hidden_block_count_x
      - .offset:         124
        .size:           4
        .value_kind:     hidden_block_count_y
      - .offset:         128
        .size:           4
        .value_kind:     hidden_block_count_z
      - .offset:         132
        .size:           2
        .value_kind:     hidden_group_size_x
      - .offset:         134
        .size:           2
        .value_kind:     hidden_group_size_y
      - .offset:         136
        .size:           2
        .value_kind:     hidden_group_size_z
      - .offset:         138
        .size:           2
        .value_kind:     hidden_remainder_x
      - .offset:         140
        .size:           2
        .value_kind:     hidden_remainder_y
      - .offset:         142
        .size:           2
        .value_kind:     hidden_remainder_z
      - .offset:         160
        .size:           8
        .value_kind:     hidden_global_offset_x
      - .offset:         168
        .size:           8
        .value_kind:     hidden_global_offset_y
      - .offset:         176
        .size:           8
        .value_kind:     hidden_global_offset_z
      - .offset:         184
        .size:           2
        .value_kind:     hidden_grid_dims
    .group_segment_fixed_size: 9600
    .kernarg_segment_align: 8
    .kernarg_segment_size: 376
    .language:       OpenCL C
    .language_version:
      - 2
      - 0
    .max_flat_workgroup_size: 256
    .name:           _ZL26rocblas_hemvn_kernel_upperILb0ELi64ELi4ELi33ELi32ELi16El19rocblas_complex_numIfEPKS1_PS1_EviT6_lT7_lT5_lS6_lS7_lS5_lT8_i
    .private_segment_fixed_size: 0
    .sgpr_count:     45
    .sgpr_spill_count: 0
    .symbol:         _ZL26rocblas_hemvn_kernel_upperILb0ELi64ELi4ELi33ELi32ELi16El19rocblas_complex_numIfEPKS1_PS1_EviT6_lT7_lT5_lS6_lS7_lS5_lT8_i.kd
    .uniform_work_group_size: 1
    .uses_dynamic_stack: false
    .vgpr_count:     152
    .vgpr_spill_count: 0
    .wavefront_size: 64
  - .agpr_count:     0
    .args:
      - .offset:         0
        .size:           4
        .value_kind:     by_value
      - .offset:         4
        .size:           8
        .value_kind:     by_value
      - .offset:         16
        .size:           8
        .value_kind:     by_value
      - .address_space:  global
        .offset:         24
        .size:           8
        .value_kind:     global_buffer
      - .offset:         32
        .size:           8
        .value_kind:     by_value
      - .offset:         40
        .size:           4
        .value_kind:     by_value
      - .offset:         48
        .size:           8
        .value_kind:     by_value
      - .address_space:  global
        .offset:         56
        .size:           8
        .value_kind:     global_buffer
      - .offset:         64
        .size:           8
        .value_kind:     by_value
      - .offset:         72
        .size:           4
        .value_kind:     by_value
      - .offset:         80
        .size:           8
        .value_kind:     by_value
      - .offset:         88
        .size:           8
        .value_kind:     by_value
      - .offset:         96
        .size:           8
        .value_kind:     by_value
      - .address_space:  global
        .offset:         104
        .size:           8
        .value_kind:     global_buffer
      - .offset:         112
        .size:           4
        .value_kind:     by_value
      - .offset:         120
        .size:           4
        .value_kind:     hidden_block_count_x
      - .offset:         124
        .size:           4
        .value_kind:     hidden_block_count_y
      - .offset:         128
        .size:           4
        .value_kind:     hidden_block_count_z
      - .offset:         132
        .size:           2
        .value_kind:     hidden_group_size_x
      - .offset:         134
        .size:           2
        .value_kind:     hidden_group_size_y
      - .offset:         136
        .size:           2
        .value_kind:     hidden_group_size_z
      - .offset:         138
        .size:           2
        .value_kind:     hidden_remainder_x
      - .offset:         140
        .size:           2
        .value_kind:     hidden_remainder_y
      - .offset:         142
        .size:           2
        .value_kind:     hidden_remainder_z
      - .offset:         160
        .size:           8
        .value_kind:     hidden_global_offset_x
      - .offset:         168
        .size:           8
        .value_kind:     hidden_global_offset_y
      - .offset:         176
        .size:           8
        .value_kind:     hidden_global_offset_z
      - .offset:         184
        .size:           2
        .value_kind:     hidden_grid_dims
    .group_segment_fixed_size: 9600
    .kernarg_segment_align: 8
    .kernarg_segment_size: 376
    .language:       OpenCL C
    .language_version:
      - 2
      - 0
    .max_flat_workgroup_size: 256
    .name:           _ZL26rocblas_hemvn_kernel_upperILb0ELi64ELi4ELi33ELi32ELi16Ei19rocblas_complex_numIfEPKS1_PS1_EviT6_lT7_lT5_lS6_lS7_lS5_lT8_i
    .private_segment_fixed_size: 0
    .sgpr_count:     50
    .sgpr_spill_count: 0
    .symbol:         _ZL26rocblas_hemvn_kernel_upperILb0ELi64ELi4ELi33ELi32ELi16Ei19rocblas_complex_numIfEPKS1_PS1_EviT6_lT7_lT5_lS6_lS7_lS5_lT8_i.kd
    .uniform_work_group_size: 1
    .uses_dynamic_stack: false
    .vgpr_count:     160
    .vgpr_spill_count: 0
    .wavefront_size: 64
  - .agpr_count:     0
    .args:
      - .offset:         0
        .size:           4
        .value_kind:     by_value
      - .address_space:  global
        .offset:         8
        .size:           8
        .value_kind:     global_buffer
      - .offset:         16
        .size:           8
        .value_kind:     by_value
      - .address_space:  global
        .offset:         24
        .size:           8
        .value_kind:     global_buffer
      - .offset:         32
        .size:           8
        .value_kind:     by_value
      - .offset:         40
        .size:           8
        .value_kind:     by_value
      - .offset:         48
        .size:           8
        .value_kind:     by_value
      - .address_space:  global
        .offset:         56
        .size:           8
        .value_kind:     global_buffer
      - .offset:         64
        .size:           8
        .value_kind:     by_value
      - .offset:         72
        .size:           8
        .value_kind:     by_value
      - .offset:         80
        .size:           8
        .value_kind:     by_value
      - .address_space:  global
        .offset:         88
        .size:           8
        .value_kind:     global_buffer
      - .offset:         96
        .size:           8
        .value_kind:     by_value
      - .address_space:  global
        .offset:         104
        .size:           8
        .value_kind:     global_buffer
      - .offset:         112
        .size:           4
        .value_kind:     by_value
      - .offset:         120
        .size:           4
        .value_kind:     hidden_block_count_x
      - .offset:         124
        .size:           4
        .value_kind:     hidden_block_count_y
      - .offset:         128
        .size:           4
        .value_kind:     hidden_block_count_z
      - .offset:         132
        .size:           2
        .value_kind:     hidden_group_size_x
      - .offset:         134
        .size:           2
        .value_kind:     hidden_group_size_y
      - .offset:         136
        .size:           2
        .value_kind:     hidden_group_size_z
      - .offset:         138
        .size:           2
        .value_kind:     hidden_remainder_x
      - .offset:         140
        .size:           2
        .value_kind:     hidden_remainder_y
      - .offset:         142
        .size:           2
        .value_kind:     hidden_remainder_z
      - .offset:         160
        .size:           8
        .value_kind:     hidden_global_offset_x
      - .offset:         168
        .size:           8
        .value_kind:     hidden_global_offset_y
      - .offset:         176
        .size:           8
        .value_kind:     hidden_global_offset_z
      - .offset:         184
        .size:           2
        .value_kind:     hidden_grid_dims
    .group_segment_fixed_size: 9600
    .kernarg_segment_align: 8
    .kernarg_segment_size: 376
    .language:       OpenCL C
    .language_version:
      - 2
      - 0
    .max_flat_workgroup_size: 256
    .name:           _ZL26rocblas_hemvn_kernel_lowerILb0ELi64ELi4ELi33ELi32ELi16ElPK19rocblas_complex_numIfES3_PS1_EviT6_lT7_lT5_lS6_lS7_lS5_lT8_i
    .private_segment_fixed_size: 0
    .sgpr_count:     56
    .sgpr_spill_count: 0
    .symbol:         _ZL26rocblas_hemvn_kernel_lowerILb0ELi64ELi4ELi33ELi32ELi16ElPK19rocblas_complex_numIfES3_PS1_EviT6_lT7_lT5_lS6_lS7_lS5_lT8_i.kd
    .uniform_work_group_size: 1
    .uses_dynamic_stack: false
    .vgpr_count:     106
    .vgpr_spill_count: 0
    .wavefront_size: 64
  - .agpr_count:     0
    .args:
      - .offset:         0
        .size:           4
        .value_kind:     by_value
      - .address_space:  global
        .offset:         8
        .size:           8
        .value_kind:     global_buffer
      - .offset:         16
        .size:           8
        .value_kind:     by_value
      - .address_space:  global
        .offset:         24
        .size:           8
        .value_kind:     global_buffer
      - .offset:         32
        .size:           8
        .value_kind:     by_value
      - .offset:         40
        .size:           4
        .value_kind:     by_value
      - .offset:         48
        .size:           8
        .value_kind:     by_value
      - .address_space:  global
        .offset:         56
        .size:           8
        .value_kind:     global_buffer
      - .offset:         64
        .size:           8
        .value_kind:     by_value
      - .offset:         72
        .size:           4
        .value_kind:     by_value
      - .offset:         80
        .size:           8
        .value_kind:     by_value
      - .address_space:  global
        .offset:         88
        .size:           8
        .value_kind:     global_buffer
      - .offset:         96
        .size:           8
        .value_kind:     by_value
      - .address_space:  global
        .offset:         104
        .size:           8
        .value_kind:     global_buffer
      - .offset:         112
        .size:           4
        .value_kind:     by_value
      - .offset:         120
        .size:           4
        .value_kind:     hidden_block_count_x
      - .offset:         124
        .size:           4
        .value_kind:     hidden_block_count_y
      - .offset:         128
        .size:           4
        .value_kind:     hidden_block_count_z
      - .offset:         132
        .size:           2
        .value_kind:     hidden_group_size_x
      - .offset:         134
        .size:           2
        .value_kind:     hidden_group_size_y
      - .offset:         136
        .size:           2
        .value_kind:     hidden_group_size_z
      - .offset:         138
        .size:           2
        .value_kind:     hidden_remainder_x
      - .offset:         140
        .size:           2
        .value_kind:     hidden_remainder_y
      - .offset:         142
        .size:           2
        .value_kind:     hidden_remainder_z
      - .offset:         160
        .size:           8
        .value_kind:     hidden_global_offset_x
      - .offset:         168
        .size:           8
        .value_kind:     hidden_global_offset_y
      - .offset:         176
        .size:           8
        .value_kind:     hidden_global_offset_z
      - .offset:         184
        .size:           2
        .value_kind:     hidden_grid_dims
    .group_segment_fixed_size: 9600
    .kernarg_segment_align: 8
    .kernarg_segment_size: 376
    .language:       OpenCL C
    .language_version:
      - 2
      - 0
    .max_flat_workgroup_size: 256
    .name:           _ZL26rocblas_hemvn_kernel_lowerILb0ELi64ELi4ELi33ELi32ELi16EiPK19rocblas_complex_numIfES3_PS1_EviT6_lT7_lT5_lS6_lS7_lS5_lT8_i
    .private_segment_fixed_size: 0
    .sgpr_count:     54
    .sgpr_spill_count: 0
    .symbol:         _ZL26rocblas_hemvn_kernel_lowerILb0ELi64ELi4ELi33ELi32ELi16EiPK19rocblas_complex_numIfES3_PS1_EviT6_lT7_lT5_lS6_lS7_lS5_lT8_i.kd
    .uniform_work_group_size: 1
    .uses_dynamic_stack: false
    .vgpr_count:     104
    .vgpr_spill_count: 0
    .wavefront_size: 64
  - .agpr_count:     0
    .args:
      - .offset:         0
        .size:           4
        .value_kind:     by_value
      - .offset:         4
        .size:           8
        .value_kind:     by_value
      - .offset:         16
        .size:           8
        .value_kind:     by_value
      - .address_space:  global
        .offset:         24
        .size:           8
        .value_kind:     global_buffer
      - .offset:         32
        .size:           8
        .value_kind:     by_value
      - .offset:         40
        .size:           8
        .value_kind:     by_value
      - .offset:         48
        .size:           8
        .value_kind:     by_value
      - .address_space:  global
        .offset:         56
        .size:           8
        .value_kind:     global_buffer
      - .offset:         64
        .size:           8
        .value_kind:     by_value
      - .offset:         72
        .size:           8
        .value_kind:     by_value
      - .offset:         80
        .size:           8
        .value_kind:     by_value
      - .offset:         88
        .size:           8
        .value_kind:     by_value
      - .offset:         96
        .size:           8
        .value_kind:     by_value
      - .address_space:  global
        .offset:         104
        .size:           8
        .value_kind:     global_buffer
      - .offset:         112
        .size:           4
        .value_kind:     by_value
      - .offset:         120
        .size:           4
        .value_kind:     hidden_block_count_x
      - .offset:         124
        .size:           4
        .value_kind:     hidden_block_count_y
      - .offset:         128
        .size:           4
        .value_kind:     hidden_block_count_z
      - .offset:         132
        .size:           2
        .value_kind:     hidden_group_size_x
      - .offset:         134
        .size:           2
        .value_kind:     hidden_group_size_y
      - .offset:         136
        .size:           2
        .value_kind:     hidden_group_size_z
      - .offset:         138
        .size:           2
        .value_kind:     hidden_remainder_x
      - .offset:         140
        .size:           2
        .value_kind:     hidden_remainder_y
      - .offset:         142
        .size:           2
        .value_kind:     hidden_remainder_z
      - .offset:         160
        .size:           8
        .value_kind:     hidden_global_offset_x
      - .offset:         168
        .size:           8
        .value_kind:     hidden_global_offset_y
      - .offset:         176
        .size:           8
        .value_kind:     hidden_global_offset_z
      - .offset:         184
        .size:           2
        .value_kind:     hidden_grid_dims
    .group_segment_fixed_size: 9600
    .kernarg_segment_align: 8
    .kernarg_segment_size: 376
    .language:       OpenCL C
    .language_version:
      - 2
      - 0
    .max_flat_workgroup_size: 256
    .name:           _ZL26rocblas_hemvn_kernel_lowerILb0ELi64ELi4ELi33ELi32ELi16El19rocblas_complex_numIfEPKS1_PS1_EviT6_lT7_lT5_lS6_lS7_lS5_lT8_i
    .private_segment_fixed_size: 0
    .sgpr_count:     59
    .sgpr_spill_count: 0
    .symbol:         _ZL26rocblas_hemvn_kernel_lowerILb0ELi64ELi4ELi33ELi32ELi16El19rocblas_complex_numIfEPKS1_PS1_EviT6_lT7_lT5_lS6_lS7_lS5_lT8_i.kd
    .uniform_work_group_size: 1
    .uses_dynamic_stack: false
    .vgpr_count:     106
    .vgpr_spill_count: 0
    .wavefront_size: 64
  - .agpr_count:     0
    .args:
      - .offset:         0
        .size:           4
        .value_kind:     by_value
      - .offset:         4
        .size:           8
        .value_kind:     by_value
      - .offset:         16
        .size:           8
        .value_kind:     by_value
      - .address_space:  global
        .offset:         24
        .size:           8
        .value_kind:     global_buffer
      - .offset:         32
        .size:           8
        .value_kind:     by_value
      - .offset:         40
        .size:           4
        .value_kind:     by_value
      - .offset:         48
        .size:           8
        .value_kind:     by_value
      - .address_space:  global
        .offset:         56
        .size:           8
        .value_kind:     global_buffer
      - .offset:         64
        .size:           8
        .value_kind:     by_value
      - .offset:         72
        .size:           4
        .value_kind:     by_value
      - .offset:         80
        .size:           8
        .value_kind:     by_value
      - .offset:         88
        .size:           8
        .value_kind:     by_value
      - .offset:         96
        .size:           8
        .value_kind:     by_value
      - .address_space:  global
        .offset:         104
        .size:           8
        .value_kind:     global_buffer
      - .offset:         112
        .size:           4
        .value_kind:     by_value
      - .offset:         120
        .size:           4
        .value_kind:     hidden_block_count_x
      - .offset:         124
        .size:           4
        .value_kind:     hidden_block_count_y
      - .offset:         128
        .size:           4
        .value_kind:     hidden_block_count_z
      - .offset:         132
        .size:           2
        .value_kind:     hidden_group_size_x
      - .offset:         134
        .size:           2
        .value_kind:     hidden_group_size_y
      - .offset:         136
        .size:           2
        .value_kind:     hidden_group_size_z
      - .offset:         138
        .size:           2
        .value_kind:     hidden_remainder_x
      - .offset:         140
        .size:           2
        .value_kind:     hidden_remainder_y
      - .offset:         142
        .size:           2
        .value_kind:     hidden_remainder_z
      - .offset:         160
        .size:           8
        .value_kind:     hidden_global_offset_x
      - .offset:         168
        .size:           8
        .value_kind:     hidden_global_offset_y
      - .offset:         176
        .size:           8
        .value_kind:     hidden_global_offset_z
      - .offset:         184
        .size:           2
        .value_kind:     hidden_grid_dims
    .group_segment_fixed_size: 9600
    .kernarg_segment_align: 8
    .kernarg_segment_size: 376
    .language:       OpenCL C
    .language_version:
      - 2
      - 0
    .max_flat_workgroup_size: 256
    .name:           _ZL26rocblas_hemvn_kernel_lowerILb0ELi64ELi4ELi33ELi32ELi16Ei19rocblas_complex_numIfEPKS1_PS1_EviT6_lT7_lT5_lS6_lS7_lS5_lT8_i
    .private_segment_fixed_size: 0
    .sgpr_count:     54
    .sgpr_spill_count: 0
    .symbol:         _ZL26rocblas_hemvn_kernel_lowerILb0ELi64ELi4ELi33ELi32ELi16Ei19rocblas_complex_numIfEPKS1_PS1_EviT6_lT7_lT5_lS6_lS7_lS5_lT8_i.kd
    .uniform_work_group_size: 1
    .uses_dynamic_stack: false
    .vgpr_count:     104
    .vgpr_spill_count: 0
    .wavefront_size: 64
  - .agpr_count:     0
    .args:
      - .offset:         0
        .size:           4
        .value_kind:     by_value
      - .address_space:  global
        .offset:         8
        .size:           8
        .value_kind:     global_buffer
      - .offset:         16
        .size:           8
        .value_kind:     by_value
      - .address_space:  global
        .offset:         24
        .size:           8
        .value_kind:     global_buffer
      - .offset:         32
        .size:           8
        .value_kind:     by_value
      - .offset:         40
        .size:           8
        .value_kind:     by_value
      - .offset:         48
        .size:           8
        .value_kind:     by_value
      - .address_space:  global
        .offset:         56
        .size:           8
        .value_kind:     global_buffer
      - .offset:         64
        .size:           8
        .value_kind:     by_value
      - .offset:         72
        .size:           8
        .value_kind:     by_value
      - .offset:         80
        .size:           8
        .value_kind:     by_value
      - .address_space:  global
        .offset:         88
        .size:           8
        .value_kind:     global_buffer
      - .offset:         96
        .size:           8
        .value_kind:     by_value
      - .address_space:  global
        .offset:         104
        .size:           8
        .value_kind:     global_buffer
      - .offset:         112
        .size:           4
        .value_kind:     by_value
      - .offset:         120
        .size:           4
        .value_kind:     hidden_block_count_x
      - .offset:         124
        .size:           4
        .value_kind:     hidden_block_count_y
      - .offset:         128
        .size:           4
        .value_kind:     hidden_block_count_z
      - .offset:         132
        .size:           2
        .value_kind:     hidden_group_size_x
      - .offset:         134
        .size:           2
        .value_kind:     hidden_group_size_y
      - .offset:         136
        .size:           2
        .value_kind:     hidden_group_size_z
      - .offset:         138
        .size:           2
        .value_kind:     hidden_remainder_x
      - .offset:         140
        .size:           2
        .value_kind:     hidden_remainder_y
      - .offset:         142
        .size:           2
        .value_kind:     hidden_remainder_z
      - .offset:         160
        .size:           8
        .value_kind:     hidden_global_offset_x
      - .offset:         168
        .size:           8
        .value_kind:     hidden_global_offset_y
      - .offset:         176
        .size:           8
        .value_kind:     hidden_global_offset_z
      - .offset:         184
        .size:           2
        .value_kind:     hidden_grid_dims
    .group_segment_fixed_size: 19200
    .kernarg_segment_align: 8
    .kernarg_segment_size: 376
    .language:       OpenCL C
    .language_version:
      - 2
      - 0
    .max_flat_workgroup_size: 256
    .name:           _ZL26rocblas_hemvn_kernel_upperILb0ELi64ELi4ELi33ELi32ELi16ElPK19rocblas_complex_numIdES3_PS1_EviT6_lT7_lT5_lS6_lS7_lS5_lT8_i
    .private_segment_fixed_size: 0
    .sgpr_count:     46
    .sgpr_spill_count: 0
    .symbol:         _ZL26rocblas_hemvn_kernel_upperILb0ELi64ELi4ELi33ELi32ELi16ElPK19rocblas_complex_numIdES3_PS1_EviT6_lT7_lT5_lS6_lS7_lS5_lT8_i.kd
    .uniform_work_group_size: 1
    .uses_dynamic_stack: false
    .vgpr_count:     231
    .vgpr_spill_count: 0
    .wavefront_size: 64
  - .agpr_count:     0
    .args:
      - .offset:         0
        .size:           4
        .value_kind:     by_value
      - .address_space:  global
        .offset:         8
        .size:           8
        .value_kind:     global_buffer
      - .offset:         16
        .size:           8
        .value_kind:     by_value
      - .address_space:  global
        .offset:         24
        .size:           8
        .value_kind:     global_buffer
      - .offset:         32
        .size:           8
        .value_kind:     by_value
      - .offset:         40
        .size:           4
        .value_kind:     by_value
      - .offset:         48
        .size:           8
        .value_kind:     by_value
      - .address_space:  global
        .offset:         56
        .size:           8
        .value_kind:     global_buffer
      - .offset:         64
        .size:           8
        .value_kind:     by_value
      - .offset:         72
        .size:           4
        .value_kind:     by_value
      - .offset:         80
        .size:           8
        .value_kind:     by_value
      - .address_space:  global
        .offset:         88
        .size:           8
        .value_kind:     global_buffer
      - .offset:         96
        .size:           8
        .value_kind:     by_value
      - .address_space:  global
        .offset:         104
        .size:           8
        .value_kind:     global_buffer
      - .offset:         112
        .size:           4
        .value_kind:     by_value
      - .offset:         120
        .size:           4
        .value_kind:     hidden_block_count_x
      - .offset:         124
        .size:           4
        .value_kind:     hidden_block_count_y
      - .offset:         128
        .size:           4
        .value_kind:     hidden_block_count_z
      - .offset:         132
        .size:           2
        .value_kind:     hidden_group_size_x
      - .offset:         134
        .size:           2
        .value_kind:     hidden_group_size_y
      - .offset:         136
        .size:           2
        .value_kind:     hidden_group_size_z
      - .offset:         138
        .size:           2
        .value_kind:     hidden_remainder_x
      - .offset:         140
        .size:           2
        .value_kind:     hidden_remainder_y
      - .offset:         142
        .size:           2
        .value_kind:     hidden_remainder_z
      - .offset:         160
        .size:           8
        .value_kind:     hidden_global_offset_x
      - .offset:         168
        .size:           8
        .value_kind:     hidden_global_offset_y
      - .offset:         176
        .size:           8
        .value_kind:     hidden_global_offset_z
      - .offset:         184
        .size:           2
        .value_kind:     hidden_grid_dims
    .group_segment_fixed_size: 19200
    .kernarg_segment_align: 8
    .kernarg_segment_size: 376
    .language:       OpenCL C
    .language_version:
      - 2
      - 0
    .max_flat_workgroup_size: 256
    .name:           _ZL26rocblas_hemvn_kernel_upperILb0ELi64ELi4ELi33ELi32ELi16EiPK19rocblas_complex_numIdES3_PS1_EviT6_lT7_lT5_lS6_lS7_lS5_lT8_i
    .private_segment_fixed_size: 0
    .sgpr_count:     46
    .sgpr_spill_count: 0
    .symbol:         _ZL26rocblas_hemvn_kernel_upperILb0ELi64ELi4ELi33ELi32ELi16EiPK19rocblas_complex_numIdES3_PS1_EviT6_lT7_lT5_lS6_lS7_lS5_lT8_i.kd
    .uniform_work_group_size: 1
    .uses_dynamic_stack: false
    .vgpr_count:     240
    .vgpr_spill_count: 0
    .wavefront_size: 64
  - .agpr_count:     0
    .args:
      - .offset:         0
        .size:           4
        .value_kind:     by_value
      - .offset:         8
        .size:           16
        .value_kind:     by_value
      - .offset:         24
        .size:           8
        .value_kind:     by_value
      - .address_space:  global
        .offset:         32
        .size:           8
        .value_kind:     global_buffer
      - .offset:         40
        .size:           8
        .value_kind:     by_value
      - .offset:         48
        .size:           8
        .value_kind:     by_value
      - .offset:         56
        .size:           8
        .value_kind:     by_value
      - .address_space:  global
        .offset:         64
        .size:           8
        .value_kind:     global_buffer
      - .offset:         72
        .size:           8
        .value_kind:     by_value
      - .offset:         80
        .size:           8
        .value_kind:     by_value
      - .offset:         88
        .size:           8
        .value_kind:     by_value
      - .offset:         96
        .size:           16
        .value_kind:     by_value
      - .offset:         112
        .size:           8
        .value_kind:     by_value
      - .address_space:  global
        .offset:         120
        .size:           8
        .value_kind:     global_buffer
      - .offset:         128
        .size:           4
        .value_kind:     by_value
      - .offset:         136
        .size:           4
        .value_kind:     hidden_block_count_x
      - .offset:         140
        .size:           4
        .value_kind:     hidden_block_count_y
      - .offset:         144
        .size:           4
        .value_kind:     hidden_block_count_z
      - .offset:         148
        .size:           2
        .value_kind:     hidden_group_size_x
      - .offset:         150
        .size:           2
        .value_kind:     hidden_group_size_y
      - .offset:         152
        .size:           2
        .value_kind:     hidden_group_size_z
      - .offset:         154
        .size:           2
        .value_kind:     hidden_remainder_x
      - .offset:         156
        .size:           2
        .value_kind:     hidden_remainder_y
      - .offset:         158
        .size:           2
        .value_kind:     hidden_remainder_z
      - .offset:         176
        .size:           8
        .value_kind:     hidden_global_offset_x
      - .offset:         184
        .size:           8
        .value_kind:     hidden_global_offset_y
      - .offset:         192
        .size:           8
        .value_kind:     hidden_global_offset_z
      - .offset:         200
        .size:           2
        .value_kind:     hidden_grid_dims
    .group_segment_fixed_size: 19200
    .kernarg_segment_align: 8
    .kernarg_segment_size: 392
    .language:       OpenCL C
    .language_version:
      - 2
      - 0
    .max_flat_workgroup_size: 256
    .name:           _ZL26rocblas_hemvn_kernel_upperILb0ELi64ELi4ELi33ELi32ELi16El19rocblas_complex_numIdEPKS1_PS1_EviT6_lT7_lT5_lS6_lS7_lS5_lT8_i
    .private_segment_fixed_size: 0
    .sgpr_count:     46
    .sgpr_spill_count: 0
    .symbol:         _ZL26rocblas_hemvn_kernel_upperILb0ELi64ELi4ELi33ELi32ELi16El19rocblas_complex_numIdEPKS1_PS1_EviT6_lT7_lT5_lS6_lS7_lS5_lT8_i.kd
    .uniform_work_group_size: 1
    .uses_dynamic_stack: false
    .vgpr_count:     231
    .vgpr_spill_count: 0
    .wavefront_size: 64
  - .agpr_count:     0
    .args:
      - .offset:         0
        .size:           4
        .value_kind:     by_value
      - .offset:         8
        .size:           16
        .value_kind:     by_value
      - .offset:         24
        .size:           8
        .value_kind:     by_value
      - .address_space:  global
        .offset:         32
        .size:           8
        .value_kind:     global_buffer
      - .offset:         40
        .size:           8
        .value_kind:     by_value
      - .offset:         48
        .size:           4
        .value_kind:     by_value
      - .offset:         56
        .size:           8
        .value_kind:     by_value
      - .address_space:  global
        .offset:         64
        .size:           8
        .value_kind:     global_buffer
      - .offset:         72
        .size:           8
        .value_kind:     by_value
      - .offset:         80
        .size:           4
        .value_kind:     by_value
      - .offset:         88
        .size:           8
        .value_kind:     by_value
      - .offset:         96
        .size:           16
        .value_kind:     by_value
      - .offset:         112
        .size:           8
        .value_kind:     by_value
      - .address_space:  global
        .offset:         120
        .size:           8
        .value_kind:     global_buffer
      - .offset:         128
        .size:           4
        .value_kind:     by_value
      - .offset:         136
        .size:           4
        .value_kind:     hidden_block_count_x
      - .offset:         140
        .size:           4
        .value_kind:     hidden_block_count_y
      - .offset:         144
        .size:           4
        .value_kind:     hidden_block_count_z
      - .offset:         148
        .size:           2
        .value_kind:     hidden_group_size_x
      - .offset:         150
        .size:           2
        .value_kind:     hidden_group_size_y
      - .offset:         152
        .size:           2
        .value_kind:     hidden_group_size_z
      - .offset:         154
        .size:           2
        .value_kind:     hidden_remainder_x
      - .offset:         156
        .size:           2
        .value_kind:     hidden_remainder_y
      - .offset:         158
        .size:           2
        .value_kind:     hidden_remainder_z
      - .offset:         176
        .size:           8
        .value_kind:     hidden_global_offset_x
      - .offset:         184
        .size:           8
        .value_kind:     hidden_global_offset_y
      - .offset:         192
        .size:           8
        .value_kind:     hidden_global_offset_z
      - .offset:         200
        .size:           2
        .value_kind:     hidden_grid_dims
    .group_segment_fixed_size: 19200
    .kernarg_segment_align: 8
    .kernarg_segment_size: 392
    .language:       OpenCL C
    .language_version:
      - 2
      - 0
    .max_flat_workgroup_size: 256
    .name:           _ZL26rocblas_hemvn_kernel_upperILb0ELi64ELi4ELi33ELi32ELi16Ei19rocblas_complex_numIdEPKS1_PS1_EviT6_lT7_lT5_lS6_lS7_lS5_lT8_i
    .private_segment_fixed_size: 0
    .sgpr_count:     46
    .sgpr_spill_count: 0
    .symbol:         _ZL26rocblas_hemvn_kernel_upperILb0ELi64ELi4ELi33ELi32ELi16Ei19rocblas_complex_numIdEPKS1_PS1_EviT6_lT7_lT5_lS6_lS7_lS5_lT8_i.kd
    .uniform_work_group_size: 1
    .uses_dynamic_stack: false
    .vgpr_count:     240
    .vgpr_spill_count: 0
    .wavefront_size: 64
  - .agpr_count:     0
    .args:
      - .offset:         0
        .size:           4
        .value_kind:     by_value
      - .address_space:  global
        .offset:         8
        .size:           8
        .value_kind:     global_buffer
      - .offset:         16
        .size:           8
        .value_kind:     by_value
      - .address_space:  global
        .offset:         24
        .size:           8
        .value_kind:     global_buffer
      - .offset:         32
        .size:           8
        .value_kind:     by_value
      - .offset:         40
        .size:           8
        .value_kind:     by_value
      - .offset:         48
        .size:           8
        .value_kind:     by_value
      - .address_space:  global
        .offset:         56
        .size:           8
        .value_kind:     global_buffer
      - .offset:         64
        .size:           8
        .value_kind:     by_value
      - .offset:         72
        .size:           8
        .value_kind:     by_value
      - .offset:         80
        .size:           8
        .value_kind:     by_value
      - .address_space:  global
        .offset:         88
        .size:           8
        .value_kind:     global_buffer
      - .offset:         96
        .size:           8
        .value_kind:     by_value
      - .address_space:  global
        .offset:         104
        .size:           8
        .value_kind:     global_buffer
      - .offset:         112
        .size:           4
        .value_kind:     by_value
      - .offset:         120
        .size:           4
        .value_kind:     hidden_block_count_x
      - .offset:         124
        .size:           4
        .value_kind:     hidden_block_count_y
      - .offset:         128
        .size:           4
        .value_kind:     hidden_block_count_z
      - .offset:         132
        .size:           2
        .value_kind:     hidden_group_size_x
      - .offset:         134
        .size:           2
        .value_kind:     hidden_group_size_y
      - .offset:         136
        .size:           2
        .value_kind:     hidden_group_size_z
      - .offset:         138
        .size:           2
        .value_kind:     hidden_remainder_x
      - .offset:         140
        .size:           2
        .value_kind:     hidden_remainder_y
      - .offset:         142
        .size:           2
        .value_kind:     hidden_remainder_z
      - .offset:         160
        .size:           8
        .value_kind:     hidden_global_offset_x
      - .offset:         168
        .size:           8
        .value_kind:     hidden_global_offset_y
      - .offset:         176
        .size:           8
        .value_kind:     hidden_global_offset_z
      - .offset:         184
        .size:           2
        .value_kind:     hidden_grid_dims
    .group_segment_fixed_size: 19200
    .kernarg_segment_align: 8
    .kernarg_segment_size: 376
    .language:       OpenCL C
    .language_version:
      - 2
      - 0
    .max_flat_workgroup_size: 256
    .name:           _ZL26rocblas_hemvn_kernel_lowerILb0ELi64ELi4ELi33ELi32ELi16ElPK19rocblas_complex_numIdES3_PS1_EviT6_lT7_lT5_lS6_lS7_lS5_lT8_i
    .private_segment_fixed_size: 0
    .sgpr_count:     50
    .sgpr_spill_count: 0
    .symbol:         _ZL26rocblas_hemvn_kernel_lowerILb0ELi64ELi4ELi33ELi32ELi16ElPK19rocblas_complex_numIdES3_PS1_EviT6_lT7_lT5_lS6_lS7_lS5_lT8_i.kd
    .uniform_work_group_size: 1
    .uses_dynamic_stack: false
    .vgpr_count:     188
    .vgpr_spill_count: 0
    .wavefront_size: 64
  - .agpr_count:     0
    .args:
      - .offset:         0
        .size:           4
        .value_kind:     by_value
      - .address_space:  global
        .offset:         8
        .size:           8
        .value_kind:     global_buffer
      - .offset:         16
        .size:           8
        .value_kind:     by_value
      - .address_space:  global
        .offset:         24
        .size:           8
        .value_kind:     global_buffer
      - .offset:         32
        .size:           8
        .value_kind:     by_value
      - .offset:         40
        .size:           4
        .value_kind:     by_value
      - .offset:         48
        .size:           8
        .value_kind:     by_value
      - .address_space:  global
        .offset:         56
        .size:           8
        .value_kind:     global_buffer
      - .offset:         64
        .size:           8
        .value_kind:     by_value
      - .offset:         72
        .size:           4
        .value_kind:     by_value
      - .offset:         80
        .size:           8
        .value_kind:     by_value
      - .address_space:  global
        .offset:         88
        .size:           8
        .value_kind:     global_buffer
      - .offset:         96
        .size:           8
        .value_kind:     by_value
      - .address_space:  global
        .offset:         104
        .size:           8
        .value_kind:     global_buffer
      - .offset:         112
        .size:           4
        .value_kind:     by_value
      - .offset:         120
        .size:           4
        .value_kind:     hidden_block_count_x
      - .offset:         124
        .size:           4
        .value_kind:     hidden_block_count_y
      - .offset:         128
        .size:           4
        .value_kind:     hidden_block_count_z
      - .offset:         132
        .size:           2
        .value_kind:     hidden_group_size_x
      - .offset:         134
        .size:           2
        .value_kind:     hidden_group_size_y
      - .offset:         136
        .size:           2
        .value_kind:     hidden_group_size_z
      - .offset:         138
        .size:           2
        .value_kind:     hidden_remainder_x
      - .offset:         140
        .size:           2
        .value_kind:     hidden_remainder_y
      - .offset:         142
        .size:           2
        .value_kind:     hidden_remainder_z
      - .offset:         160
        .size:           8
        .value_kind:     hidden_global_offset_x
      - .offset:         168
        .size:           8
        .value_kind:     hidden_global_offset_y
      - .offset:         176
        .size:           8
        .value_kind:     hidden_global_offset_z
      - .offset:         184
        .size:           2
        .value_kind:     hidden_grid_dims
    .group_segment_fixed_size: 19200
    .kernarg_segment_align: 8
    .kernarg_segment_size: 376
    .language:       OpenCL C
    .language_version:
      - 2
      - 0
    .max_flat_workgroup_size: 256
    .name:           _ZL26rocblas_hemvn_kernel_lowerILb0ELi64ELi4ELi33ELi32ELi16EiPK19rocblas_complex_numIdES3_PS1_EviT6_lT7_lT5_lS6_lS7_lS5_lT8_i
    .private_segment_fixed_size: 0
    .sgpr_count:     47
    .sgpr_spill_count: 0
    .symbol:         _ZL26rocblas_hemvn_kernel_lowerILb0ELi64ELi4ELi33ELi32ELi16EiPK19rocblas_complex_numIdES3_PS1_EviT6_lT7_lT5_lS6_lS7_lS5_lT8_i.kd
    .uniform_work_group_size: 1
    .uses_dynamic_stack: false
    .vgpr_count:     186
    .vgpr_spill_count: 0
    .wavefront_size: 64
  - .agpr_count:     0
    .args:
      - .offset:         0
        .size:           4
        .value_kind:     by_value
      - .offset:         8
        .size:           16
        .value_kind:     by_value
      - .offset:         24
        .size:           8
        .value_kind:     by_value
      - .address_space:  global
        .offset:         32
        .size:           8
        .value_kind:     global_buffer
      - .offset:         40
        .size:           8
        .value_kind:     by_value
      - .offset:         48
        .size:           8
        .value_kind:     by_value
      - .offset:         56
        .size:           8
        .value_kind:     by_value
      - .address_space:  global
        .offset:         64
        .size:           8
        .value_kind:     global_buffer
      - .offset:         72
        .size:           8
        .value_kind:     by_value
      - .offset:         80
        .size:           8
        .value_kind:     by_value
      - .offset:         88
        .size:           8
        .value_kind:     by_value
      - .offset:         96
        .size:           16
        .value_kind:     by_value
      - .offset:         112
        .size:           8
        .value_kind:     by_value
      - .address_space:  global
        .offset:         120
        .size:           8
        .value_kind:     global_buffer
      - .offset:         128
        .size:           4
        .value_kind:     by_value
      - .offset:         136
        .size:           4
        .value_kind:     hidden_block_count_x
      - .offset:         140
        .size:           4
        .value_kind:     hidden_block_count_y
      - .offset:         144
        .size:           4
        .value_kind:     hidden_block_count_z
      - .offset:         148
        .size:           2
        .value_kind:     hidden_group_size_x
      - .offset:         150
        .size:           2
        .value_kind:     hidden_group_size_y
      - .offset:         152
        .size:           2
        .value_kind:     hidden_group_size_z
      - .offset:         154
        .size:           2
        .value_kind:     hidden_remainder_x
      - .offset:         156
        .size:           2
        .value_kind:     hidden_remainder_y
      - .offset:         158
        .size:           2
        .value_kind:     hidden_remainder_z
      - .offset:         176
        .size:           8
        .value_kind:     hidden_global_offset_x
      - .offset:         184
        .size:           8
        .value_kind:     hidden_global_offset_y
      - .offset:         192
        .size:           8
        .value_kind:     hidden_global_offset_z
      - .offset:         200
        .size:           2
        .value_kind:     hidden_grid_dims
    .group_segment_fixed_size: 19200
    .kernarg_segment_align: 8
    .kernarg_segment_size: 392
    .language:       OpenCL C
    .language_version:
      - 2
      - 0
    .max_flat_workgroup_size: 256
    .name:           _ZL26rocblas_hemvn_kernel_lowerILb0ELi64ELi4ELi33ELi32ELi16El19rocblas_complex_numIdEPKS1_PS1_EviT6_lT7_lT5_lS6_lS7_lS5_lT8_i
    .private_segment_fixed_size: 0
    .sgpr_count:     58
    .sgpr_spill_count: 0
    .symbol:         _ZL26rocblas_hemvn_kernel_lowerILb0ELi64ELi4ELi33ELi32ELi16El19rocblas_complex_numIdEPKS1_PS1_EviT6_lT7_lT5_lS6_lS7_lS5_lT8_i.kd
    .uniform_work_group_size: 1
    .uses_dynamic_stack: false
    .vgpr_count:     188
    .vgpr_spill_count: 0
    .wavefront_size: 64
  - .agpr_count:     0
    .args:
      - .offset:         0
        .size:           4
        .value_kind:     by_value
      - .offset:         8
        .size:           16
        .value_kind:     by_value
      - .offset:         24
        .size:           8
        .value_kind:     by_value
      - .address_space:  global
        .offset:         32
        .size:           8
        .value_kind:     global_buffer
      - .offset:         40
        .size:           8
        .value_kind:     by_value
      - .offset:         48
        .size:           4
        .value_kind:     by_value
      - .offset:         56
        .size:           8
        .value_kind:     by_value
      - .address_space:  global
        .offset:         64
        .size:           8
        .value_kind:     global_buffer
      - .offset:         72
        .size:           8
        .value_kind:     by_value
      - .offset:         80
        .size:           4
        .value_kind:     by_value
      - .offset:         88
        .size:           8
        .value_kind:     by_value
      - .offset:         96
        .size:           16
        .value_kind:     by_value
      - .offset:         112
        .size:           8
        .value_kind:     by_value
      - .address_space:  global
        .offset:         120
        .size:           8
        .value_kind:     global_buffer
      - .offset:         128
        .size:           4
        .value_kind:     by_value
      - .offset:         136
        .size:           4
        .value_kind:     hidden_block_count_x
      - .offset:         140
        .size:           4
        .value_kind:     hidden_block_count_y
      - .offset:         144
        .size:           4
        .value_kind:     hidden_block_count_z
      - .offset:         148
        .size:           2
        .value_kind:     hidden_group_size_x
      - .offset:         150
        .size:           2
        .value_kind:     hidden_group_size_y
      - .offset:         152
        .size:           2
        .value_kind:     hidden_group_size_z
      - .offset:         154
        .size:           2
        .value_kind:     hidden_remainder_x
      - .offset:         156
        .size:           2
        .value_kind:     hidden_remainder_y
      - .offset:         158
        .size:           2
        .value_kind:     hidden_remainder_z
      - .offset:         176
        .size:           8
        .value_kind:     hidden_global_offset_x
      - .offset:         184
        .size:           8
        .value_kind:     hidden_global_offset_y
      - .offset:         192
        .size:           8
        .value_kind:     hidden_global_offset_z
      - .offset:         200
        .size:           2
        .value_kind:     hidden_grid_dims
    .group_segment_fixed_size: 19200
    .kernarg_segment_align: 8
    .kernarg_segment_size: 392
    .language:       OpenCL C
    .language_version:
      - 2
      - 0
    .max_flat_workgroup_size: 256
    .name:           _ZL26rocblas_hemvn_kernel_lowerILb0ELi64ELi4ELi33ELi32ELi16Ei19rocblas_complex_numIdEPKS1_PS1_EviT6_lT7_lT5_lS6_lS7_lS5_lT8_i
    .private_segment_fixed_size: 0
    .sgpr_count:     48
    .sgpr_spill_count: 0
    .symbol:         _ZL26rocblas_hemvn_kernel_lowerILb0ELi64ELi4ELi33ELi32ELi16Ei19rocblas_complex_numIdEPKS1_PS1_EviT6_lT7_lT5_lS6_lS7_lS5_lT8_i.kd
    .uniform_work_group_size: 1
    .uses_dynamic_stack: false
    .vgpr_count:     186
    .vgpr_spill_count: 0
    .wavefront_size: 64
  - .agpr_count:     0
    .args:
      - .offset:         0
        .size:           1
        .value_kind:     by_value
      - .offset:         4
        .size:           4
        .value_kind:     by_value
      - .offset:         8
        .size:           8
        .value_kind:     by_value
      - .offset:         16
        .size:           8
        .value_kind:     by_value
      - .address_space:  global
        .offset:         24
        .size:           8
        .value_kind:     global_buffer
      - .offset:         32
        .size:           8
        .value_kind:     by_value
      - .offset:         40
        .size:           8
        .value_kind:     by_value
      - .offset:         48
        .size:           8
        .value_kind:     by_value
      - .address_space:  global
        .offset:         56
        .size:           8
        .value_kind:     global_buffer
      - .offset:         64
        .size:           8
        .value_kind:     by_value
      - .offset:         72
        .size:           8
        .value_kind:     by_value
      - .offset:         80
        .size:           8
        .value_kind:     by_value
      - .offset:         88
        .size:           8
        .value_kind:     by_value
      - .offset:         96
        .size:           8
        .value_kind:     by_value
      - .actual_access:  read_only
        .address_space:  global
        .offset:         104
        .size:           8
        .value_kind:     global_buffer
      - .offset:         112
        .size:           8
        .value_kind:     by_value
      - .offset:         120
        .size:           8
        .value_kind:     by_value
      - .offset:         128
        .size:           8
        .value_kind:     by_value
      - .offset:         136
        .size:           4
        .value_kind:     by_value
    .group_segment_fixed_size: 5248
    .kernarg_segment_align: 8
    .kernarg_segment_size: 140
    .language:       OpenCL C
    .language_version:
      - 2
      - 0
    .max_flat_workgroup_size: 128
    .name:           _ZL50rocblas_symv_kernel_upper_double_buffered_diagonalILi32ELi4E24rocblas_internal_val_ptrIfEPKPKfPKPfEvbiT1_lT2_lllSA_lllS9_lT3_llli
    .private_segment_fixed_size: 0
    .sgpr_count:     33
    .sgpr_spill_count: 0
    .symbol:         _ZL50rocblas_symv_kernel_upper_double_buffered_diagonalILi32ELi4E24rocblas_internal_val_ptrIfEPKPKfPKPfEvbiT1_lT2_lllSA_lllS9_lT3_llli.kd
    .uniform_work_group_size: 1
    .uses_dynamic_stack: false
    .vgpr_count:     20
    .vgpr_spill_count: 0
    .wavefront_size: 64
  - .agpr_count:     0
    .args:
      - .offset:         0
        .size:           1
        .value_kind:     by_value
      - .offset:         4
        .size:           4
        .value_kind:     by_value
      - .offset:         8
        .size:           8
        .value_kind:     by_value
      - .offset:         16
        .size:           8
        .value_kind:     by_value
      - .address_space:  global
        .offset:         24
        .size:           8
        .value_kind:     global_buffer
      - .offset:         32
        .size:           8
        .value_kind:     by_value
      - .offset:         40
        .size:           8
        .value_kind:     by_value
      - .offset:         48
        .size:           8
        .value_kind:     by_value
      - .address_space:  global
        .offset:         56
        .size:           8
        .value_kind:     global_buffer
      - .offset:         64
        .size:           8
        .value_kind:     by_value
      - .offset:         72
        .size:           8
        .value_kind:     by_value
      - .offset:         80
        .size:           8
        .value_kind:     by_value
      - .actual_access:  read_only
        .address_space:  global
        .offset:         88
        .size:           8
        .value_kind:     global_buffer
      - .offset:         96
        .size:           8
        .value_kind:     by_value
      - .offset:         104
        .size:           8
        .value_kind:     by_value
      - .offset:         112
        .size:           8
        .value_kind:     by_value
      - .offset:         120
        .size:           4
        .value_kind:     by_value
      - .offset:         128
        .size:           4
        .value_kind:     hidden_block_count_x
      - .offset:         132
        .size:           4
        .value_kind:     hidden_block_count_y
      - .offset:         136
        .size:           4
        .value_kind:     hidden_block_count_z
      - .offset:         140
        .size:           2
        .value_kind:     hidden_group_size_x
      - .offset:         142
        .size:           2
        .value_kind:     hidden_group_size_y
      - .offset:         144
        .size:           2
        .value_kind:     hidden_group_size_z
      - .offset:         146
        .size:           2
        .value_kind:     hidden_remainder_x
      - .offset:         148
        .size:           2
        .value_kind:     hidden_remainder_y
      - .offset:         150
        .size:           2
        .value_kind:     hidden_remainder_z
      - .offset:         168
        .size:           8
        .value_kind:     hidden_global_offset_x
      - .offset:         176
        .size:           8
        .value_kind:     hidden_global_offset_y
      - .offset:         184
        .size:           8
        .value_kind:     hidden_global_offset_z
      - .offset:         192
        .size:           2
        .value_kind:     hidden_grid_dims
    .group_segment_fixed_size: 3200
    .kernarg_segment_align: 8
    .kernarg_segment_size: 384
    .language:       OpenCL C
    .language_version:
      - 2
      - 0
    .max_flat_workgroup_size: 128
    .name:           _ZL54rocblas_symv_kernel_upper_double_buffered_non_diagonalILi32ELi4ELi4E24rocblas_internal_val_ptrIfEPKPKfPKPfEvbiT2_lT3_lllSA_lllT4_llli
    .private_segment_fixed_size: 0
    .sgpr_count:     34
    .sgpr_spill_count: 0
    .symbol:         _ZL54rocblas_symv_kernel_upper_double_buffered_non_diagonalILi32ELi4ELi4E24rocblas_internal_val_ptrIfEPKPKfPKPfEvbiT2_lT3_lllSA_lllT4_llli.kd
    .uniform_work_group_size: 1
    .uses_dynamic_stack: false
    .vgpr_count:     55
    .vgpr_spill_count: 0
    .wavefront_size: 64
  - .agpr_count:     0
    .args:
      - .offset:         0
        .size:           1
        .value_kind:     by_value
      - .offset:         4
        .size:           4
        .value_kind:     by_value
      - .offset:         8
        .size:           8
        .value_kind:     by_value
      - .offset:         16
        .size:           8
        .value_kind:     by_value
      - .address_space:  global
        .offset:         24
        .size:           8
        .value_kind:     global_buffer
      - .offset:         32
        .size:           8
        .value_kind:     by_value
      - .offset:         40
        .size:           8
        .value_kind:     by_value
      - .offset:         48
        .size:           8
        .value_kind:     by_value
      - .address_space:  global
        .offset:         56
        .size:           8
        .value_kind:     global_buffer
      - .offset:         64
        .size:           8
        .value_kind:     by_value
      - .offset:         72
        .size:           8
        .value_kind:     by_value
      - .offset:         80
        .size:           8
        .value_kind:     by_value
      - .offset:         88
        .size:           8
        .value_kind:     by_value
      - .offset:         96
        .size:           8
        .value_kind:     by_value
      - .actual_access:  read_only
        .address_space:  global
        .offset:         104
        .size:           8
        .value_kind:     global_buffer
      - .offset:         112
        .size:           8
        .value_kind:     by_value
      - .offset:         120
        .size:           8
        .value_kind:     by_value
      - .offset:         128
        .size:           8
        .value_kind:     by_value
      - .offset:         136
        .size:           4
        .value_kind:     by_value
      - .offset:         140
        .size:           4
        .value_kind:     by_value
      - .offset:         144
        .size:           4
        .value_kind:     hidden_block_count_x
      - .offset:         148
        .size:           4
        .value_kind:     hidden_block_count_y
      - .offset:         152
        .size:           4
        .value_kind:     hidden_block_count_z
      - .offset:         156
        .size:           2
        .value_kind:     hidden_group_size_x
      - .offset:         158
        .size:           2
        .value_kind:     hidden_group_size_y
      - .offset:         160
        .size:           2
        .value_kind:     hidden_group_size_z
      - .offset:         162
        .size:           2
        .value_kind:     hidden_remainder_x
      - .offset:         164
        .size:           2
        .value_kind:     hidden_remainder_y
      - .offset:         166
        .size:           2
        .value_kind:     hidden_remainder_z
      - .offset:         184
        .size:           8
        .value_kind:     hidden_global_offset_x
      - .offset:         192
        .size:           8
        .value_kind:     hidden_global_offset_y
      - .offset:         200
        .size:           8
        .value_kind:     hidden_global_offset_z
      - .offset:         208
        .size:           2
        .value_kind:     hidden_grid_dims
    .group_segment_fixed_size: 6272
    .kernarg_segment_align: 8
    .kernarg_segment_size: 400
    .language:       OpenCL C
    .language_version:
      - 2
      - 0
    .max_flat_workgroup_size: 256
    .name:           _ZL58rocblas_symv_kernel_upper_double_buffered_diagonal_genericILi32ELi8E24rocblas_internal_val_ptrIfEPKPKfPKPfEvbiT1_lT2_lllSA_lllS9_lT3_lllii
    .private_segment_fixed_size: 0
    .sgpr_count:     42
    .sgpr_spill_count: 0
    .symbol:         _ZL58rocblas_symv_kernel_upper_double_buffered_diagonal_genericILi32ELi8E24rocblas_internal_val_ptrIfEPKPKfPKPfEvbiT1_lT2_lllSA_lllS9_lT3_lllii.kd
    .uniform_work_group_size: 1
    .uses_dynamic_stack: false
    .vgpr_count:     18
    .vgpr_spill_count: 0
    .wavefront_size: 64
  - .agpr_count:     0
    .args:
      - .offset:         0
        .size:           1
        .value_kind:     by_value
      - .offset:         4
        .size:           4
        .value_kind:     by_value
      - .offset:         8
        .size:           8
        .value_kind:     by_value
      - .offset:         16
        .size:           8
        .value_kind:     by_value
      - .address_space:  global
        .offset:         24
        .size:           8
        .value_kind:     global_buffer
      - .offset:         32
        .size:           8
        .value_kind:     by_value
      - .offset:         40
        .size:           8
        .value_kind:     by_value
      - .offset:         48
        .size:           8
        .value_kind:     by_value
      - .address_space:  global
        .offset:         56
        .size:           8
        .value_kind:     global_buffer
      - .offset:         64
        .size:           8
        .value_kind:     by_value
      - .offset:         72
        .size:           8
        .value_kind:     by_value
      - .offset:         80
        .size:           8
        .value_kind:     by_value
      - .actual_access:  read_only
        .address_space:  global
        .offset:         88
        .size:           8
        .value_kind:     global_buffer
      - .offset:         96
        .size:           8
        .value_kind:     by_value
      - .offset:         104
        .size:           8
        .value_kind:     by_value
      - .offset:         112
        .size:           8
        .value_kind:     by_value
      - .offset:         120
        .size:           4
        .value_kind:     by_value
      - .offset:         124
        .size:           4
        .value_kind:     by_value
      - .offset:         128
        .size:           4
        .value_kind:     hidden_block_count_x
      - .offset:         132
        .size:           4
        .value_kind:     hidden_block_count_y
      - .offset:         136
        .size:           4
        .value_kind:     hidden_block_count_z
      - .offset:         140
        .size:           2
        .value_kind:     hidden_group_size_x
      - .offset:         142
        .size:           2
        .value_kind:     hidden_group_size_y
      - .offset:         144
        .size:           2
        .value_kind:     hidden_group_size_z
      - .offset:         146
        .size:           2
        .value_kind:     hidden_remainder_x
      - .offset:         148
        .size:           2
        .value_kind:     hidden_remainder_y
      - .offset:         150
        .size:           2
        .value_kind:     hidden_remainder_z
      - .offset:         168
        .size:           8
        .value_kind:     hidden_global_offset_x
      - .offset:         176
        .size:           8
        .value_kind:     hidden_global_offset_y
      - .offset:         184
        .size:           8
        .value_kind:     hidden_global_offset_z
      - .offset:         192
        .size:           2
        .value_kind:     hidden_grid_dims
    .group_segment_fixed_size: 4224
    .kernarg_segment_align: 8
    .kernarg_segment_size: 384
    .language:       OpenCL C
    .language_version:
      - 2
      - 0
    .max_flat_workgroup_size: 256
    .name:           _ZL62rocblas_symv_kernel_upper_double_buffered_non_diagonal_genericILi32ELi8ELi2ELi0E24rocblas_internal_val_ptrIfEPKPKfPKPfEvbiT3_lT4_lllSA_lllT5_lllii
    .private_segment_fixed_size: 0
    .sgpr_count:     42
    .sgpr_spill_count: 0
    .symbol:         _ZL62rocblas_symv_kernel_upper_double_buffered_non_diagonal_genericILi32ELi8ELi2ELi0E24rocblas_internal_val_ptrIfEPKPKfPKPfEvbiT3_lT4_lllSA_lllT5_lllii.kd
    .uniform_work_group_size: 1
    .uses_dynamic_stack: false
    .vgpr_count:     41
    .vgpr_spill_count: 0
    .wavefront_size: 64
  - .agpr_count:     0
    .args:
      - .offset:         0
        .size:           1
        .value_kind:     by_value
      - .offset:         4
        .size:           4
        .value_kind:     by_value
      - .offset:         8
        .size:           8
        .value_kind:     by_value
      - .offset:         16
        .size:           8
        .value_kind:     by_value
      - .address_space:  global
        .offset:         24
        .size:           8
        .value_kind:     global_buffer
      - .offset:         32
        .size:           8
        .value_kind:     by_value
      - .offset:         40
        .size:           8
        .value_kind:     by_value
      - .offset:         48
        .size:           8
        .value_kind:     by_value
      - .address_space:  global
        .offset:         56
        .size:           8
        .value_kind:     global_buffer
      - .offset:         64
        .size:           8
        .value_kind:     by_value
      - .offset:         72
        .size:           8
        .value_kind:     by_value
      - .offset:         80
        .size:           8
        .value_kind:     by_value
      - .actual_access:  read_only
        .address_space:  global
        .offset:         88
        .size:           8
        .value_kind:     global_buffer
      - .offset:         96
        .size:           8
        .value_kind:     by_value
      - .offset:         104
        .size:           8
        .value_kind:     by_value
      - .offset:         112
        .size:           8
        .value_kind:     by_value
      - .offset:         120
        .size:           4
        .value_kind:     by_value
      - .offset:         124
        .size:           4
        .value_kind:     by_value
      - .offset:         128
        .size:           4
        .value_kind:     hidden_block_count_x
      - .offset:         132
        .size:           4
        .value_kind:     hidden_block_count_y
      - .offset:         136
        .size:           4
        .value_kind:     hidden_block_count_z
      - .offset:         140
        .size:           2
        .value_kind:     hidden_group_size_x
      - .offset:         142
        .size:           2
        .value_kind:     hidden_group_size_y
      - .offset:         144
        .size:           2
        .value_kind:     hidden_group_size_z
      - .offset:         146
        .size:           2
        .value_kind:     hidden_remainder_x
      - .offset:         148
        .size:           2
        .value_kind:     hidden_remainder_y
      - .offset:         150
        .size:           2
        .value_kind:     hidden_remainder_z
      - .offset:         168
        .size:           8
        .value_kind:     hidden_global_offset_x
      - .offset:         176
        .size:           8
        .value_kind:     hidden_global_offset_y
      - .offset:         184
        .size:           8
        .value_kind:     hidden_global_offset_z
      - .offset:         192
        .size:           2
        .value_kind:     hidden_grid_dims
    .group_segment_fixed_size: 4224
    .kernarg_segment_align: 8
    .kernarg_segment_size: 384
    .language:       OpenCL C
    .language_version:
      - 2
      - 0
    .max_flat_workgroup_size: 256
    .name:           _ZL62rocblas_symv_kernel_upper_double_buffered_non_diagonal_genericILi32ELi8ELi2ELi1E24rocblas_internal_val_ptrIfEPKPKfPKPfEvbiT3_lT4_lllSA_lllT5_lllii
    .private_segment_fixed_size: 0
    .sgpr_count:     45
    .sgpr_spill_count: 0
    .symbol:         _ZL62rocblas_symv_kernel_upper_double_buffered_non_diagonal_genericILi32ELi8ELi2ELi1E24rocblas_internal_val_ptrIfEPKPKfPKPfEvbiT3_lT4_lllSA_lllT5_lllii.kd
    .uniform_work_group_size: 1
    .uses_dynamic_stack: false
    .vgpr_count:     41
    .vgpr_spill_count: 0
    .wavefront_size: 64
  - .agpr_count:     0
    .args:
      - .offset:         0
        .size:           4
        .value_kind:     by_value
      - .address_space:  global
        .offset:         8
        .size:           8
        .value_kind:     global_buffer
      - .offset:         16
        .size:           8
        .value_kind:     by_value
      - .address_space:  global
        .offset:         24
        .size:           8
        .value_kind:     global_buffer
      - .offset:         32
        .size:           8
        .value_kind:     by_value
      - .offset:         40
        .size:           8
        .value_kind:     by_value
      - .offset:         48
        .size:           8
        .value_kind:     by_value
      - .address_space:  global
        .offset:         56
        .size:           8
        .value_kind:     global_buffer
      - .offset:         64
        .size:           8
        .value_kind:     by_value
      - .offset:         72
        .size:           8
        .value_kind:     by_value
      - .offset:         80
        .size:           8
        .value_kind:     by_value
      - .address_space:  global
        .offset:         88
        .size:           8
        .value_kind:     global_buffer
      - .offset:         96
        .size:           8
        .value_kind:     by_value
      - .address_space:  global
        .offset:         104
        .size:           8
        .value_kind:     global_buffer
      - .offset:         112
        .size:           4
        .value_kind:     by_value
      - .offset:         120
        .size:           4
        .value_kind:     hidden_block_count_x
      - .offset:         124
        .size:           4
        .value_kind:     hidden_block_count_y
      - .offset:         128
        .size:           4
        .value_kind:     hidden_block_count_z
      - .offset:         132
        .size:           2
        .value_kind:     hidden_group_size_x
      - .offset:         134
        .size:           2
        .value_kind:     hidden_group_size_y
      - .offset:         136
        .size:           2
        .value_kind:     hidden_group_size_z
      - .offset:         138
        .size:           2
        .value_kind:     hidden_remainder_x
      - .offset:         140
        .size:           2
        .value_kind:     hidden_remainder_y
      - .offset:         142
        .size:           2
        .value_kind:     hidden_remainder_z
      - .offset:         160
        .size:           8
        .value_kind:     hidden_global_offset_x
      - .offset:         168
        .size:           8
        .value_kind:     hidden_global_offset_y
      - .offset:         176
        .size:           8
        .value_kind:     hidden_global_offset_z
      - .offset:         184
        .size:           2
        .value_kind:     hidden_grid_dims
    .group_segment_fixed_size: 4800
    .kernarg_segment_align: 8
    .kernarg_segment_size: 376
    .language:       OpenCL C
    .language_version:
      - 2
      - 0
    .max_flat_workgroup_size: 256
    .name:           _ZL26rocblas_hemvn_kernel_upperILb0ELi64ELi4ELi33ELi32ELi16ElPKfPKS1_PfEviT6_lT7_lT5_lS6_lS7_lS5_lT8_i
    .private_segment_fixed_size: 0
    .sgpr_count:     47
    .sgpr_spill_count: 0
    .symbol:         _ZL26rocblas_hemvn_kernel_upperILb0ELi64ELi4ELi33ELi32ELi16ElPKfPKS1_PfEviT6_lT7_lT5_lS6_lS7_lS5_lT8_i.kd
    .uniform_work_group_size: 1
    .uses_dynamic_stack: false
    .vgpr_count:     110
    .vgpr_spill_count: 0
    .wavefront_size: 64
  - .agpr_count:     0
    .args:
      - .offset:         0
        .size:           4
        .value_kind:     by_value
      - .address_space:  global
        .offset:         8
        .size:           8
        .value_kind:     global_buffer
      - .offset:         16
        .size:           8
        .value_kind:     by_value
      - .address_space:  global
        .offset:         24
        .size:           8
        .value_kind:     global_buffer
      - .offset:         32
        .size:           8
        .value_kind:     by_value
      - .actual_access:  read_only
        .address_space:  global
        .offset:         40
        .size:           8
        .value_kind:     global_buffer
      - .offset:         48
        .size:           8
        .value_kind:     by_value
      - .offset:         56
        .size:           8
        .value_kind:     by_value
      - .offset:         64
        .size:           8
        .value_kind:     by_value
      - .address_space:  global
        .offset:         72
        .size:           8
        .value_kind:     global_buffer
      - .offset:         80
        .size:           4
        .value_kind:     by_value
      - .offset:         88
        .size:           4
        .value_kind:     hidden_block_count_x
      - .offset:         92
        .size:           4
        .value_kind:     hidden_block_count_y
      - .offset:         96
        .size:           4
        .value_kind:     hidden_block_count_z
      - .offset:         100
        .size:           2
        .value_kind:     hidden_group_size_x
      - .offset:         102
        .size:           2
        .value_kind:     hidden_group_size_y
      - .offset:         104
        .size:           2
        .value_kind:     hidden_group_size_z
      - .offset:         106
        .size:           2
        .value_kind:     hidden_remainder_x
      - .offset:         108
        .size:           2
        .value_kind:     hidden_remainder_y
      - .offset:         110
        .size:           2
        .value_kind:     hidden_remainder_z
      - .offset:         128
        .size:           8
        .value_kind:     hidden_global_offset_x
      - .offset:         136
        .size:           8
        .value_kind:     hidden_global_offset_y
      - .offset:         144
        .size:           8
        .value_kind:     hidden_global_offset_z
      - .offset:         152
        .size:           2
        .value_kind:     hidden_grid_dims
    .group_segment_fixed_size: 0
    .kernarg_segment_align: 8
    .kernarg_segment_size: 344
    .language:       OpenCL C
    .language_version:
      - 2
      - 0
    .max_flat_workgroup_size: 64
    .name:           _ZL36rocblas_hemvn_kernel_upper_block_sumILi64ElPKfPKPffEviT1_lS5_lT2_lT0_lPT3_i
    .private_segment_fixed_size: 0
    .sgpr_count:     27
    .sgpr_spill_count: 0
    .symbol:         _ZL36rocblas_hemvn_kernel_upper_block_sumILi64ElPKfPKPffEviT1_lS5_lT2_lT0_lPT3_i.kd
    .uniform_work_group_size: 1
    .uses_dynamic_stack: false
    .vgpr_count:     7
    .vgpr_spill_count: 0
    .wavefront_size: 64
  - .agpr_count:     0
    .args:
      - .offset:         0
        .size:           4
        .value_kind:     by_value
      - .address_space:  global
        .offset:         8
        .size:           8
        .value_kind:     global_buffer
      - .offset:         16
        .size:           8
        .value_kind:     by_value
      - .address_space:  global
        .offset:         24
        .size:           8
        .value_kind:     global_buffer
      - .offset:         32
        .size:           8
        .value_kind:     by_value
      - .offset:         40
        .size:           4
        .value_kind:     by_value
      - .offset:         48
        .size:           8
        .value_kind:     by_value
      - .address_space:  global
        .offset:         56
        .size:           8
        .value_kind:     global_buffer
      - .offset:         64
        .size:           8
        .value_kind:     by_value
      - .offset:         72
        .size:           4
        .value_kind:     by_value
      - .offset:         80
        .size:           8
        .value_kind:     by_value
      - .address_space:  global
        .offset:         88
        .size:           8
        .value_kind:     global_buffer
      - .offset:         96
        .size:           8
        .value_kind:     by_value
      - .address_space:  global
        .offset:         104
        .size:           8
        .value_kind:     global_buffer
      - .offset:         112
        .size:           4
        .value_kind:     by_value
      - .offset:         120
        .size:           4
        .value_kind:     hidden_block_count_x
      - .offset:         124
        .size:           4
        .value_kind:     hidden_block_count_y
      - .offset:         128
        .size:           4
        .value_kind:     hidden_block_count_z
      - .offset:         132
        .size:           2
        .value_kind:     hidden_group_size_x
      - .offset:         134
        .size:           2
        .value_kind:     hidden_group_size_y
      - .offset:         136
        .size:           2
        .value_kind:     hidden_group_size_z
      - .offset:         138
        .size:           2
        .value_kind:     hidden_remainder_x
      - .offset:         140
        .size:           2
        .value_kind:     hidden_remainder_y
      - .offset:         142
        .size:           2
        .value_kind:     hidden_remainder_z
      - .offset:         160
        .size:           8
        .value_kind:     hidden_global_offset_x
      - .offset:         168
        .size:           8
        .value_kind:     hidden_global_offset_y
      - .offset:         176
        .size:           8
        .value_kind:     hidden_global_offset_z
      - .offset:         184
        .size:           2
        .value_kind:     hidden_grid_dims
    .group_segment_fixed_size: 4800
    .kernarg_segment_align: 8
    .kernarg_segment_size: 376
    .language:       OpenCL C
    .language_version:
      - 2
      - 0
    .max_flat_workgroup_size: 256
    .name:           _ZL26rocblas_hemvn_kernel_upperILb0ELi64ELi4ELi33ELi32ELi16EiPKfPKS1_PfEviT6_lT7_lT5_lS6_lS7_lS5_lT8_i
    .private_segment_fixed_size: 0
    .sgpr_count:     51
    .sgpr_spill_count: 0
    .symbol:         _ZL26rocblas_hemvn_kernel_upperILb0ELi64ELi4ELi33ELi32ELi16EiPKfPKS1_PfEviT6_lT7_lT5_lS6_lS7_lS5_lT8_i.kd
    .uniform_work_group_size: 1
    .uses_dynamic_stack: false
    .vgpr_count:     130
    .vgpr_spill_count: 0
    .wavefront_size: 64
  - .agpr_count:     0
    .args:
      - .offset:         0
        .size:           4
        .value_kind:     by_value
      - .address_space:  global
        .offset:         8
        .size:           8
        .value_kind:     global_buffer
      - .offset:         16
        .size:           8
        .value_kind:     by_value
      - .address_space:  global
        .offset:         24
        .size:           8
        .value_kind:     global_buffer
      - .offset:         32
        .size:           8
        .value_kind:     by_value
      - .actual_access:  read_only
        .address_space:  global
        .offset:         40
        .size:           8
        .value_kind:     global_buffer
      - .offset:         48
        .size:           8
        .value_kind:     by_value
      - .offset:         56
        .size:           4
        .value_kind:     by_value
      - .offset:         64
        .size:           8
        .value_kind:     by_value
      - .address_space:  global
        .offset:         72
        .size:           8
        .value_kind:     global_buffer
      - .offset:         80
        .size:           4
        .value_kind:     by_value
      - .offset:         88
        .size:           4
        .value_kind:     hidden_block_count_x
      - .offset:         92
        .size:           4
        .value_kind:     hidden_block_count_y
      - .offset:         96
        .size:           4
        .value_kind:     hidden_block_count_z
      - .offset:         100
        .size:           2
        .value_kind:     hidden_group_size_x
      - .offset:         102
        .size:           2
        .value_kind:     hidden_group_size_y
      - .offset:         104
        .size:           2
        .value_kind:     hidden_group_size_z
      - .offset:         106
        .size:           2
        .value_kind:     hidden_remainder_x
      - .offset:         108
        .size:           2
        .value_kind:     hidden_remainder_y
      - .offset:         110
        .size:           2
        .value_kind:     hidden_remainder_z
      - .offset:         128
        .size:           8
        .value_kind:     hidden_global_offset_x
      - .offset:         136
        .size:           8
        .value_kind:     hidden_global_offset_y
      - .offset:         144
        .size:           8
        .value_kind:     hidden_global_offset_z
      - .offset:         152
        .size:           2
        .value_kind:     hidden_grid_dims
    .group_segment_fixed_size: 0
    .kernarg_segment_align: 8
    .kernarg_segment_size: 344
    .language:       OpenCL C
    .language_version:
      - 2
      - 0
    .max_flat_workgroup_size: 64
    .name:           _ZL36rocblas_hemvn_kernel_upper_block_sumILi64EiPKfPKPffEviT1_lS5_lT2_lT0_lPT3_i
    .private_segment_fixed_size: 0
    .sgpr_count:     26
    .sgpr_spill_count: 0
    .symbol:         _ZL36rocblas_hemvn_kernel_upper_block_sumILi64EiPKfPKPffEviT1_lS5_lT2_lT0_lPT3_i.kd
    .uniform_work_group_size: 1
    .uses_dynamic_stack: false
    .vgpr_count:     6
    .vgpr_spill_count: 0
    .wavefront_size: 64
  - .agpr_count:     0
    .args:
      - .offset:         0
        .size:           4
        .value_kind:     by_value
      - .offset:         4
        .size:           4
        .value_kind:     by_value
      - .offset:         8
        .size:           8
        .value_kind:     by_value
      - .address_space:  global
        .offset:         16
        .size:           8
        .value_kind:     global_buffer
      - .offset:         24
        .size:           8
        .value_kind:     by_value
      - .offset:         32
        .size:           8
        .value_kind:     by_value
      - .offset:         40
        .size:           8
        .value_kind:     by_value
      - .address_space:  global
        .offset:         48
        .size:           8
        .value_kind:     global_buffer
      - .offset:         56
        .size:           8
        .value_kind:     by_value
      - .offset:         64
        .size:           8
        .value_kind:     by_value
      - .offset:         72
        .size:           8
        .value_kind:     by_value
      - .offset:         80
        .size:           4
        .value_kind:     by_value
      - .offset:         88
        .size:           8
        .value_kind:     by_value
      - .address_space:  global
        .offset:         96
        .size:           8
        .value_kind:     global_buffer
      - .offset:         104
        .size:           4
        .value_kind:     by_value
      - .offset:         112
        .size:           4
        .value_kind:     hidden_block_count_x
      - .offset:         116
        .size:           4
        .value_kind:     hidden_block_count_y
      - .offset:         120
        .size:           4
        .value_kind:     hidden_block_count_z
      - .offset:         124
        .size:           2
        .value_kind:     hidden_group_size_x
      - .offset:         126
        .size:           2
        .value_kind:     hidden_group_size_y
      - .offset:         128
        .size:           2
        .value_kind:     hidden_group_size_z
      - .offset:         130
        .size:           2
        .value_kind:     hidden_remainder_x
      - .offset:         132
        .size:           2
        .value_kind:     hidden_remainder_y
      - .offset:         134
        .size:           2
        .value_kind:     hidden_remainder_z
      - .offset:         152
        .size:           8
        .value_kind:     hidden_global_offset_x
      - .offset:         160
        .size:           8
        .value_kind:     hidden_global_offset_y
      - .offset:         168
        .size:           8
        .value_kind:     hidden_global_offset_z
      - .offset:         176
        .size:           2
        .value_kind:     hidden_grid_dims
    .group_segment_fixed_size: 4800
    .kernarg_segment_align: 8
    .kernarg_segment_size: 368
    .language:       OpenCL C
    .language_version:
      - 2
      - 0
    .max_flat_workgroup_size: 256
    .name:           _ZL26rocblas_hemvn_kernel_upperILb0ELi64ELi4ELi33ELi32ELi16ElfPKPKfPfEviT6_lT7_lT5_lS6_lS7_lS5_lT8_i
    .private_segment_fixed_size: 0
    .sgpr_count:     47
    .sgpr_spill_count: 0
    .symbol:         _ZL26rocblas_hemvn_kernel_upperILb0ELi64ELi4ELi33ELi32ELi16ElfPKPKfPfEviT6_lT7_lT5_lS6_lS7_lS5_lT8_i.kd
    .uniform_work_group_size: 1
    .uses_dynamic_stack: false
    .vgpr_count:     110
    .vgpr_spill_count: 0
    .wavefront_size: 64
  - .agpr_count:     0
    .args:
      - .offset:         0
        .size:           4
        .value_kind:     by_value
      - .offset:         4
        .size:           4
        .value_kind:     by_value
      - .offset:         8
        .size:           8
        .value_kind:     by_value
      - .offset:         16
        .size:           4
        .value_kind:     by_value
      - .offset:         24
        .size:           8
        .value_kind:     by_value
      - .actual_access:  read_only
        .address_space:  global
        .offset:         32
        .size:           8
        .value_kind:     global_buffer
      - .offset:         40
        .size:           8
        .value_kind:     by_value
      - .offset:         48
        .size:           8
        .value_kind:     by_value
      - .offset:         56
        .size:           8
        .value_kind:     by_value
      - .address_space:  global
        .offset:         64
        .size:           8
        .value_kind:     global_buffer
      - .offset:         72
        .size:           4
        .value_kind:     by_value
      - .offset:         80
        .size:           4
        .value_kind:     hidden_block_count_x
      - .offset:         84
        .size:           4
        .value_kind:     hidden_block_count_y
      - .offset:         88
        .size:           4
        .value_kind:     hidden_block_count_z
      - .offset:         92
        .size:           2
        .value_kind:     hidden_group_size_x
      - .offset:         94
        .size:           2
        .value_kind:     hidden_group_size_y
      - .offset:         96
        .size:           2
        .value_kind:     hidden_group_size_z
      - .offset:         98
        .size:           2
        .value_kind:     hidden_remainder_x
      - .offset:         100
        .size:           2
        .value_kind:     hidden_remainder_y
      - .offset:         102
        .size:           2
        .value_kind:     hidden_remainder_z
      - .offset:         120
        .size:           8
        .value_kind:     hidden_global_offset_x
      - .offset:         128
        .size:           8
        .value_kind:     hidden_global_offset_y
      - .offset:         136
        .size:           8
        .value_kind:     hidden_global_offset_z
      - .offset:         144
        .size:           2
        .value_kind:     hidden_grid_dims
    .group_segment_fixed_size: 0
    .kernarg_segment_align: 8
    .kernarg_segment_size: 336
    .language:       OpenCL C
    .language_version:
      - 2
      - 0
    .max_flat_workgroup_size: 64
    .name:           _ZL36rocblas_hemvn_kernel_upper_block_sumILi64ElfPKPffEviT1_lS3_lT2_lT0_lPT3_i
    .private_segment_fixed_size: 0
    .sgpr_count:     26
    .sgpr_spill_count: 0
    .symbol:         _ZL36rocblas_hemvn_kernel_upper_block_sumILi64ElfPKPffEviT1_lS3_lT2_lT0_lPT3_i.kd
    .uniform_work_group_size: 1
    .uses_dynamic_stack: false
    .vgpr_count:     7
    .vgpr_spill_count: 0
    .wavefront_size: 64
  - .agpr_count:     0
    .args:
      - .offset:         0
        .size:           4
        .value_kind:     by_value
      - .offset:         4
        .size:           4
        .value_kind:     by_value
      - .offset:         8
        .size:           8
        .value_kind:     by_value
      - .address_space:  global
        .offset:         16
        .size:           8
        .value_kind:     global_buffer
      - .offset:         24
        .size:           8
        .value_kind:     by_value
      - .offset:         32
        .size:           4
        .value_kind:     by_value
      - .offset:         40
        .size:           8
        .value_kind:     by_value
      - .address_space:  global
        .offset:         48
        .size:           8
        .value_kind:     global_buffer
      - .offset:         56
        .size:           8
        .value_kind:     by_value
      - .offset:         64
        .size:           4
        .value_kind:     by_value
      - .offset:         72
        .size:           8
        .value_kind:     by_value
      - .offset:         80
        .size:           4
        .value_kind:     by_value
      - .offset:         88
        .size:           8
        .value_kind:     by_value
      - .address_space:  global
        .offset:         96
        .size:           8
        .value_kind:     global_buffer
      - .offset:         104
        .size:           4
        .value_kind:     by_value
      - .offset:         112
        .size:           4
        .value_kind:     hidden_block_count_x
      - .offset:         116
        .size:           4
        .value_kind:     hidden_block_count_y
      - .offset:         120
        .size:           4
        .value_kind:     hidden_block_count_z
      - .offset:         124
        .size:           2
        .value_kind:     hidden_group_size_x
      - .offset:         126
        .size:           2
        .value_kind:     hidden_group_size_y
      - .offset:         128
        .size:           2
        .value_kind:     hidden_group_size_z
      - .offset:         130
        .size:           2
        .value_kind:     hidden_remainder_x
      - .offset:         132
        .size:           2
        .value_kind:     hidden_remainder_y
      - .offset:         134
        .size:           2
        .value_kind:     hidden_remainder_z
      - .offset:         152
        .size:           8
        .value_kind:     hidden_global_offset_x
      - .offset:         160
        .size:           8
        .value_kind:     hidden_global_offset_y
      - .offset:         168
        .size:           8
        .value_kind:     hidden_global_offset_z
      - .offset:         176
        .size:           2
        .value_kind:     hidden_grid_dims
    .group_segment_fixed_size: 4800
    .kernarg_segment_align: 8
    .kernarg_segment_size: 368
    .language:       OpenCL C
    .language_version:
      - 2
      - 0
    .max_flat_workgroup_size: 256
    .name:           _ZL26rocblas_hemvn_kernel_upperILb0ELi64ELi4ELi33ELi32ELi16EifPKPKfPfEviT6_lT7_lT5_lS6_lS7_lS5_lT8_i
    .private_segment_fixed_size: 0
    .sgpr_count:     52
    .sgpr_spill_count: 0
    .symbol:         _ZL26rocblas_hemvn_kernel_upperILb0ELi64ELi4ELi33ELi32ELi16EifPKPKfPfEviT6_lT7_lT5_lS6_lS7_lS5_lT8_i.kd
    .uniform_work_group_size: 1
    .uses_dynamic_stack: false
    .vgpr_count:     130
    .vgpr_spill_count: 0
    .wavefront_size: 64
  - .agpr_count:     0
    .args:
      - .offset:         0
        .size:           4
        .value_kind:     by_value
      - .offset:         4
        .size:           4
        .value_kind:     by_value
      - .offset:         8
        .size:           8
        .value_kind:     by_value
      - .offset:         16
        .size:           4
        .value_kind:     by_value
      - .offset:         24
        .size:           8
        .value_kind:     by_value
      - .actual_access:  read_only
        .address_space:  global
        .offset:         32
        .size:           8
        .value_kind:     global_buffer
      - .offset:         40
        .size:           8
        .value_kind:     by_value
      - .offset:         48
        .size:           4
        .value_kind:     by_value
      - .offset:         56
        .size:           8
        .value_kind:     by_value
      - .address_space:  global
        .offset:         64
        .size:           8
        .value_kind:     global_buffer
      - .offset:         72
        .size:           4
        .value_kind:     by_value
      - .offset:         80
        .size:           4
        .value_kind:     hidden_block_count_x
      - .offset:         84
        .size:           4
        .value_kind:     hidden_block_count_y
      - .offset:         88
        .size:           4
        .value_kind:     hidden_block_count_z
      - .offset:         92
        .size:           2
        .value_kind:     hidden_group_size_x
      - .offset:         94
        .size:           2
        .value_kind:     hidden_group_size_y
      - .offset:         96
        .size:           2
        .value_kind:     hidden_group_size_z
      - .offset:         98
        .size:           2
        .value_kind:     hidden_remainder_x
      - .offset:         100
        .size:           2
        .value_kind:     hidden_remainder_y
      - .offset:         102
        .size:           2
        .value_kind:     hidden_remainder_z
      - .offset:         120
        .size:           8
        .value_kind:     hidden_global_offset_x
      - .offset:         128
        .size:           8
        .value_kind:     hidden_global_offset_y
      - .offset:         136
        .size:           8
        .value_kind:     hidden_global_offset_z
      - .offset:         144
        .size:           2
        .value_kind:     hidden_grid_dims
    .group_segment_fixed_size: 0
    .kernarg_segment_align: 8
    .kernarg_segment_size: 336
    .language:       OpenCL C
    .language_version:
      - 2
      - 0
    .max_flat_workgroup_size: 64
    .name:           _ZL36rocblas_hemvn_kernel_upper_block_sumILi64EifPKPffEviT1_lS3_lT2_lT0_lPT3_i
    .private_segment_fixed_size: 0
    .sgpr_count:     25
    .sgpr_spill_count: 0
    .symbol:         _ZL36rocblas_hemvn_kernel_upper_block_sumILi64EifPKPffEviT1_lS3_lT2_lT0_lPT3_i.kd
    .uniform_work_group_size: 1
    .uses_dynamic_stack: false
    .vgpr_count:     6
    .vgpr_spill_count: 0
    .wavefront_size: 64
  - .agpr_count:     0
    .args:
      - .offset:         0
        .size:           1
        .value_kind:     by_value
      - .offset:         4
        .size:           4
        .value_kind:     by_value
      - .offset:         8
        .size:           8
        .value_kind:     by_value
      - .offset:         16
        .size:           8
        .value_kind:     by_value
      - .address_space:  global
        .offset:         24
        .size:           8
        .value_kind:     global_buffer
      - .offset:         32
        .size:           8
        .value_kind:     by_value
      - .offset:         40
        .size:           8
        .value_kind:     by_value
      - .offset:         48
        .size:           8
        .value_kind:     by_value
      - .address_space:  global
        .offset:         56
        .size:           8
        .value_kind:     global_buffer
      - .offset:         64
        .size:           8
        .value_kind:     by_value
      - .offset:         72
        .size:           8
        .value_kind:     by_value
      - .offset:         80
        .size:           8
        .value_kind:     by_value
      - .offset:         88
        .size:           8
        .value_kind:     by_value
      - .offset:         96
        .size:           8
        .value_kind:     by_value
      - .actual_access:  read_only
        .address_space:  global
        .offset:         104
        .size:           8
        .value_kind:     global_buffer
      - .offset:         112
        .size:           8
        .value_kind:     by_value
      - .offset:         120
        .size:           8
        .value_kind:     by_value
      - .offset:         128
        .size:           8
        .value_kind:     by_value
      - .offset:         136
        .size:           4
        .value_kind:     by_value
    .group_segment_fixed_size: 5248
    .kernarg_segment_align: 8
    .kernarg_segment_size: 140
    .language:       OpenCL C
    .language_version:
      - 2
      - 0
    .max_flat_workgroup_size: 128
    .name:           _ZL50rocblas_symv_kernel_lower_double_buffered_diagonalILi32ELi4E24rocblas_internal_val_ptrIfEPKPKfPKPfEvbiT1_lT2_lllSA_lllS9_lT3_llli
    .private_segment_fixed_size: 0
    .sgpr_count:     33
    .sgpr_spill_count: 0
    .symbol:         _ZL50rocblas_symv_kernel_lower_double_buffered_diagonalILi32ELi4E24rocblas_internal_val_ptrIfEPKPKfPKPfEvbiT1_lT2_lllSA_lllS9_lT3_llli.kd
    .uniform_work_group_size: 1
    .uses_dynamic_stack: false
    .vgpr_count:     22
    .vgpr_spill_count: 0
    .wavefront_size: 64
  - .agpr_count:     0
    .args:
      - .offset:         0
        .size:           1
        .value_kind:     by_value
      - .offset:         4
        .size:           4
        .value_kind:     by_value
      - .offset:         8
        .size:           8
        .value_kind:     by_value
      - .offset:         16
        .size:           8
        .value_kind:     by_value
      - .address_space:  global
        .offset:         24
        .size:           8
        .value_kind:     global_buffer
      - .offset:         32
        .size:           8
        .value_kind:     by_value
      - .offset:         40
        .size:           8
        .value_kind:     by_value
      - .offset:         48
        .size:           8
        .value_kind:     by_value
      - .address_space:  global
        .offset:         56
        .size:           8
        .value_kind:     global_buffer
      - .offset:         64
        .size:           8
        .value_kind:     by_value
      - .offset:         72
        .size:           8
        .value_kind:     by_value
      - .offset:         80
        .size:           8
        .value_kind:     by_value
      - .actual_access:  read_only
        .address_space:  global
        .offset:         88
        .size:           8
        .value_kind:     global_buffer
      - .offset:         96
        .size:           8
        .value_kind:     by_value
      - .offset:         104
        .size:           8
        .value_kind:     by_value
      - .offset:         112
        .size:           8
        .value_kind:     by_value
      - .offset:         120
        .size:           4
        .value_kind:     by_value
      - .offset:         128
        .size:           4
        .value_kind:     hidden_block_count_x
      - .offset:         132
        .size:           4
        .value_kind:     hidden_block_count_y
      - .offset:         136
        .size:           4
        .value_kind:     hidden_block_count_z
      - .offset:         140
        .size:           2
        .value_kind:     hidden_group_size_x
      - .offset:         142
        .size:           2
        .value_kind:     hidden_group_size_y
      - .offset:         144
        .size:           2
        .value_kind:     hidden_group_size_z
      - .offset:         146
        .size:           2
        .value_kind:     hidden_remainder_x
      - .offset:         148
        .size:           2
        .value_kind:     hidden_remainder_y
      - .offset:         150
        .size:           2
        .value_kind:     hidden_remainder_z
      - .offset:         168
        .size:           8
        .value_kind:     hidden_global_offset_x
      - .offset:         176
        .size:           8
        .value_kind:     hidden_global_offset_y
      - .offset:         184
        .size:           8
        .value_kind:     hidden_global_offset_z
      - .offset:         192
        .size:           2
        .value_kind:     hidden_grid_dims
    .group_segment_fixed_size: 3200
    .kernarg_segment_align: 8
    .kernarg_segment_size: 384
    .language:       OpenCL C
    .language_version:
      - 2
      - 0
    .max_flat_workgroup_size: 128
    .name:           _ZL54rocblas_symv_kernel_lower_double_buffered_non_diagonalILi32ELi4ELi4E24rocblas_internal_val_ptrIfEPKPKfPKPfEvbiT2_lT3_lllSA_lllT4_llli
    .private_segment_fixed_size: 0
    .sgpr_count:     34
    .sgpr_spill_count: 0
    .symbol:         _ZL54rocblas_symv_kernel_lower_double_buffered_non_diagonalILi32ELi4ELi4E24rocblas_internal_val_ptrIfEPKPKfPKPfEvbiT2_lT3_lllSA_lllT4_llli.kd
    .uniform_work_group_size: 1
    .uses_dynamic_stack: false
    .vgpr_count:     54
    .vgpr_spill_count: 0
    .wavefront_size: 64
  - .agpr_count:     0
    .args:
      - .offset:         0
        .size:           1
        .value_kind:     by_value
      - .offset:         4
        .size:           4
        .value_kind:     by_value
      - .offset:         8
        .size:           8
        .value_kind:     by_value
      - .offset:         16
        .size:           8
        .value_kind:     by_value
      - .address_space:  global
        .offset:         24
        .size:           8
        .value_kind:     global_buffer
      - .offset:         32
        .size:           8
        .value_kind:     by_value
      - .offset:         40
        .size:           8
        .value_kind:     by_value
      - .offset:         48
        .size:           8
        .value_kind:     by_value
      - .address_space:  global
        .offset:         56
        .size:           8
        .value_kind:     global_buffer
      - .offset:         64
        .size:           8
        .value_kind:     by_value
      - .offset:         72
        .size:           8
        .value_kind:     by_value
      - .offset:         80
        .size:           8
        .value_kind:     by_value
      - .offset:         88
        .size:           8
        .value_kind:     by_value
      - .offset:         96
        .size:           8
        .value_kind:     by_value
      - .actual_access:  read_only
        .address_space:  global
        .offset:         104
        .size:           8
        .value_kind:     global_buffer
      - .offset:         112
        .size:           8
        .value_kind:     by_value
      - .offset:         120
        .size:           8
        .value_kind:     by_value
      - .offset:         128
        .size:           8
        .value_kind:     by_value
      - .offset:         136
        .size:           4
        .value_kind:     by_value
      - .offset:         140
        .size:           4
        .value_kind:     by_value
      - .offset:         144
        .size:           4
        .value_kind:     hidden_block_count_x
      - .offset:         148
        .size:           4
        .value_kind:     hidden_block_count_y
      - .offset:         152
        .size:           4
        .value_kind:     hidden_block_count_z
      - .offset:         156
        .size:           2
        .value_kind:     hidden_group_size_x
      - .offset:         158
        .size:           2
        .value_kind:     hidden_group_size_y
      - .offset:         160
        .size:           2
        .value_kind:     hidden_group_size_z
      - .offset:         162
        .size:           2
        .value_kind:     hidden_remainder_x
      - .offset:         164
        .size:           2
        .value_kind:     hidden_remainder_y
      - .offset:         166
        .size:           2
        .value_kind:     hidden_remainder_z
      - .offset:         184
        .size:           8
        .value_kind:     hidden_global_offset_x
      - .offset:         192
        .size:           8
        .value_kind:     hidden_global_offset_y
      - .offset:         200
        .size:           8
        .value_kind:     hidden_global_offset_z
      - .offset:         208
        .size:           2
        .value_kind:     hidden_grid_dims
    .group_segment_fixed_size: 5248
    .kernarg_segment_align: 8
    .kernarg_segment_size: 400
    .language:       OpenCL C
    .language_version:
      - 2
      - 0
    .max_flat_workgroup_size: 128
    .name:           _ZL58rocblas_symv_kernel_lower_double_buffered_diagonal_genericILi32ELi4E24rocblas_internal_val_ptrIfEPKPKfPKPfEvbiT1_lT2_lllSA_lllS9_lT3_lllii
    .private_segment_fixed_size: 0
    .sgpr_count:     42
    .sgpr_spill_count: 0
    .symbol:         _ZL58rocblas_symv_kernel_lower_double_buffered_diagonal_genericILi32ELi4E24rocblas_internal_val_ptrIfEPKPKfPKPfEvbiT1_lT2_lllSA_lllS9_lT3_lllii.kd
    .uniform_work_group_size: 1
    .uses_dynamic_stack: false
    .vgpr_count:     19
    .vgpr_spill_count: 0
    .wavefront_size: 64
  - .agpr_count:     0
    .args:
      - .offset:         0
        .size:           1
        .value_kind:     by_value
      - .offset:         4
        .size:           4
        .value_kind:     by_value
      - .offset:         8
        .size:           8
        .value_kind:     by_value
      - .offset:         16
        .size:           8
        .value_kind:     by_value
      - .address_space:  global
        .offset:         24
        .size:           8
        .value_kind:     global_buffer
      - .offset:         32
        .size:           8
        .value_kind:     by_value
      - .offset:         40
        .size:           8
        .value_kind:     by_value
      - .offset:         48
        .size:           8
        .value_kind:     by_value
      - .address_space:  global
        .offset:         56
        .size:           8
        .value_kind:     global_buffer
      - .offset:         64
        .size:           8
        .value_kind:     by_value
      - .offset:         72
        .size:           8
        .value_kind:     by_value
      - .offset:         80
        .size:           8
        .value_kind:     by_value
      - .actual_access:  read_only
        .address_space:  global
        .offset:         88
        .size:           8
        .value_kind:     global_buffer
      - .offset:         96
        .size:           8
        .value_kind:     by_value
      - .offset:         104
        .size:           8
        .value_kind:     by_value
      - .offset:         112
        .size:           8
        .value_kind:     by_value
      - .offset:         120
        .size:           4
        .value_kind:     by_value
      - .offset:         124
        .size:           4
        .value_kind:     by_value
      - .offset:         128
        .size:           4
        .value_kind:     hidden_block_count_x
      - .offset:         132
        .size:           4
        .value_kind:     hidden_block_count_y
      - .offset:         136
        .size:           4
        .value_kind:     hidden_block_count_z
      - .offset:         140
        .size:           2
        .value_kind:     hidden_group_size_x
      - .offset:         142
        .size:           2
        .value_kind:     hidden_group_size_y
      - .offset:         144
        .size:           2
        .value_kind:     hidden_group_size_z
      - .offset:         146
        .size:           2
        .value_kind:     hidden_remainder_x
      - .offset:         148
        .size:           2
        .value_kind:     hidden_remainder_y
      - .offset:         150
        .size:           2
        .value_kind:     hidden_remainder_z
      - .offset:         168
        .size:           8
        .value_kind:     hidden_global_offset_x
      - .offset:         176
        .size:           8
        .value_kind:     hidden_global_offset_y
      - .offset:         184
        .size:           8
        .value_kind:     hidden_global_offset_z
      - .offset:         192
        .size:           2
        .value_kind:     hidden_grid_dims
    .group_segment_fixed_size: 3200
    .kernarg_segment_align: 8
    .kernarg_segment_size: 384
    .language:       OpenCL C
    .language_version:
      - 2
      - 0
    .max_flat_workgroup_size: 128
    .name:           _ZL62rocblas_symv_kernel_lower_double_buffered_non_diagonal_genericILi32ELi4ELi4E24rocblas_internal_val_ptrIfEPKPKfPKPfEvbiT2_lT3_lllSA_lllT4_lllii
    .private_segment_fixed_size: 0
    .sgpr_count:     42
    .sgpr_spill_count: 0
    .symbol:         _ZL62rocblas_symv_kernel_lower_double_buffered_non_diagonal_genericILi32ELi4ELi4E24rocblas_internal_val_ptrIfEPKPKfPKPfEvbiT2_lT3_lllSA_lllT4_lllii.kd
    .uniform_work_group_size: 1
    .uses_dynamic_stack: false
    .vgpr_count:     57
    .vgpr_spill_count: 0
    .wavefront_size: 64
  - .agpr_count:     0
    .args:
      - .offset:         0
        .size:           4
        .value_kind:     by_value
      - .address_space:  global
        .offset:         8
        .size:           8
        .value_kind:     global_buffer
      - .offset:         16
        .size:           8
        .value_kind:     by_value
      - .address_space:  global
        .offset:         24
        .size:           8
        .value_kind:     global_buffer
      - .offset:         32
        .size:           8
        .value_kind:     by_value
      - .offset:         40
        .size:           8
        .value_kind:     by_value
      - .offset:         48
        .size:           8
        .value_kind:     by_value
      - .address_space:  global
        .offset:         56
        .size:           8
        .value_kind:     global_buffer
      - .offset:         64
        .size:           8
        .value_kind:     by_value
      - .offset:         72
        .size:           8
        .value_kind:     by_value
      - .offset:         80
        .size:           8
        .value_kind:     by_value
      - .address_space:  global
        .offset:         88
        .size:           8
        .value_kind:     global_buffer
      - .offset:         96
        .size:           8
        .value_kind:     by_value
      - .address_space:  global
        .offset:         104
        .size:           8
        .value_kind:     global_buffer
      - .offset:         112
        .size:           4
        .value_kind:     by_value
      - .offset:         120
        .size:           4
        .value_kind:     hidden_block_count_x
      - .offset:         124
        .size:           4
        .value_kind:     hidden_block_count_y
      - .offset:         128
        .size:           4
        .value_kind:     hidden_block_count_z
      - .offset:         132
        .size:           2
        .value_kind:     hidden_group_size_x
      - .offset:         134
        .size:           2
        .value_kind:     hidden_group_size_y
      - .offset:         136
        .size:           2
        .value_kind:     hidden_group_size_z
      - .offset:         138
        .size:           2
        .value_kind:     hidden_remainder_x
      - .offset:         140
        .size:           2
        .value_kind:     hidden_remainder_y
      - .offset:         142
        .size:           2
        .value_kind:     hidden_remainder_z
      - .offset:         160
        .size:           8
        .value_kind:     hidden_global_offset_x
      - .offset:         168
        .size:           8
        .value_kind:     hidden_global_offset_y
      - .offset:         176
        .size:           8
        .value_kind:     hidden_global_offset_z
      - .offset:         184
        .size:           2
        .value_kind:     hidden_grid_dims
    .group_segment_fixed_size: 4800
    .kernarg_segment_align: 8
    .kernarg_segment_size: 376
    .language:       OpenCL C
    .language_version:
      - 2
      - 0
    .max_flat_workgroup_size: 256
    .name:           _ZL26rocblas_hemvn_kernel_lowerILb0ELi64ELi4ELi33ELi32ELi16ElPKfPKS1_PfEviT6_lT7_lT5_lS6_lS7_lS5_lT8_i
    .private_segment_fixed_size: 0
    .sgpr_count:     56
    .sgpr_spill_count: 0
    .symbol:         _ZL26rocblas_hemvn_kernel_lowerILb0ELi64ELi4ELi33ELi32ELi16ElPKfPKS1_PfEviT6_lT7_lT5_lS6_lS7_lS5_lT8_i.kd
    .uniform_work_group_size: 1
    .uses_dynamic_stack: false
    .vgpr_count:     68
    .vgpr_spill_count: 0
    .wavefront_size: 64
  - .agpr_count:     0
    .args:
      - .offset:         0
        .size:           4
        .value_kind:     by_value
      - .address_space:  global
        .offset:         8
        .size:           8
        .value_kind:     global_buffer
      - .offset:         16
        .size:           8
        .value_kind:     by_value
      - .address_space:  global
        .offset:         24
        .size:           8
        .value_kind:     global_buffer
      - .offset:         32
        .size:           8
        .value_kind:     by_value
      - .actual_access:  read_only
        .address_space:  global
        .offset:         40
        .size:           8
        .value_kind:     global_buffer
      - .offset:         48
        .size:           8
        .value_kind:     by_value
      - .offset:         56
        .size:           8
        .value_kind:     by_value
      - .offset:         64
        .size:           8
        .value_kind:     by_value
      - .actual_access:  read_only
        .address_space:  global
        .offset:         72
        .size:           8
        .value_kind:     global_buffer
      - .offset:         80
        .size:           4
        .value_kind:     by_value
      - .offset:         88
        .size:           4
        .value_kind:     hidden_block_count_x
      - .offset:         92
        .size:           4
        .value_kind:     hidden_block_count_y
      - .offset:         96
        .size:           4
        .value_kind:     hidden_block_count_z
      - .offset:         100
        .size:           2
        .value_kind:     hidden_group_size_x
      - .offset:         102
        .size:           2
        .value_kind:     hidden_group_size_y
      - .offset:         104
        .size:           2
        .value_kind:     hidden_group_size_z
      - .offset:         106
        .size:           2
        .value_kind:     hidden_remainder_x
      - .offset:         108
        .size:           2
        .value_kind:     hidden_remainder_y
      - .offset:         110
        .size:           2
        .value_kind:     hidden_remainder_z
      - .offset:         128
        .size:           8
        .value_kind:     hidden_global_offset_x
      - .offset:         136
        .size:           8
        .value_kind:     hidden_global_offset_y
      - .offset:         144
        .size:           8
        .value_kind:     hidden_global_offset_z
      - .offset:         152
        .size:           2
        .value_kind:     hidden_grid_dims
    .group_segment_fixed_size: 0
    .kernarg_segment_align: 8
    .kernarg_segment_size: 344
    .language:       OpenCL C
    .language_version:
      - 2
      - 0
    .max_flat_workgroup_size: 64
    .name:           _ZL36rocblas_hemvn_kernel_lower_block_sumILi64ElPKfPKPffEviT1_lS5_lT2_lT0_lPT3_i
    .private_segment_fixed_size: 0
    .sgpr_count:     27
    .sgpr_spill_count: 0
    .symbol:         _ZL36rocblas_hemvn_kernel_lower_block_sumILi64ElPKfPKPffEviT1_lS5_lT2_lT0_lPT3_i.kd
    .uniform_work_group_size: 1
    .uses_dynamic_stack: false
    .vgpr_count:     7
    .vgpr_spill_count: 0
    .wavefront_size: 64
  - .agpr_count:     0
    .args:
      - .offset:         0
        .size:           4
        .value_kind:     by_value
      - .address_space:  global
        .offset:         8
        .size:           8
        .value_kind:     global_buffer
      - .offset:         16
        .size:           8
        .value_kind:     by_value
      - .address_space:  global
        .offset:         24
        .size:           8
        .value_kind:     global_buffer
      - .offset:         32
        .size:           8
        .value_kind:     by_value
      - .offset:         40
        .size:           4
        .value_kind:     by_value
      - .offset:         48
        .size:           8
        .value_kind:     by_value
      - .address_space:  global
        .offset:         56
        .size:           8
        .value_kind:     global_buffer
      - .offset:         64
        .size:           8
        .value_kind:     by_value
      - .offset:         72
        .size:           4
        .value_kind:     by_value
      - .offset:         80
        .size:           8
        .value_kind:     by_value
      - .address_space:  global
        .offset:         88
        .size:           8
        .value_kind:     global_buffer
      - .offset:         96
        .size:           8
        .value_kind:     by_value
      - .address_space:  global
        .offset:         104
        .size:           8
        .value_kind:     global_buffer
      - .offset:         112
        .size:           4
        .value_kind:     by_value
      - .offset:         120
        .size:           4
        .value_kind:     hidden_block_count_x
      - .offset:         124
        .size:           4
        .value_kind:     hidden_block_count_y
      - .offset:         128
        .size:           4
        .value_kind:     hidden_block_count_z
      - .offset:         132
        .size:           2
        .value_kind:     hidden_group_size_x
      - .offset:         134
        .size:           2
        .value_kind:     hidden_group_size_y
      - .offset:         136
        .size:           2
        .value_kind:     hidden_group_size_z
      - .offset:         138
        .size:           2
        .value_kind:     hidden_remainder_x
      - .offset:         140
        .size:           2
        .value_kind:     hidden_remainder_y
      - .offset:         142
        .size:           2
        .value_kind:     hidden_remainder_z
      - .offset:         160
        .size:           8
        .value_kind:     hidden_global_offset_x
      - .offset:         168
        .size:           8
        .value_kind:     hidden_global_offset_y
      - .offset:         176
        .size:           8
        .value_kind:     hidden_global_offset_z
      - .offset:         184
        .size:           2
        .value_kind:     hidden_grid_dims
    .group_segment_fixed_size: 4800
    .kernarg_segment_align: 8
    .kernarg_segment_size: 376
    .language:       OpenCL C
    .language_version:
      - 2
      - 0
    .max_flat_workgroup_size: 256
    .name:           _ZL26rocblas_hemvn_kernel_lowerILb0ELi64ELi4ELi33ELi32ELi16EiPKfPKS1_PfEviT6_lT7_lT5_lS6_lS7_lS5_lT8_i
    .private_segment_fixed_size: 0
    .sgpr_count:     54
    .sgpr_spill_count: 0
    .symbol:         _ZL26rocblas_hemvn_kernel_lowerILb0ELi64ELi4ELi33ELi32ELi16EiPKfPKS1_PfEviT6_lT7_lT5_lS6_lS7_lS5_lT8_i.kd
    .uniform_work_group_size: 1
    .uses_dynamic_stack: false
    .vgpr_count:     66
    .vgpr_spill_count: 0
    .wavefront_size: 64
  - .agpr_count:     0
    .args:
      - .offset:         0
        .size:           4
        .value_kind:     by_value
      - .address_space:  global
        .offset:         8
        .size:           8
        .value_kind:     global_buffer
      - .offset:         16
        .size:           8
        .value_kind:     by_value
      - .address_space:  global
        .offset:         24
        .size:           8
        .value_kind:     global_buffer
      - .offset:         32
        .size:           8
        .value_kind:     by_value
      - .actual_access:  read_only
        .address_space:  global
        .offset:         40
        .size:           8
        .value_kind:     global_buffer
      - .offset:         48
        .size:           8
        .value_kind:     by_value
      - .offset:         56
        .size:           4
        .value_kind:     by_value
      - .offset:         64
        .size:           8
        .value_kind:     by_value
      - .actual_access:  read_only
        .address_space:  global
        .offset:         72
        .size:           8
        .value_kind:     global_buffer
      - .offset:         80
        .size:           4
        .value_kind:     by_value
      - .offset:         88
        .size:           4
        .value_kind:     hidden_block_count_x
      - .offset:         92
        .size:           4
        .value_kind:     hidden_block_count_y
      - .offset:         96
        .size:           4
        .value_kind:     hidden_block_count_z
      - .offset:         100
        .size:           2
        .value_kind:     hidden_group_size_x
      - .offset:         102
        .size:           2
        .value_kind:     hidden_group_size_y
      - .offset:         104
        .size:           2
        .value_kind:     hidden_group_size_z
      - .offset:         106
        .size:           2
        .value_kind:     hidden_remainder_x
      - .offset:         108
        .size:           2
        .value_kind:     hidden_remainder_y
      - .offset:         110
        .size:           2
        .value_kind:     hidden_remainder_z
      - .offset:         128
        .size:           8
        .value_kind:     hidden_global_offset_x
      - .offset:         136
        .size:           8
        .value_kind:     hidden_global_offset_y
      - .offset:         144
        .size:           8
        .value_kind:     hidden_global_offset_z
      - .offset:         152
        .size:           2
        .value_kind:     hidden_grid_dims
    .group_segment_fixed_size: 0
    .kernarg_segment_align: 8
    .kernarg_segment_size: 344
    .language:       OpenCL C
    .language_version:
      - 2
      - 0
    .max_flat_workgroup_size: 64
    .name:           _ZL36rocblas_hemvn_kernel_lower_block_sumILi64EiPKfPKPffEviT1_lS5_lT2_lT0_lPT3_i
    .private_segment_fixed_size: 0
    .sgpr_count:     26
    .sgpr_spill_count: 0
    .symbol:         _ZL36rocblas_hemvn_kernel_lower_block_sumILi64EiPKfPKPffEviT1_lS5_lT2_lT0_lPT3_i.kd
    .uniform_work_group_size: 1
    .uses_dynamic_stack: false
    .vgpr_count:     6
    .vgpr_spill_count: 0
    .wavefront_size: 64
  - .agpr_count:     0
    .args:
      - .offset:         0
        .size:           4
        .value_kind:     by_value
      - .offset:         4
        .size:           4
        .value_kind:     by_value
      - .offset:         8
        .size:           8
        .value_kind:     by_value
      - .address_space:  global
        .offset:         16
        .size:           8
        .value_kind:     global_buffer
      - .offset:         24
        .size:           8
        .value_kind:     by_value
      - .offset:         32
        .size:           8
        .value_kind:     by_value
      - .offset:         40
        .size:           8
        .value_kind:     by_value
      - .address_space:  global
        .offset:         48
        .size:           8
        .value_kind:     global_buffer
      - .offset:         56
        .size:           8
        .value_kind:     by_value
      - .offset:         64
        .size:           8
        .value_kind:     by_value
      - .offset:         72
        .size:           8
        .value_kind:     by_value
      - .offset:         80
        .size:           4
        .value_kind:     by_value
      - .offset:         88
        .size:           8
        .value_kind:     by_value
      - .address_space:  global
        .offset:         96
        .size:           8
        .value_kind:     global_buffer
      - .offset:         104
        .size:           4
        .value_kind:     by_value
      - .offset:         112
        .size:           4
        .value_kind:     hidden_block_count_x
      - .offset:         116
        .size:           4
        .value_kind:     hidden_block_count_y
      - .offset:         120
        .size:           4
        .value_kind:     hidden_block_count_z
      - .offset:         124
        .size:           2
        .value_kind:     hidden_group_size_x
      - .offset:         126
        .size:           2
        .value_kind:     hidden_group_size_y
      - .offset:         128
        .size:           2
        .value_kind:     hidden_group_size_z
      - .offset:         130
        .size:           2
        .value_kind:     hidden_remainder_x
      - .offset:         132
        .size:           2
        .value_kind:     hidden_remainder_y
      - .offset:         134
        .size:           2
        .value_kind:     hidden_remainder_z
      - .offset:         152
        .size:           8
        .value_kind:     hidden_global_offset_x
      - .offset:         160
        .size:           8
        .value_kind:     hidden_global_offset_y
      - .offset:         168
        .size:           8
        .value_kind:     hidden_global_offset_z
      - .offset:         176
        .size:           2
        .value_kind:     hidden_grid_dims
    .group_segment_fixed_size: 4800
    .kernarg_segment_align: 8
    .kernarg_segment_size: 368
    .language:       OpenCL C
    .language_version:
      - 2
      - 0
    .max_flat_workgroup_size: 256
    .name:           _ZL26rocblas_hemvn_kernel_lowerILb0ELi64ELi4ELi33ELi32ELi16ElfPKPKfPfEviT6_lT7_lT5_lS6_lS7_lS5_lT8_i
    .private_segment_fixed_size: 0
    .sgpr_count:     56
    .sgpr_spill_count: 0
    .symbol:         _ZL26rocblas_hemvn_kernel_lowerILb0ELi64ELi4ELi33ELi32ELi16ElfPKPKfPfEviT6_lT7_lT5_lS6_lS7_lS5_lT8_i.kd
    .uniform_work_group_size: 1
    .uses_dynamic_stack: false
    .vgpr_count:     68
    .vgpr_spill_count: 0
    .wavefront_size: 64
  - .agpr_count:     0
    .args:
      - .offset:         0
        .size:           4
        .value_kind:     by_value
      - .offset:         4
        .size:           4
        .value_kind:     by_value
      - .offset:         8
        .size:           8
        .value_kind:     by_value
      - .offset:         16
        .size:           4
        .value_kind:     by_value
      - .offset:         24
        .size:           8
        .value_kind:     by_value
      - .actual_access:  read_only
        .address_space:  global
        .offset:         32
        .size:           8
        .value_kind:     global_buffer
      - .offset:         40
        .size:           8
        .value_kind:     by_value
      - .offset:         48
        .size:           8
        .value_kind:     by_value
      - .offset:         56
        .size:           8
        .value_kind:     by_value
      - .actual_access:  read_only
        .address_space:  global
        .offset:         64
        .size:           8
        .value_kind:     global_buffer
      - .offset:         72
        .size:           4
        .value_kind:     by_value
      - .offset:         80
        .size:           4
        .value_kind:     hidden_block_count_x
      - .offset:         84
        .size:           4
        .value_kind:     hidden_block_count_y
      - .offset:         88
        .size:           4
        .value_kind:     hidden_block_count_z
      - .offset:         92
        .size:           2
        .value_kind:     hidden_group_size_x
      - .offset:         94
        .size:           2
        .value_kind:     hidden_group_size_y
      - .offset:         96
        .size:           2
        .value_kind:     hidden_group_size_z
      - .offset:         98
        .size:           2
        .value_kind:     hidden_remainder_x
      - .offset:         100
        .size:           2
        .value_kind:     hidden_remainder_y
      - .offset:         102
        .size:           2
        .value_kind:     hidden_remainder_z
      - .offset:         120
        .size:           8
        .value_kind:     hidden_global_offset_x
      - .offset:         128
        .size:           8
        .value_kind:     hidden_global_offset_y
      - .offset:         136
        .size:           8
        .value_kind:     hidden_global_offset_z
      - .offset:         144
        .size:           2
        .value_kind:     hidden_grid_dims
    .group_segment_fixed_size: 0
    .kernarg_segment_align: 8
    .kernarg_segment_size: 336
    .language:       OpenCL C
    .language_version:
      - 2
      - 0
    .max_flat_workgroup_size: 64
    .name:           _ZL36rocblas_hemvn_kernel_lower_block_sumILi64ElfPKPffEviT1_lS3_lT2_lT0_lPT3_i
    .private_segment_fixed_size: 0
    .sgpr_count:     26
    .sgpr_spill_count: 0
    .symbol:         _ZL36rocblas_hemvn_kernel_lower_block_sumILi64ElfPKPffEviT1_lS3_lT2_lT0_lPT3_i.kd
    .uniform_work_group_size: 1
    .uses_dynamic_stack: false
    .vgpr_count:     7
    .vgpr_spill_count: 0
    .wavefront_size: 64
  - .agpr_count:     0
    .args:
      - .offset:         0
        .size:           4
        .value_kind:     by_value
      - .offset:         4
        .size:           4
        .value_kind:     by_value
      - .offset:         8
        .size:           8
        .value_kind:     by_value
      - .address_space:  global
        .offset:         16
        .size:           8
        .value_kind:     global_buffer
      - .offset:         24
        .size:           8
        .value_kind:     by_value
      - .offset:         32
        .size:           4
        .value_kind:     by_value
      - .offset:         40
        .size:           8
        .value_kind:     by_value
      - .address_space:  global
        .offset:         48
        .size:           8
        .value_kind:     global_buffer
      - .offset:         56
        .size:           8
        .value_kind:     by_value
      - .offset:         64
        .size:           4
        .value_kind:     by_value
      - .offset:         72
        .size:           8
        .value_kind:     by_value
      - .offset:         80
        .size:           4
        .value_kind:     by_value
      - .offset:         88
        .size:           8
        .value_kind:     by_value
      - .address_space:  global
        .offset:         96
        .size:           8
        .value_kind:     global_buffer
      - .offset:         104
        .size:           4
        .value_kind:     by_value
      - .offset:         112
        .size:           4
        .value_kind:     hidden_block_count_x
      - .offset:         116
        .size:           4
        .value_kind:     hidden_block_count_y
      - .offset:         120
        .size:           4
        .value_kind:     hidden_block_count_z
      - .offset:         124
        .size:           2
        .value_kind:     hidden_group_size_x
      - .offset:         126
        .size:           2
        .value_kind:     hidden_group_size_y
      - .offset:         128
        .size:           2
        .value_kind:     hidden_group_size_z
      - .offset:         130
        .size:           2
        .value_kind:     hidden_remainder_x
      - .offset:         132
        .size:           2
        .value_kind:     hidden_remainder_y
      - .offset:         134
        .size:           2
        .value_kind:     hidden_remainder_z
      - .offset:         152
        .size:           8
        .value_kind:     hidden_global_offset_x
      - .offset:         160
        .size:           8
        .value_kind:     hidden_global_offset_y
      - .offset:         168
        .size:           8
        .value_kind:     hidden_global_offset_z
      - .offset:         176
        .size:           2
        .value_kind:     hidden_grid_dims
    .group_segment_fixed_size: 4800
    .kernarg_segment_align: 8
    .kernarg_segment_size: 368
    .language:       OpenCL C
    .language_version:
      - 2
      - 0
    .max_flat_workgroup_size: 256
    .name:           _ZL26rocblas_hemvn_kernel_lowerILb0ELi64ELi4ELi33ELi32ELi16EifPKPKfPfEviT6_lT7_lT5_lS6_lS7_lS5_lT8_i
    .private_segment_fixed_size: 0
    .sgpr_count:     54
    .sgpr_spill_count: 0
    .symbol:         _ZL26rocblas_hemvn_kernel_lowerILb0ELi64ELi4ELi33ELi32ELi16EifPKPKfPfEviT6_lT7_lT5_lS6_lS7_lS5_lT8_i.kd
    .uniform_work_group_size: 1
    .uses_dynamic_stack: false
    .vgpr_count:     66
    .vgpr_spill_count: 0
    .wavefront_size: 64
  - .agpr_count:     0
    .args:
      - .offset:         0
        .size:           4
        .value_kind:     by_value
      - .offset:         4
        .size:           4
        .value_kind:     by_value
      - .offset:         8
        .size:           8
        .value_kind:     by_value
      - .offset:         16
        .size:           4
        .value_kind:     by_value
      - .offset:         24
        .size:           8
        .value_kind:     by_value
      - .actual_access:  read_only
        .address_space:  global
        .offset:         32
        .size:           8
        .value_kind:     global_buffer
      - .offset:         40
        .size:           8
        .value_kind:     by_value
      - .offset:         48
        .size:           4
        .value_kind:     by_value
      - .offset:         56
        .size:           8
        .value_kind:     by_value
      - .actual_access:  read_only
        .address_space:  global
        .offset:         64
        .size:           8
        .value_kind:     global_buffer
      - .offset:         72
        .size:           4
        .value_kind:     by_value
      - .offset:         80
        .size:           4
        .value_kind:     hidden_block_count_x
      - .offset:         84
        .size:           4
        .value_kind:     hidden_block_count_y
      - .offset:         88
        .size:           4
        .value_kind:     hidden_block_count_z
      - .offset:         92
        .size:           2
        .value_kind:     hidden_group_size_x
      - .offset:         94
        .size:           2
        .value_kind:     hidden_group_size_y
      - .offset:         96
        .size:           2
        .value_kind:     hidden_group_size_z
      - .offset:         98
        .size:           2
        .value_kind:     hidden_remainder_x
      - .offset:         100
        .size:           2
        .value_kind:     hidden_remainder_y
      - .offset:         102
        .size:           2
        .value_kind:     hidden_remainder_z
      - .offset:         120
        .size:           8
        .value_kind:     hidden_global_offset_x
      - .offset:         128
        .size:           8
        .value_kind:     hidden_global_offset_y
      - .offset:         136
        .size:           8
        .value_kind:     hidden_global_offset_z
      - .offset:         144
        .size:           2
        .value_kind:     hidden_grid_dims
    .group_segment_fixed_size: 0
    .kernarg_segment_align: 8
    .kernarg_segment_size: 336
    .language:       OpenCL C
    .language_version:
      - 2
      - 0
    .max_flat_workgroup_size: 64
    .name:           _ZL36rocblas_hemvn_kernel_lower_block_sumILi64EifPKPffEviT1_lS3_lT2_lT0_lPT3_i
    .private_segment_fixed_size: 0
    .sgpr_count:     25
    .sgpr_spill_count: 0
    .symbol:         _ZL36rocblas_hemvn_kernel_lower_block_sumILi64EifPKPffEviT1_lS3_lT2_lT0_lPT3_i.kd
    .uniform_work_group_size: 1
    .uses_dynamic_stack: false
    .vgpr_count:     6
    .vgpr_spill_count: 0
    .wavefront_size: 64
  - .agpr_count:     0
    .args:
      - .offset:         0
        .size:           1
        .value_kind:     by_value
      - .offset:         4
        .size:           4
        .value_kind:     by_value
      - .offset:         8
        .size:           8
        .value_kind:     by_value
      - .offset:         16
        .size:           8
        .value_kind:     by_value
      - .address_space:  global
        .offset:         24
        .size:           8
        .value_kind:     global_buffer
      - .offset:         32
        .size:           8
        .value_kind:     by_value
      - .offset:         40
        .size:           8
        .value_kind:     by_value
      - .offset:         48
        .size:           8
        .value_kind:     by_value
      - .address_space:  global
        .offset:         56
        .size:           8
        .value_kind:     global_buffer
      - .offset:         64
        .size:           8
        .value_kind:     by_value
      - .offset:         72
        .size:           8
        .value_kind:     by_value
      - .offset:         80
        .size:           8
        .value_kind:     by_value
      - .offset:         88
        .size:           8
        .value_kind:     by_value
      - .offset:         96
        .size:           8
        .value_kind:     by_value
      - .actual_access:  read_only
        .address_space:  global
        .offset:         104
        .size:           8
        .value_kind:     global_buffer
      - .offset:         112
        .size:           8
        .value_kind:     by_value
      - .offset:         120
        .size:           8
        .value_kind:     by_value
      - .offset:         128
        .size:           8
        .value_kind:     by_value
      - .offset:         136
        .size:           4
        .value_kind:     by_value
    .group_segment_fixed_size: 10496
    .kernarg_segment_align: 8
    .kernarg_segment_size: 140
    .language:       OpenCL C
    .language_version:
      - 2
      - 0
    .max_flat_workgroup_size: 128
    .name:           _ZL50rocblas_symv_kernel_upper_double_buffered_diagonalILi32ELi4E24rocblas_internal_val_ptrIdEPKPKdPKPdEvbiT1_lT2_lllSA_lllS9_lT3_llli
    .private_segment_fixed_size: 0
    .sgpr_count:     30
    .sgpr_spill_count: 0
    .symbol:         _ZL50rocblas_symv_kernel_upper_double_buffered_diagonalILi32ELi4E24rocblas_internal_val_ptrIdEPKPKdPKPdEvbiT1_lT2_lllSA_lllS9_lT3_llli.kd
    .uniform_work_group_size: 1
    .uses_dynamic_stack: false
    .vgpr_count:     36
    .vgpr_spill_count: 0
    .wavefront_size: 64
  - .agpr_count:     0
    .args:
      - .offset:         0
        .size:           1
        .value_kind:     by_value
      - .offset:         4
        .size:           4
        .value_kind:     by_value
      - .offset:         8
        .size:           8
        .value_kind:     by_value
      - .offset:         16
        .size:           8
        .value_kind:     by_value
      - .address_space:  global
        .offset:         24
        .size:           8
        .value_kind:     global_buffer
      - .offset:         32
        .size:           8
        .value_kind:     by_value
      - .offset:         40
        .size:           8
        .value_kind:     by_value
      - .offset:         48
        .size:           8
        .value_kind:     by_value
      - .address_space:  global
        .offset:         56
        .size:           8
        .value_kind:     global_buffer
      - .offset:         64
        .size:           8
        .value_kind:     by_value
      - .offset:         72
        .size:           8
        .value_kind:     by_value
      - .offset:         80
        .size:           8
        .value_kind:     by_value
      - .actual_access:  read_only
        .address_space:  global
        .offset:         88
        .size:           8
        .value_kind:     global_buffer
      - .offset:         96
        .size:           8
        .value_kind:     by_value
      - .offset:         104
        .size:           8
        .value_kind:     by_value
      - .offset:         112
        .size:           8
        .value_kind:     by_value
      - .offset:         120
        .size:           4
        .value_kind:     by_value
      - .offset:         128
        .size:           4
        .value_kind:     hidden_block_count_x
      - .offset:         132
        .size:           4
        .value_kind:     hidden_block_count_y
      - .offset:         136
        .size:           4
        .value_kind:     hidden_block_count_z
      - .offset:         140
        .size:           2
        .value_kind:     hidden_group_size_x
      - .offset:         142
        .size:           2
        .value_kind:     hidden_group_size_y
      - .offset:         144
        .size:           2
        .value_kind:     hidden_group_size_z
      - .offset:         146
        .size:           2
        .value_kind:     hidden_remainder_x
      - .offset:         148
        .size:           2
        .value_kind:     hidden_remainder_y
      - .offset:         150
        .size:           2
        .value_kind:     hidden_remainder_z
      - .offset:         168
        .size:           8
        .value_kind:     hidden_global_offset_x
      - .offset:         176
        .size:           8
        .value_kind:     hidden_global_offset_y
      - .offset:         184
        .size:           8
        .value_kind:     hidden_global_offset_z
      - .offset:         192
        .size:           2
        .value_kind:     hidden_grid_dims
    .group_segment_fixed_size: 6400
    .kernarg_segment_align: 8
    .kernarg_segment_size: 384
    .language:       OpenCL C
    .language_version:
      - 2
      - 0
    .max_flat_workgroup_size: 128
    .name:           _ZL54rocblas_symv_kernel_upper_double_buffered_non_diagonalILi32ELi4ELi4E24rocblas_internal_val_ptrIdEPKPKdPKPdEvbiT2_lT3_lllSA_lllT4_llli
    .private_segment_fixed_size: 0
    .sgpr_count:     32
    .sgpr_spill_count: 0
    .symbol:         _ZL54rocblas_symv_kernel_upper_double_buffered_non_diagonalILi32ELi4ELi4E24rocblas_internal_val_ptrIdEPKPKdPKPdEvbiT2_lT3_lllSA_lllT4_llli.kd
    .uniform_work_group_size: 1
    .uses_dynamic_stack: false
    .vgpr_count:     81
    .vgpr_spill_count: 0
    .wavefront_size: 64
  - .agpr_count:     0
    .args:
      - .offset:         0
        .size:           1
        .value_kind:     by_value
      - .offset:         4
        .size:           4
        .value_kind:     by_value
      - .offset:         8
        .size:           8
        .value_kind:     by_value
      - .offset:         16
        .size:           8
        .value_kind:     by_value
      - .address_space:  global
        .offset:         24
        .size:           8
        .value_kind:     global_buffer
      - .offset:         32
        .size:           8
        .value_kind:     by_value
      - .offset:         40
        .size:           8
        .value_kind:     by_value
      - .offset:         48
        .size:           8
        .value_kind:     by_value
      - .address_space:  global
        .offset:         56
        .size:           8
        .value_kind:     global_buffer
      - .offset:         64
        .size:           8
        .value_kind:     by_value
      - .offset:         72
        .size:           8
        .value_kind:     by_value
      - .offset:         80
        .size:           8
        .value_kind:     by_value
      - .offset:         88
        .size:           8
        .value_kind:     by_value
      - .offset:         96
        .size:           8
        .value_kind:     by_value
      - .actual_access:  read_only
        .address_space:  global
        .offset:         104
        .size:           8
        .value_kind:     global_buffer
      - .offset:         112
        .size:           8
        .value_kind:     by_value
      - .offset:         120
        .size:           8
        .value_kind:     by_value
      - .offset:         128
        .size:           8
        .value_kind:     by_value
      - .offset:         136
        .size:           4
        .value_kind:     by_value
      - .offset:         140
        .size:           4
        .value_kind:     by_value
      - .offset:         144
        .size:           4
        .value_kind:     hidden_block_count_x
      - .offset:         148
        .size:           4
        .value_kind:     hidden_block_count_y
      - .offset:         152
        .size:           4
        .value_kind:     hidden_block_count_z
      - .offset:         156
        .size:           2
        .value_kind:     hidden_group_size_x
      - .offset:         158
        .size:           2
        .value_kind:     hidden_group_size_y
      - .offset:         160
        .size:           2
        .value_kind:     hidden_group_size_z
      - .offset:         162
        .size:           2
        .value_kind:     hidden_remainder_x
      - .offset:         164
        .size:           2
        .value_kind:     hidden_remainder_y
      - .offset:         166
        .size:           2
        .value_kind:     hidden_remainder_z
      - .offset:         184
        .size:           8
        .value_kind:     hidden_global_offset_x
      - .offset:         192
        .size:           8
        .value_kind:     hidden_global_offset_y
      - .offset:         200
        .size:           8
        .value_kind:     hidden_global_offset_z
      - .offset:         208
        .size:           2
        .value_kind:     hidden_grid_dims
    .group_segment_fixed_size: 12544
    .kernarg_segment_align: 8
    .kernarg_segment_size: 400
    .language:       OpenCL C
    .language_version:
      - 2
      - 0
    .max_flat_workgroup_size: 256
    .name:           _ZL58rocblas_symv_kernel_upper_double_buffered_diagonal_genericILi32ELi8E24rocblas_internal_val_ptrIdEPKPKdPKPdEvbiT1_lT2_lllSA_lllS9_lT3_lllii
    .private_segment_fixed_size: 0
    .sgpr_count:     32
    .sgpr_spill_count: 0
    .symbol:         _ZL58rocblas_symv_kernel_upper_double_buffered_diagonal_genericILi32ELi8E24rocblas_internal_val_ptrIdEPKPKdPKPdEvbiT1_lT2_lllSA_lllS9_lT3_lllii.kd
    .uniform_work_group_size: 1
    .uses_dynamic_stack: false
    .vgpr_count:     32
    .vgpr_spill_count: 0
    .wavefront_size: 64
  - .agpr_count:     0
    .args:
      - .offset:         0
        .size:           1
        .value_kind:     by_value
      - .offset:         4
        .size:           4
        .value_kind:     by_value
      - .offset:         8
        .size:           8
        .value_kind:     by_value
      - .offset:         16
        .size:           8
        .value_kind:     by_value
      - .address_space:  global
        .offset:         24
        .size:           8
        .value_kind:     global_buffer
      - .offset:         32
        .size:           8
        .value_kind:     by_value
      - .offset:         40
        .size:           8
        .value_kind:     by_value
      - .offset:         48
        .size:           8
        .value_kind:     by_value
      - .address_space:  global
        .offset:         56
        .size:           8
        .value_kind:     global_buffer
      - .offset:         64
        .size:           8
        .value_kind:     by_value
      - .offset:         72
        .size:           8
        .value_kind:     by_value
      - .offset:         80
        .size:           8
        .value_kind:     by_value
      - .actual_access:  read_only
        .address_space:  global
        .offset:         88
        .size:           8
        .value_kind:     global_buffer
      - .offset:         96
        .size:           8
        .value_kind:     by_value
      - .offset:         104
        .size:           8
        .value_kind:     by_value
      - .offset:         112
        .size:           8
        .value_kind:     by_value
      - .offset:         120
        .size:           4
        .value_kind:     by_value
      - .offset:         124
        .size:           4
        .value_kind:     by_value
      - .offset:         128
        .size:           4
        .value_kind:     hidden_block_count_x
      - .offset:         132
        .size:           4
        .value_kind:     hidden_block_count_y
      - .offset:         136
        .size:           4
        .value_kind:     hidden_block_count_z
      - .offset:         140
        .size:           2
        .value_kind:     hidden_group_size_x
      - .offset:         142
        .size:           2
        .value_kind:     hidden_group_size_y
      - .offset:         144
        .size:           2
        .value_kind:     hidden_group_size_z
      - .offset:         146
        .size:           2
        .value_kind:     hidden_remainder_x
      - .offset:         148
        .size:           2
        .value_kind:     hidden_remainder_y
      - .offset:         150
        .size:           2
        .value_kind:     hidden_remainder_z
      - .offset:         168
        .size:           8
        .value_kind:     hidden_global_offset_x
      - .offset:         176
        .size:           8
        .value_kind:     hidden_global_offset_y
      - .offset:         184
        .size:           8
        .value_kind:     hidden_global_offset_z
      - .offset:         192
        .size:           2
        .value_kind:     hidden_grid_dims
    .group_segment_fixed_size: 8448
    .kernarg_segment_align: 8
    .kernarg_segment_size: 384
    .language:       OpenCL C
    .language_version:
      - 2
      - 0
    .max_flat_workgroup_size: 256
    .name:           _ZL62rocblas_symv_kernel_upper_double_buffered_non_diagonal_genericILi32ELi8ELi2ELi0E24rocblas_internal_val_ptrIdEPKPKdPKPdEvbiT3_lT4_lllSA_lllT5_lllii
    .private_segment_fixed_size: 0
    .sgpr_count:     42
    .sgpr_spill_count: 0
    .symbol:         _ZL62rocblas_symv_kernel_upper_double_buffered_non_diagonal_genericILi32ELi8ELi2ELi0E24rocblas_internal_val_ptrIdEPKPKdPKPdEvbiT3_lT4_lllSA_lllT5_lllii.kd
    .uniform_work_group_size: 1
    .uses_dynamic_stack: false
    .vgpr_count:     62
    .vgpr_spill_count: 0
    .wavefront_size: 64
  - .agpr_count:     0
    .args:
      - .offset:         0
        .size:           1
        .value_kind:     by_value
      - .offset:         4
        .size:           4
        .value_kind:     by_value
      - .offset:         8
        .size:           8
        .value_kind:     by_value
      - .offset:         16
        .size:           8
        .value_kind:     by_value
      - .address_space:  global
        .offset:         24
        .size:           8
        .value_kind:     global_buffer
      - .offset:         32
        .size:           8
        .value_kind:     by_value
      - .offset:         40
        .size:           8
        .value_kind:     by_value
      - .offset:         48
        .size:           8
        .value_kind:     by_value
      - .address_space:  global
        .offset:         56
        .size:           8
        .value_kind:     global_buffer
      - .offset:         64
        .size:           8
        .value_kind:     by_value
      - .offset:         72
        .size:           8
        .value_kind:     by_value
      - .offset:         80
        .size:           8
        .value_kind:     by_value
      - .actual_access:  read_only
        .address_space:  global
        .offset:         88
        .size:           8
        .value_kind:     global_buffer
      - .offset:         96
        .size:           8
        .value_kind:     by_value
      - .offset:         104
        .size:           8
        .value_kind:     by_value
      - .offset:         112
        .size:           8
        .value_kind:     by_value
      - .offset:         120
        .size:           4
        .value_kind:     by_value
      - .offset:         124
        .size:           4
        .value_kind:     by_value
      - .offset:         128
        .size:           4
        .value_kind:     hidden_block_count_x
      - .offset:         132
        .size:           4
        .value_kind:     hidden_block_count_y
      - .offset:         136
        .size:           4
        .value_kind:     hidden_block_count_z
      - .offset:         140
        .size:           2
        .value_kind:     hidden_group_size_x
      - .offset:         142
        .size:           2
        .value_kind:     hidden_group_size_y
      - .offset:         144
        .size:           2
        .value_kind:     hidden_group_size_z
      - .offset:         146
        .size:           2
        .value_kind:     hidden_remainder_x
      - .offset:         148
        .size:           2
        .value_kind:     hidden_remainder_y
      - .offset:         150
        .size:           2
        .value_kind:     hidden_remainder_z
      - .offset:         168
        .size:           8
        .value_kind:     hidden_global_offset_x
      - .offset:         176
        .size:           8
        .value_kind:     hidden_global_offset_y
      - .offset:         184
        .size:           8
        .value_kind:     hidden_global_offset_z
      - .offset:         192
        .size:           2
        .value_kind:     hidden_grid_dims
    .group_segment_fixed_size: 8448
    .kernarg_segment_align: 8
    .kernarg_segment_size: 384
    .language:       OpenCL C
    .language_version:
      - 2
      - 0
    .max_flat_workgroup_size: 256
    .name:           _ZL62rocblas_symv_kernel_upper_double_buffered_non_diagonal_genericILi32ELi8ELi2ELi1E24rocblas_internal_val_ptrIdEPKPKdPKPdEvbiT3_lT4_lllSA_lllT5_lllii
    .private_segment_fixed_size: 0
    .sgpr_count:     50
    .sgpr_spill_count: 0
    .symbol:         _ZL62rocblas_symv_kernel_upper_double_buffered_non_diagonal_genericILi32ELi8ELi2ELi1E24rocblas_internal_val_ptrIdEPKPKdPKPdEvbiT3_lT4_lllSA_lllT5_lllii.kd
    .uniform_work_group_size: 1
    .uses_dynamic_stack: false
    .vgpr_count:     62
    .vgpr_spill_count: 0
    .wavefront_size: 64
  - .agpr_count:     0
    .args:
      - .offset:         0
        .size:           4
        .value_kind:     by_value
      - .address_space:  global
        .offset:         8
        .size:           8
        .value_kind:     global_buffer
      - .offset:         16
        .size:           8
        .value_kind:     by_value
      - .address_space:  global
        .offset:         24
        .size:           8
        .value_kind:     global_buffer
      - .offset:         32
        .size:           8
        .value_kind:     by_value
      - .offset:         40
        .size:           8
        .value_kind:     by_value
      - .offset:         48
        .size:           8
        .value_kind:     by_value
      - .address_space:  global
        .offset:         56
        .size:           8
        .value_kind:     global_buffer
      - .offset:         64
        .size:           8
        .value_kind:     by_value
      - .offset:         72
        .size:           8
        .value_kind:     by_value
      - .offset:         80
        .size:           8
        .value_kind:     by_value
      - .address_space:  global
        .offset:         88
        .size:           8
        .value_kind:     global_buffer
      - .offset:         96
        .size:           8
        .value_kind:     by_value
      - .address_space:  global
        .offset:         104
        .size:           8
        .value_kind:     global_buffer
      - .offset:         112
        .size:           4
        .value_kind:     by_value
      - .offset:         120
        .size:           4
        .value_kind:     hidden_block_count_x
      - .offset:         124
        .size:           4
        .value_kind:     hidden_block_count_y
      - .offset:         128
        .size:           4
        .value_kind:     hidden_block_count_z
      - .offset:         132
        .size:           2
        .value_kind:     hidden_group_size_x
      - .offset:         134
        .size:           2
        .value_kind:     hidden_group_size_y
      - .offset:         136
        .size:           2
        .value_kind:     hidden_group_size_z
      - .offset:         138
        .size:           2
        .value_kind:     hidden_remainder_x
      - .offset:         140
        .size:           2
        .value_kind:     hidden_remainder_y
      - .offset:         142
        .size:           2
        .value_kind:     hidden_remainder_z
      - .offset:         160
        .size:           8
        .value_kind:     hidden_global_offset_x
      - .offset:         168
        .size:           8
        .value_kind:     hidden_global_offset_y
      - .offset:         176
        .size:           8
        .value_kind:     hidden_global_offset_z
      - .offset:         184
        .size:           2
        .value_kind:     hidden_grid_dims
    .group_segment_fixed_size: 9600
    .kernarg_segment_align: 8
    .kernarg_segment_size: 376
    .language:       OpenCL C
    .language_version:
      - 2
      - 0
    .max_flat_workgroup_size: 256
    .name:           _ZL26rocblas_hemvn_kernel_upperILb0ELi64ELi4ELi33ELi32ELi16ElPKdPKS1_PdEviT6_lT7_lT5_lS6_lS7_lS5_lT8_i
    .private_segment_fixed_size: 0
    .sgpr_count:     45
    .sgpr_spill_count: 0
    .symbol:         _ZL26rocblas_hemvn_kernel_upperILb0ELi64ELi4ELi33ELi32ELi16ElPKdPKS1_PdEviT6_lT7_lT5_lS6_lS7_lS5_lT8_i.kd
    .uniform_work_group_size: 1
    .uses_dynamic_stack: false
    .vgpr_count:     154
    .vgpr_spill_count: 0
    .wavefront_size: 64
  - .agpr_count:     0
    .args:
      - .offset:         0
        .size:           4
        .value_kind:     by_value
      - .address_space:  global
        .offset:         8
        .size:           8
        .value_kind:     global_buffer
      - .offset:         16
        .size:           8
        .value_kind:     by_value
      - .address_space:  global
        .offset:         24
        .size:           8
        .value_kind:     global_buffer
      - .offset:         32
        .size:           8
        .value_kind:     by_value
      - .actual_access:  read_only
        .address_space:  global
        .offset:         40
        .size:           8
        .value_kind:     global_buffer
      - .offset:         48
        .size:           8
        .value_kind:     by_value
      - .offset:         56
        .size:           8
        .value_kind:     by_value
      - .offset:         64
        .size:           8
        .value_kind:     by_value
      - .address_space:  global
        .offset:         72
        .size:           8
        .value_kind:     global_buffer
      - .offset:         80
        .size:           4
        .value_kind:     by_value
      - .offset:         88
        .size:           4
        .value_kind:     hidden_block_count_x
      - .offset:         92
        .size:           4
        .value_kind:     hidden_block_count_y
      - .offset:         96
        .size:           4
        .value_kind:     hidden_block_count_z
      - .offset:         100
        .size:           2
        .value_kind:     hidden_group_size_x
      - .offset:         102
        .size:           2
        .value_kind:     hidden_group_size_y
      - .offset:         104
        .size:           2
        .value_kind:     hidden_group_size_z
      - .offset:         106
        .size:           2
        .value_kind:     hidden_remainder_x
      - .offset:         108
        .size:           2
        .value_kind:     hidden_remainder_y
      - .offset:         110
        .size:           2
        .value_kind:     hidden_remainder_z
      - .offset:         128
        .size:           8
        .value_kind:     hidden_global_offset_x
      - .offset:         136
        .size:           8
        .value_kind:     hidden_global_offset_y
      - .offset:         144
        .size:           8
        .value_kind:     hidden_global_offset_z
      - .offset:         152
        .size:           2
        .value_kind:     hidden_grid_dims
    .group_segment_fixed_size: 0
    .kernarg_segment_align: 8
    .kernarg_segment_size: 344
    .language:       OpenCL C
    .language_version:
      - 2
      - 0
    .max_flat_workgroup_size: 64
    .name:           _ZL36rocblas_hemvn_kernel_upper_block_sumILi64ElPKdPKPddEviT1_lS5_lT2_lT0_lPT3_i
    .private_segment_fixed_size: 0
    .sgpr_count:     30
    .sgpr_spill_count: 0
    .symbol:         _ZL36rocblas_hemvn_kernel_upper_block_sumILi64ElPKdPKPddEviT1_lS5_lT2_lT0_lPT3_i.kd
    .uniform_work_group_size: 1
    .uses_dynamic_stack: false
    .vgpr_count:     9
    .vgpr_spill_count: 0
    .wavefront_size: 64
  - .agpr_count:     0
    .args:
      - .offset:         0
        .size:           4
        .value_kind:     by_value
      - .address_space:  global
        .offset:         8
        .size:           8
        .value_kind:     global_buffer
      - .offset:         16
        .size:           8
        .value_kind:     by_value
      - .address_space:  global
        .offset:         24
        .size:           8
        .value_kind:     global_buffer
      - .offset:         32
        .size:           8
        .value_kind:     by_value
      - .offset:         40
        .size:           4
        .value_kind:     by_value
      - .offset:         48
        .size:           8
        .value_kind:     by_value
      - .address_space:  global
        .offset:         56
        .size:           8
        .value_kind:     global_buffer
      - .offset:         64
        .size:           8
        .value_kind:     by_value
      - .offset:         72
        .size:           4
        .value_kind:     by_value
      - .offset:         80
        .size:           8
        .value_kind:     by_value
      - .address_space:  global
        .offset:         88
        .size:           8
        .value_kind:     global_buffer
      - .offset:         96
        .size:           8
        .value_kind:     by_value
      - .address_space:  global
        .offset:         104
        .size:           8
        .value_kind:     global_buffer
      - .offset:         112
        .size:           4
        .value_kind:     by_value
      - .offset:         120
        .size:           4
        .value_kind:     hidden_block_count_x
      - .offset:         124
        .size:           4
        .value_kind:     hidden_block_count_y
      - .offset:         128
        .size:           4
        .value_kind:     hidden_block_count_z
      - .offset:         132
        .size:           2
        .value_kind:     hidden_group_size_x
      - .offset:         134
        .size:           2
        .value_kind:     hidden_group_size_y
      - .offset:         136
        .size:           2
        .value_kind:     hidden_group_size_z
      - .offset:         138
        .size:           2
        .value_kind:     hidden_remainder_x
      - .offset:         140
        .size:           2
        .value_kind:     hidden_remainder_y
      - .offset:         142
        .size:           2
        .value_kind:     hidden_remainder_z
      - .offset:         160
        .size:           8
        .value_kind:     hidden_global_offset_x
      - .offset:         168
        .size:           8
        .value_kind:     hidden_global_offset_y
      - .offset:         176
        .size:           8
        .value_kind:     hidden_global_offset_z
      - .offset:         184
        .size:           2
        .value_kind:     hidden_grid_dims
    .group_segment_fixed_size: 9600
    .kernarg_segment_align: 8
    .kernarg_segment_size: 376
    .language:       OpenCL C
    .language_version:
      - 2
      - 0
    .max_flat_workgroup_size: 256
    .name:           _ZL26rocblas_hemvn_kernel_upperILb0ELi64ELi4ELi33ELi32ELi16EiPKdPKS1_PdEviT6_lT7_lT5_lS6_lS7_lS5_lT8_i
    .private_segment_fixed_size: 0
    .sgpr_count:     50
    .sgpr_spill_count: 0
    .symbol:         _ZL26rocblas_hemvn_kernel_upperILb0ELi64ELi4ELi33ELi32ELi16EiPKdPKS1_PdEviT6_lT7_lT5_lS6_lS7_lS5_lT8_i.kd
    .uniform_work_group_size: 1
    .uses_dynamic_stack: false
    .vgpr_count:     172
    .vgpr_spill_count: 0
    .wavefront_size: 64
  - .agpr_count:     0
    .args:
      - .offset:         0
        .size:           4
        .value_kind:     by_value
      - .address_space:  global
        .offset:         8
        .size:           8
        .value_kind:     global_buffer
      - .offset:         16
        .size:           8
        .value_kind:     by_value
      - .address_space:  global
        .offset:         24
        .size:           8
        .value_kind:     global_buffer
      - .offset:         32
        .size:           8
        .value_kind:     by_value
      - .actual_access:  read_only
        .address_space:  global
        .offset:         40
        .size:           8
        .value_kind:     global_buffer
      - .offset:         48
        .size:           8
        .value_kind:     by_value
      - .offset:         56
        .size:           4
        .value_kind:     by_value
      - .offset:         64
        .size:           8
        .value_kind:     by_value
      - .address_space:  global
        .offset:         72
        .size:           8
        .value_kind:     global_buffer
      - .offset:         80
        .size:           4
        .value_kind:     by_value
      - .offset:         88
        .size:           4
        .value_kind:     hidden_block_count_x
      - .offset:         92
        .size:           4
        .value_kind:     hidden_block_count_y
      - .offset:         96
        .size:           4
        .value_kind:     hidden_block_count_z
      - .offset:         100
        .size:           2
        .value_kind:     hidden_group_size_x
      - .offset:         102
        .size:           2
        .value_kind:     hidden_group_size_y
      - .offset:         104
        .size:           2
        .value_kind:     hidden_group_size_z
      - .offset:         106
        .size:           2
        .value_kind:     hidden_remainder_x
      - .offset:         108
        .size:           2
        .value_kind:     hidden_remainder_y
      - .offset:         110
        .size:           2
        .value_kind:     hidden_remainder_z
      - .offset:         128
        .size:           8
        .value_kind:     hidden_global_offset_x
      - .offset:         136
        .size:           8
        .value_kind:     hidden_global_offset_y
      - .offset:         144
        .size:           8
        .value_kind:     hidden_global_offset_z
      - .offset:         152
        .size:           2
        .value_kind:     hidden_grid_dims
    .group_segment_fixed_size: 0
    .kernarg_segment_align: 8
    .kernarg_segment_size: 344
    .language:       OpenCL C
    .language_version:
      - 2
      - 0
    .max_flat_workgroup_size: 64
    .name:           _ZL36rocblas_hemvn_kernel_upper_block_sumILi64EiPKdPKPddEviT1_lS5_lT2_lT0_lPT3_i
    .private_segment_fixed_size: 0
    .sgpr_count:     30
    .sgpr_spill_count: 0
    .symbol:         _ZL36rocblas_hemvn_kernel_upper_block_sumILi64EiPKdPKPddEviT1_lS5_lT2_lT0_lPT3_i.kd
    .uniform_work_group_size: 1
    .uses_dynamic_stack: false
    .vgpr_count:     8
    .vgpr_spill_count: 0
    .wavefront_size: 64
  - .agpr_count:     0
    .args:
      - .offset:         0
        .size:           4
        .value_kind:     by_value
      - .offset:         8
        .size:           8
        .value_kind:     by_value
      - .offset:         16
        .size:           8
        .value_kind:     by_value
      - .address_space:  global
        .offset:         24
        .size:           8
        .value_kind:     global_buffer
      - .offset:         32
        .size:           8
        .value_kind:     by_value
      - .offset:         40
        .size:           8
        .value_kind:     by_value
      - .offset:         48
        .size:           8
        .value_kind:     by_value
      - .address_space:  global
        .offset:         56
        .size:           8
        .value_kind:     global_buffer
      - .offset:         64
        .size:           8
        .value_kind:     by_value
      - .offset:         72
        .size:           8
        .value_kind:     by_value
      - .offset:         80
        .size:           8
        .value_kind:     by_value
      - .offset:         88
        .size:           8
        .value_kind:     by_value
      - .offset:         96
        .size:           8
        .value_kind:     by_value
      - .address_space:  global
        .offset:         104
        .size:           8
        .value_kind:     global_buffer
      - .offset:         112
        .size:           4
        .value_kind:     by_value
      - .offset:         120
        .size:           4
        .value_kind:     hidden_block_count_x
      - .offset:         124
        .size:           4
        .value_kind:     hidden_block_count_y
      - .offset:         128
        .size:           4
        .value_kind:     hidden_block_count_z
      - .offset:         132
        .size:           2
        .value_kind:     hidden_group_size_x
      - .offset:         134
        .size:           2
        .value_kind:     hidden_group_size_y
      - .offset:         136
        .size:           2
        .value_kind:     hidden_group_size_z
      - .offset:         138
        .size:           2
        .value_kind:     hidden_remainder_x
      - .offset:         140
        .size:           2
        .value_kind:     hidden_remainder_y
      - .offset:         142
        .size:           2
        .value_kind:     hidden_remainder_z
      - .offset:         160
        .size:           8
        .value_kind:     hidden_global_offset_x
      - .offset:         168
        .size:           8
        .value_kind:     hidden_global_offset_y
      - .offset:         176
        .size:           8
        .value_kind:     hidden_global_offset_z
      - .offset:         184
        .size:           2
        .value_kind:     hidden_grid_dims
    .group_segment_fixed_size: 9600
    .kernarg_segment_align: 8
    .kernarg_segment_size: 376
    .language:       OpenCL C
    .language_version:
      - 2
      - 0
    .max_flat_workgroup_size: 256
    .name:           _ZL26rocblas_hemvn_kernel_upperILb0ELi64ELi4ELi33ELi32ELi16EldPKPKdPdEviT6_lT7_lT5_lS6_lS7_lS5_lT8_i
    .private_segment_fixed_size: 0
    .sgpr_count:     45
    .sgpr_spill_count: 0
    .symbol:         _ZL26rocblas_hemvn_kernel_upperILb0ELi64ELi4ELi33ELi32ELi16EldPKPKdPdEviT6_lT7_lT5_lS6_lS7_lS5_lT8_i.kd
    .uniform_work_group_size: 1
    .uses_dynamic_stack: false
    .vgpr_count:     154
    .vgpr_spill_count: 0
    .wavefront_size: 64
  - .agpr_count:     0
    .args:
      - .offset:         0
        .size:           4
        .value_kind:     by_value
      - .offset:         8
        .size:           8
        .value_kind:     by_value
      - .offset:         16
        .size:           8
        .value_kind:     by_value
      - .offset:         24
        .size:           8
        .value_kind:     by_value
      - .offset:         32
        .size:           8
        .value_kind:     by_value
      - .actual_access:  read_only
        .address_space:  global
        .offset:         40
        .size:           8
        .value_kind:     global_buffer
      - .offset:         48
        .size:           8
        .value_kind:     by_value
      - .offset:         56
        .size:           8
        .value_kind:     by_value
      - .offset:         64
        .size:           8
        .value_kind:     by_value
      - .address_space:  global
        .offset:         72
        .size:           8
        .value_kind:     global_buffer
      - .offset:         80
        .size:           4
        .value_kind:     by_value
      - .offset:         88
        .size:           4
        .value_kind:     hidden_block_count_x
      - .offset:         92
        .size:           4
        .value_kind:     hidden_block_count_y
      - .offset:         96
        .size:           4
        .value_kind:     hidden_block_count_z
      - .offset:         100
        .size:           2
        .value_kind:     hidden_group_size_x
      - .offset:         102
        .size:           2
        .value_kind:     hidden_group_size_y
      - .offset:         104
        .size:           2
        .value_kind:     hidden_group_size_z
      - .offset:         106
        .size:           2
        .value_kind:     hidden_remainder_x
      - .offset:         108
        .size:           2
        .value_kind:     hidden_remainder_y
      - .offset:         110
        .size:           2
        .value_kind:     hidden_remainder_z
      - .offset:         128
        .size:           8
        .value_kind:     hidden_global_offset_x
      - .offset:         136
        .size:           8
        .value_kind:     hidden_global_offset_y
      - .offset:         144
        .size:           8
        .value_kind:     hidden_global_offset_z
      - .offset:         152
        .size:           2
        .value_kind:     hidden_grid_dims
    .group_segment_fixed_size: 0
    .kernarg_segment_align: 8
    .kernarg_segment_size: 344
    .language:       OpenCL C
    .language_version:
      - 2
      - 0
    .max_flat_workgroup_size: 64
    .name:           _ZL36rocblas_hemvn_kernel_upper_block_sumILi64EldPKPddEviT1_lS3_lT2_lT0_lPT3_i
    .private_segment_fixed_size: 0
    .sgpr_count:     30
    .sgpr_spill_count: 0
    .symbol:         _ZL36rocblas_hemvn_kernel_upper_block_sumILi64EldPKPddEviT1_lS3_lT2_lT0_lPT3_i.kd
    .uniform_work_group_size: 1
    .uses_dynamic_stack: false
    .vgpr_count:     9
    .vgpr_spill_count: 0
    .wavefront_size: 64
  - .agpr_count:     0
    .args:
      - .offset:         0
        .size:           4
        .value_kind:     by_value
      - .offset:         8
        .size:           8
        .value_kind:     by_value
      - .offset:         16
        .size:           8
        .value_kind:     by_value
      - .address_space:  global
        .offset:         24
        .size:           8
        .value_kind:     global_buffer
      - .offset:         32
        .size:           8
        .value_kind:     by_value
      - .offset:         40
        .size:           4
        .value_kind:     by_value
      - .offset:         48
        .size:           8
        .value_kind:     by_value
      - .address_space:  global
        .offset:         56
        .size:           8
        .value_kind:     global_buffer
      - .offset:         64
        .size:           8
        .value_kind:     by_value
      - .offset:         72
        .size:           4
        .value_kind:     by_value
      - .offset:         80
        .size:           8
        .value_kind:     by_value
      - .offset:         88
        .size:           8
        .value_kind:     by_value
      - .offset:         96
        .size:           8
        .value_kind:     by_value
      - .address_space:  global
        .offset:         104
        .size:           8
        .value_kind:     global_buffer
      - .offset:         112
        .size:           4
        .value_kind:     by_value
      - .offset:         120
        .size:           4
        .value_kind:     hidden_block_count_x
      - .offset:         124
        .size:           4
        .value_kind:     hidden_block_count_y
      - .offset:         128
        .size:           4
        .value_kind:     hidden_block_count_z
      - .offset:         132
        .size:           2
        .value_kind:     hidden_group_size_x
      - .offset:         134
        .size:           2
        .value_kind:     hidden_group_size_y
      - .offset:         136
        .size:           2
        .value_kind:     hidden_group_size_z
      - .offset:         138
        .size:           2
        .value_kind:     hidden_remainder_x
      - .offset:         140
        .size:           2
        .value_kind:     hidden_remainder_y
      - .offset:         142
        .size:           2
        .value_kind:     hidden_remainder_z
      - .offset:         160
        .size:           8
        .value_kind:     hidden_global_offset_x
      - .offset:         168
        .size:           8
        .value_kind:     hidden_global_offset_y
      - .offset:         176
        .size:           8
        .value_kind:     hidden_global_offset_z
      - .offset:         184
        .size:           2
        .value_kind:     hidden_grid_dims
    .group_segment_fixed_size: 9600
    .kernarg_segment_align: 8
    .kernarg_segment_size: 376
    .language:       OpenCL C
    .language_version:
      - 2
      - 0
    .max_flat_workgroup_size: 256
    .name:           _ZL26rocblas_hemvn_kernel_upperILb0ELi64ELi4ELi33ELi32ELi16EidPKPKdPdEviT6_lT7_lT5_lS6_lS7_lS5_lT8_i
    .private_segment_fixed_size: 0
    .sgpr_count:     50
    .sgpr_spill_count: 0
    .symbol:         _ZL26rocblas_hemvn_kernel_upperILb0ELi64ELi4ELi33ELi32ELi16EidPKPKdPdEviT6_lT7_lT5_lS6_lS7_lS5_lT8_i.kd
    .uniform_work_group_size: 1
    .uses_dynamic_stack: false
    .vgpr_count:     172
    .vgpr_spill_count: 0
    .wavefront_size: 64
  - .agpr_count:     0
    .args:
      - .offset:         0
        .size:           4
        .value_kind:     by_value
      - .offset:         8
        .size:           8
        .value_kind:     by_value
      - .offset:         16
        .size:           8
        .value_kind:     by_value
      - .offset:         24
        .size:           8
        .value_kind:     by_value
      - .offset:         32
        .size:           8
        .value_kind:     by_value
      - .actual_access:  read_only
        .address_space:  global
        .offset:         40
        .size:           8
        .value_kind:     global_buffer
      - .offset:         48
        .size:           8
        .value_kind:     by_value
      - .offset:         56
        .size:           4
        .value_kind:     by_value
      - .offset:         64
        .size:           8
        .value_kind:     by_value
      - .address_space:  global
        .offset:         72
        .size:           8
        .value_kind:     global_buffer
      - .offset:         80
        .size:           4
        .value_kind:     by_value
      - .offset:         88
        .size:           4
        .value_kind:     hidden_block_count_x
      - .offset:         92
        .size:           4
        .value_kind:     hidden_block_count_y
      - .offset:         96
        .size:           4
        .value_kind:     hidden_block_count_z
      - .offset:         100
        .size:           2
        .value_kind:     hidden_group_size_x
      - .offset:         102
        .size:           2
        .value_kind:     hidden_group_size_y
      - .offset:         104
        .size:           2
        .value_kind:     hidden_group_size_z
      - .offset:         106
        .size:           2
        .value_kind:     hidden_remainder_x
      - .offset:         108
        .size:           2
        .value_kind:     hidden_remainder_y
      - .offset:         110
        .size:           2
        .value_kind:     hidden_remainder_z
      - .offset:         128
        .size:           8
        .value_kind:     hidden_global_offset_x
      - .offset:         136
        .size:           8
        .value_kind:     hidden_global_offset_y
      - .offset:         144
        .size:           8
        .value_kind:     hidden_global_offset_z
      - .offset:         152
        .size:           2
        .value_kind:     hidden_grid_dims
    .group_segment_fixed_size: 0
    .kernarg_segment_align: 8
    .kernarg_segment_size: 344
    .language:       OpenCL C
    .language_version:
      - 2
      - 0
    .max_flat_workgroup_size: 64
    .name:           _ZL36rocblas_hemvn_kernel_upper_block_sumILi64EidPKPddEviT1_lS3_lT2_lT0_lPT3_i
    .private_segment_fixed_size: 0
    .sgpr_count:     28
    .sgpr_spill_count: 0
    .symbol:         _ZL36rocblas_hemvn_kernel_upper_block_sumILi64EidPKPddEviT1_lS3_lT2_lT0_lPT3_i.kd
    .uniform_work_group_size: 1
    .uses_dynamic_stack: false
    .vgpr_count:     8
    .vgpr_spill_count: 0
    .wavefront_size: 64
  - .agpr_count:     0
    .args:
      - .offset:         0
        .size:           1
        .value_kind:     by_value
      - .offset:         4
        .size:           4
        .value_kind:     by_value
      - .offset:         8
        .size:           8
        .value_kind:     by_value
      - .offset:         16
        .size:           8
        .value_kind:     by_value
      - .address_space:  global
        .offset:         24
        .size:           8
        .value_kind:     global_buffer
      - .offset:         32
        .size:           8
        .value_kind:     by_value
      - .offset:         40
        .size:           8
        .value_kind:     by_value
      - .offset:         48
        .size:           8
        .value_kind:     by_value
      - .address_space:  global
        .offset:         56
        .size:           8
        .value_kind:     global_buffer
      - .offset:         64
        .size:           8
        .value_kind:     by_value
      - .offset:         72
        .size:           8
        .value_kind:     by_value
      - .offset:         80
        .size:           8
        .value_kind:     by_value
      - .offset:         88
        .size:           8
        .value_kind:     by_value
      - .offset:         96
        .size:           8
        .value_kind:     by_value
      - .actual_access:  read_only
        .address_space:  global
        .offset:         104
        .size:           8
        .value_kind:     global_buffer
      - .offset:         112
        .size:           8
        .value_kind:     by_value
      - .offset:         120
        .size:           8
        .value_kind:     by_value
      - .offset:         128
        .size:           8
        .value_kind:     by_value
      - .offset:         136
        .size:           4
        .value_kind:     by_value
    .group_segment_fixed_size: 10496
    .kernarg_segment_align: 8
    .kernarg_segment_size: 140
    .language:       OpenCL C
    .language_version:
      - 2
      - 0
    .max_flat_workgroup_size: 128
    .name:           _ZL50rocblas_symv_kernel_lower_double_buffered_diagonalILi32ELi4E24rocblas_internal_val_ptrIdEPKPKdPKPdEvbiT1_lT2_lllSA_lllS9_lT3_llli
    .private_segment_fixed_size: 0
    .sgpr_count:     30
    .sgpr_spill_count: 0
    .symbol:         _ZL50rocblas_symv_kernel_lower_double_buffered_diagonalILi32ELi4E24rocblas_internal_val_ptrIdEPKPKdPKPdEvbiT1_lT2_lllSA_lllS9_lT3_llli.kd
    .uniform_work_group_size: 1
    .uses_dynamic_stack: false
    .vgpr_count:     38
    .vgpr_spill_count: 0
    .wavefront_size: 64
  - .agpr_count:     0
    .args:
      - .offset:         0
        .size:           1
        .value_kind:     by_value
      - .offset:         4
        .size:           4
        .value_kind:     by_value
      - .offset:         8
        .size:           8
        .value_kind:     by_value
      - .offset:         16
        .size:           8
        .value_kind:     by_value
      - .address_space:  global
        .offset:         24
        .size:           8
        .value_kind:     global_buffer
      - .offset:         32
        .size:           8
        .value_kind:     by_value
      - .offset:         40
        .size:           8
        .value_kind:     by_value
      - .offset:         48
        .size:           8
        .value_kind:     by_value
      - .address_space:  global
        .offset:         56
        .size:           8
        .value_kind:     global_buffer
      - .offset:         64
        .size:           8
        .value_kind:     by_value
      - .offset:         72
        .size:           8
        .value_kind:     by_value
      - .offset:         80
        .size:           8
        .value_kind:     by_value
      - .actual_access:  read_only
        .address_space:  global
        .offset:         88
        .size:           8
        .value_kind:     global_buffer
      - .offset:         96
        .size:           8
        .value_kind:     by_value
      - .offset:         104
        .size:           8
        .value_kind:     by_value
      - .offset:         112
        .size:           8
        .value_kind:     by_value
      - .offset:         120
        .size:           4
        .value_kind:     by_value
      - .offset:         128
        .size:           4
        .value_kind:     hidden_block_count_x
      - .offset:         132
        .size:           4
        .value_kind:     hidden_block_count_y
      - .offset:         136
        .size:           4
        .value_kind:     hidden_block_count_z
      - .offset:         140
        .size:           2
        .value_kind:     hidden_group_size_x
      - .offset:         142
        .size:           2
        .value_kind:     hidden_group_size_y
      - .offset:         144
        .size:           2
        .value_kind:     hidden_group_size_z
      - .offset:         146
        .size:           2
        .value_kind:     hidden_remainder_x
      - .offset:         148
        .size:           2
        .value_kind:     hidden_remainder_y
      - .offset:         150
        .size:           2
        .value_kind:     hidden_remainder_z
      - .offset:         168
        .size:           8
        .value_kind:     hidden_global_offset_x
      - .offset:         176
        .size:           8
        .value_kind:     hidden_global_offset_y
      - .offset:         184
        .size:           8
        .value_kind:     hidden_global_offset_z
      - .offset:         192
        .size:           2
        .value_kind:     hidden_grid_dims
    .group_segment_fixed_size: 6400
    .kernarg_segment_align: 8
    .kernarg_segment_size: 384
    .language:       OpenCL C
    .language_version:
      - 2
      - 0
    .max_flat_workgroup_size: 128
    .name:           _ZL54rocblas_symv_kernel_lower_double_buffered_non_diagonalILi32ELi4ELi4E24rocblas_internal_val_ptrIdEPKPKdPKPdEvbiT2_lT3_lllSA_lllT4_llli
    .private_segment_fixed_size: 0
    .sgpr_count:     34
    .sgpr_spill_count: 0
    .symbol:         _ZL54rocblas_symv_kernel_lower_double_buffered_non_diagonalILi32ELi4ELi4E24rocblas_internal_val_ptrIdEPKPKdPKPdEvbiT2_lT3_lllSA_lllT4_llli.kd
    .uniform_work_group_size: 1
    .uses_dynamic_stack: false
    .vgpr_count:     79
    .vgpr_spill_count: 0
    .wavefront_size: 64
  - .agpr_count:     0
    .args:
      - .offset:         0
        .size:           1
        .value_kind:     by_value
      - .offset:         4
        .size:           4
        .value_kind:     by_value
      - .offset:         8
        .size:           8
        .value_kind:     by_value
      - .offset:         16
        .size:           8
        .value_kind:     by_value
      - .address_space:  global
        .offset:         24
        .size:           8
        .value_kind:     global_buffer
      - .offset:         32
        .size:           8
        .value_kind:     by_value
      - .offset:         40
        .size:           8
        .value_kind:     by_value
      - .offset:         48
        .size:           8
        .value_kind:     by_value
      - .address_space:  global
        .offset:         56
        .size:           8
        .value_kind:     global_buffer
      - .offset:         64
        .size:           8
        .value_kind:     by_value
      - .offset:         72
        .size:           8
        .value_kind:     by_value
      - .offset:         80
        .size:           8
        .value_kind:     by_value
      - .offset:         88
        .size:           8
        .value_kind:     by_value
      - .offset:         96
        .size:           8
        .value_kind:     by_value
      - .actual_access:  read_only
        .address_space:  global
        .offset:         104
        .size:           8
        .value_kind:     global_buffer
      - .offset:         112
        .size:           8
        .value_kind:     by_value
      - .offset:         120
        .size:           8
        .value_kind:     by_value
      - .offset:         128
        .size:           8
        .value_kind:     by_value
      - .offset:         136
        .size:           4
        .value_kind:     by_value
      - .offset:         140
        .size:           4
        .value_kind:     by_value
      - .offset:         144
        .size:           4
        .value_kind:     hidden_block_count_x
      - .offset:         148
        .size:           4
        .value_kind:     hidden_block_count_y
      - .offset:         152
        .size:           4
        .value_kind:     hidden_block_count_z
      - .offset:         156
        .size:           2
        .value_kind:     hidden_group_size_x
      - .offset:         158
        .size:           2
        .value_kind:     hidden_group_size_y
      - .offset:         160
        .size:           2
        .value_kind:     hidden_group_size_z
      - .offset:         162
        .size:           2
        .value_kind:     hidden_remainder_x
      - .offset:         164
        .size:           2
        .value_kind:     hidden_remainder_y
      - .offset:         166
        .size:           2
        .value_kind:     hidden_remainder_z
      - .offset:         184
        .size:           8
        .value_kind:     hidden_global_offset_x
      - .offset:         192
        .size:           8
        .value_kind:     hidden_global_offset_y
      - .offset:         200
        .size:           8
        .value_kind:     hidden_global_offset_z
      - .offset:         208
        .size:           2
        .value_kind:     hidden_grid_dims
    .group_segment_fixed_size: 10496
    .kernarg_segment_align: 8
    .kernarg_segment_size: 400
    .language:       OpenCL C
    .language_version:
      - 2
      - 0
    .max_flat_workgroup_size: 128
    .name:           _ZL58rocblas_symv_kernel_lower_double_buffered_diagonal_genericILi32ELi4E24rocblas_internal_val_ptrIdEPKPKdPKPdEvbiT1_lT2_lllSA_lllS9_lT3_lllii
    .private_segment_fixed_size: 0
    .sgpr_count:     30
    .sgpr_spill_count: 0
    .symbol:         _ZL58rocblas_symv_kernel_lower_double_buffered_diagonal_genericILi32ELi4E24rocblas_internal_val_ptrIdEPKPKdPKPdEvbiT1_lT2_lllSA_lllS9_lT3_lllii.kd
    .uniform_work_group_size: 1
    .uses_dynamic_stack: false
    .vgpr_count:     40
    .vgpr_spill_count: 0
    .wavefront_size: 64
  - .agpr_count:     0
    .args:
      - .offset:         0
        .size:           1
        .value_kind:     by_value
      - .offset:         4
        .size:           4
        .value_kind:     by_value
      - .offset:         8
        .size:           8
        .value_kind:     by_value
      - .offset:         16
        .size:           8
        .value_kind:     by_value
      - .address_space:  global
        .offset:         24
        .size:           8
        .value_kind:     global_buffer
      - .offset:         32
        .size:           8
        .value_kind:     by_value
      - .offset:         40
        .size:           8
        .value_kind:     by_value
      - .offset:         48
        .size:           8
        .value_kind:     by_value
      - .address_space:  global
        .offset:         56
        .size:           8
        .value_kind:     global_buffer
      - .offset:         64
        .size:           8
        .value_kind:     by_value
      - .offset:         72
        .size:           8
        .value_kind:     by_value
      - .offset:         80
        .size:           8
        .value_kind:     by_value
      - .actual_access:  read_only
        .address_space:  global
        .offset:         88
        .size:           8
        .value_kind:     global_buffer
      - .offset:         96
        .size:           8
        .value_kind:     by_value
      - .offset:         104
        .size:           8
        .value_kind:     by_value
      - .offset:         112
        .size:           8
        .value_kind:     by_value
      - .offset:         120
        .size:           4
        .value_kind:     by_value
      - .offset:         124
        .size:           4
        .value_kind:     by_value
      - .offset:         128
        .size:           4
        .value_kind:     hidden_block_count_x
      - .offset:         132
        .size:           4
        .value_kind:     hidden_block_count_y
      - .offset:         136
        .size:           4
        .value_kind:     hidden_block_count_z
      - .offset:         140
        .size:           2
        .value_kind:     hidden_group_size_x
      - .offset:         142
        .size:           2
        .value_kind:     hidden_group_size_y
      - .offset:         144
        .size:           2
        .value_kind:     hidden_group_size_z
      - .offset:         146
        .size:           2
        .value_kind:     hidden_remainder_x
      - .offset:         148
        .size:           2
        .value_kind:     hidden_remainder_y
      - .offset:         150
        .size:           2
        .value_kind:     hidden_remainder_z
      - .offset:         168
        .size:           8
        .value_kind:     hidden_global_offset_x
      - .offset:         176
        .size:           8
        .value_kind:     hidden_global_offset_y
      - .offset:         184
        .size:           8
        .value_kind:     hidden_global_offset_z
      - .offset:         192
        .size:           2
        .value_kind:     hidden_grid_dims
    .group_segment_fixed_size: 6400
    .kernarg_segment_align: 8
    .kernarg_segment_size: 384
    .language:       OpenCL C
    .language_version:
      - 2
      - 0
    .max_flat_workgroup_size: 128
    .name:           _ZL62rocblas_symv_kernel_lower_double_buffered_non_diagonal_genericILi32ELi4ELi4E24rocblas_internal_val_ptrIdEPKPKdPKPdEvbiT2_lT3_lllSA_lllT4_lllii
    .private_segment_fixed_size: 0
    .sgpr_count:     42
    .sgpr_spill_count: 0
    .symbol:         _ZL62rocblas_symv_kernel_lower_double_buffered_non_diagonal_genericILi32ELi4ELi4E24rocblas_internal_val_ptrIdEPKPKdPKPdEvbiT2_lT3_lllSA_lllT4_lllii.kd
    .uniform_work_group_size: 1
    .uses_dynamic_stack: false
    .vgpr_count:     82
    .vgpr_spill_count: 0
    .wavefront_size: 64
  - .agpr_count:     0
    .args:
      - .offset:         0
        .size:           4
        .value_kind:     by_value
      - .address_space:  global
        .offset:         8
        .size:           8
        .value_kind:     global_buffer
      - .offset:         16
        .size:           8
        .value_kind:     by_value
      - .address_space:  global
        .offset:         24
        .size:           8
        .value_kind:     global_buffer
      - .offset:         32
        .size:           8
        .value_kind:     by_value
      - .offset:         40
        .size:           8
        .value_kind:     by_value
      - .offset:         48
        .size:           8
        .value_kind:     by_value
      - .address_space:  global
        .offset:         56
        .size:           8
        .value_kind:     global_buffer
      - .offset:         64
        .size:           8
        .value_kind:     by_value
      - .offset:         72
        .size:           8
        .value_kind:     by_value
      - .offset:         80
        .size:           8
        .value_kind:     by_value
      - .address_space:  global
        .offset:         88
        .size:           8
        .value_kind:     global_buffer
      - .offset:         96
        .size:           8
        .value_kind:     by_value
      - .address_space:  global
        .offset:         104
        .size:           8
        .value_kind:     global_buffer
      - .offset:         112
        .size:           4
        .value_kind:     by_value
      - .offset:         120
        .size:           4
        .value_kind:     hidden_block_count_x
      - .offset:         124
        .size:           4
        .value_kind:     hidden_block_count_y
      - .offset:         128
        .size:           4
        .value_kind:     hidden_block_count_z
      - .offset:         132
        .size:           2
        .value_kind:     hidden_group_size_x
      - .offset:         134
        .size:           2
        .value_kind:     hidden_group_size_y
      - .offset:         136
        .size:           2
        .value_kind:     hidden_group_size_z
      - .offset:         138
        .size:           2
        .value_kind:     hidden_remainder_x
      - .offset:         140
        .size:           2
        .value_kind:     hidden_remainder_y
      - .offset:         142
        .size:           2
        .value_kind:     hidden_remainder_z
      - .offset:         160
        .size:           8
        .value_kind:     hidden_global_offset_x
      - .offset:         168
        .size:           8
        .value_kind:     hidden_global_offset_y
      - .offset:         176
        .size:           8
        .value_kind:     hidden_global_offset_z
      - .offset:         184
        .size:           2
        .value_kind:     hidden_grid_dims
    .group_segment_fixed_size: 9600
    .kernarg_segment_align: 8
    .kernarg_segment_size: 376
    .language:       OpenCL C
    .language_version:
      - 2
      - 0
    .max_flat_workgroup_size: 256
    .name:           _ZL26rocblas_hemvn_kernel_lowerILb0ELi64ELi4ELi33ELi32ELi16ElPKdPKS1_PdEviT6_lT7_lT5_lS6_lS7_lS5_lT8_i
    .private_segment_fixed_size: 0
    .sgpr_count:     56
    .sgpr_spill_count: 0
    .symbol:         _ZL26rocblas_hemvn_kernel_lowerILb0ELi64ELi4ELi33ELi32ELi16ElPKdPKS1_PdEviT6_lT7_lT5_lS6_lS7_lS5_lT8_i.kd
    .uniform_work_group_size: 1
    .uses_dynamic_stack: false
    .vgpr_count:     110
    .vgpr_spill_count: 0
    .wavefront_size: 64
  - .agpr_count:     0
    .args:
      - .offset:         0
        .size:           4
        .value_kind:     by_value
      - .address_space:  global
        .offset:         8
        .size:           8
        .value_kind:     global_buffer
      - .offset:         16
        .size:           8
        .value_kind:     by_value
      - .address_space:  global
        .offset:         24
        .size:           8
        .value_kind:     global_buffer
      - .offset:         32
        .size:           8
        .value_kind:     by_value
      - .actual_access:  read_only
        .address_space:  global
        .offset:         40
        .size:           8
        .value_kind:     global_buffer
      - .offset:         48
        .size:           8
        .value_kind:     by_value
      - .offset:         56
        .size:           8
        .value_kind:     by_value
      - .offset:         64
        .size:           8
        .value_kind:     by_value
      - .actual_access:  read_only
        .address_space:  global
        .offset:         72
        .size:           8
        .value_kind:     global_buffer
      - .offset:         80
        .size:           4
        .value_kind:     by_value
      - .offset:         88
        .size:           4
        .value_kind:     hidden_block_count_x
      - .offset:         92
        .size:           4
        .value_kind:     hidden_block_count_y
      - .offset:         96
        .size:           4
        .value_kind:     hidden_block_count_z
      - .offset:         100
        .size:           2
        .value_kind:     hidden_group_size_x
      - .offset:         102
        .size:           2
        .value_kind:     hidden_group_size_y
      - .offset:         104
        .size:           2
        .value_kind:     hidden_group_size_z
      - .offset:         106
        .size:           2
        .value_kind:     hidden_remainder_x
      - .offset:         108
        .size:           2
        .value_kind:     hidden_remainder_y
      - .offset:         110
        .size:           2
        .value_kind:     hidden_remainder_z
      - .offset:         128
        .size:           8
        .value_kind:     hidden_global_offset_x
      - .offset:         136
        .size:           8
        .value_kind:     hidden_global_offset_y
      - .offset:         144
        .size:           8
        .value_kind:     hidden_global_offset_z
      - .offset:         152
        .size:           2
        .value_kind:     hidden_grid_dims
    .group_segment_fixed_size: 0
    .kernarg_segment_align: 8
    .kernarg_segment_size: 344
    .language:       OpenCL C
    .language_version:
      - 2
      - 0
    .max_flat_workgroup_size: 64
    .name:           _ZL36rocblas_hemvn_kernel_lower_block_sumILi64ElPKdPKPddEviT1_lS5_lT2_lT0_lPT3_i
    .private_segment_fixed_size: 0
    .sgpr_count:     30
    .sgpr_spill_count: 0
    .symbol:         _ZL36rocblas_hemvn_kernel_lower_block_sumILi64ElPKdPKPddEviT1_lS5_lT2_lT0_lPT3_i.kd
    .uniform_work_group_size: 1
    .uses_dynamic_stack: false
    .vgpr_count:     9
    .vgpr_spill_count: 0
    .wavefront_size: 64
  - .agpr_count:     0
    .args:
      - .offset:         0
        .size:           4
        .value_kind:     by_value
      - .address_space:  global
        .offset:         8
        .size:           8
        .value_kind:     global_buffer
      - .offset:         16
        .size:           8
        .value_kind:     by_value
      - .address_space:  global
        .offset:         24
        .size:           8
        .value_kind:     global_buffer
      - .offset:         32
        .size:           8
        .value_kind:     by_value
      - .offset:         40
        .size:           4
        .value_kind:     by_value
      - .offset:         48
        .size:           8
        .value_kind:     by_value
      - .address_space:  global
        .offset:         56
        .size:           8
        .value_kind:     global_buffer
      - .offset:         64
        .size:           8
        .value_kind:     by_value
      - .offset:         72
        .size:           4
        .value_kind:     by_value
      - .offset:         80
        .size:           8
        .value_kind:     by_value
      - .address_space:  global
        .offset:         88
        .size:           8
        .value_kind:     global_buffer
      - .offset:         96
        .size:           8
        .value_kind:     by_value
      - .address_space:  global
        .offset:         104
        .size:           8
        .value_kind:     global_buffer
      - .offset:         112
        .size:           4
        .value_kind:     by_value
      - .offset:         120
        .size:           4
        .value_kind:     hidden_block_count_x
      - .offset:         124
        .size:           4
        .value_kind:     hidden_block_count_y
      - .offset:         128
        .size:           4
        .value_kind:     hidden_block_count_z
      - .offset:         132
        .size:           2
        .value_kind:     hidden_group_size_x
      - .offset:         134
        .size:           2
        .value_kind:     hidden_group_size_y
      - .offset:         136
        .size:           2
        .value_kind:     hidden_group_size_z
      - .offset:         138
        .size:           2
        .value_kind:     hidden_remainder_x
      - .offset:         140
        .size:           2
        .value_kind:     hidden_remainder_y
      - .offset:         142
        .size:           2
        .value_kind:     hidden_remainder_z
      - .offset:         160
        .size:           8
        .value_kind:     hidden_global_offset_x
      - .offset:         168
        .size:           8
        .value_kind:     hidden_global_offset_y
      - .offset:         176
        .size:           8
        .value_kind:     hidden_global_offset_z
      - .offset:         184
        .size:           2
        .value_kind:     hidden_grid_dims
    .group_segment_fixed_size: 9600
    .kernarg_segment_align: 8
    .kernarg_segment_size: 376
    .language:       OpenCL C
    .language_version:
      - 2
      - 0
    .max_flat_workgroup_size: 256
    .name:           _ZL26rocblas_hemvn_kernel_lowerILb0ELi64ELi4ELi33ELi32ELi16EiPKdPKS1_PdEviT6_lT7_lT5_lS6_lS7_lS5_lT8_i
    .private_segment_fixed_size: 0
    .sgpr_count:     54
    .sgpr_spill_count: 0
    .symbol:         _ZL26rocblas_hemvn_kernel_lowerILb0ELi64ELi4ELi33ELi32ELi16EiPKdPKS1_PdEviT6_lT7_lT5_lS6_lS7_lS5_lT8_i.kd
    .uniform_work_group_size: 1
    .uses_dynamic_stack: false
    .vgpr_count:     108
    .vgpr_spill_count: 0
    .wavefront_size: 64
  - .agpr_count:     0
    .args:
      - .offset:         0
        .size:           4
        .value_kind:     by_value
      - .address_space:  global
        .offset:         8
        .size:           8
        .value_kind:     global_buffer
      - .offset:         16
        .size:           8
        .value_kind:     by_value
      - .address_space:  global
        .offset:         24
        .size:           8
        .value_kind:     global_buffer
      - .offset:         32
        .size:           8
        .value_kind:     by_value
      - .actual_access:  read_only
        .address_space:  global
        .offset:         40
        .size:           8
        .value_kind:     global_buffer
      - .offset:         48
        .size:           8
        .value_kind:     by_value
      - .offset:         56
        .size:           4
        .value_kind:     by_value
      - .offset:         64
        .size:           8
        .value_kind:     by_value
      - .actual_access:  read_only
        .address_space:  global
        .offset:         72
        .size:           8
        .value_kind:     global_buffer
      - .offset:         80
        .size:           4
        .value_kind:     by_value
      - .offset:         88
        .size:           4
        .value_kind:     hidden_block_count_x
      - .offset:         92
        .size:           4
        .value_kind:     hidden_block_count_y
      - .offset:         96
        .size:           4
        .value_kind:     hidden_block_count_z
      - .offset:         100
        .size:           2
        .value_kind:     hidden_group_size_x
      - .offset:         102
        .size:           2
        .value_kind:     hidden_group_size_y
      - .offset:         104
        .size:           2
        .value_kind:     hidden_group_size_z
      - .offset:         106
        .size:           2
        .value_kind:     hidden_remainder_x
      - .offset:         108
        .size:           2
        .value_kind:     hidden_remainder_y
      - .offset:         110
        .size:           2
        .value_kind:     hidden_remainder_z
      - .offset:         128
        .size:           8
        .value_kind:     hidden_global_offset_x
      - .offset:         136
        .size:           8
        .value_kind:     hidden_global_offset_y
      - .offset:         144
        .size:           8
        .value_kind:     hidden_global_offset_z
      - .offset:         152
        .size:           2
        .value_kind:     hidden_grid_dims
    .group_segment_fixed_size: 0
    .kernarg_segment_align: 8
    .kernarg_segment_size: 344
    .language:       OpenCL C
    .language_version:
      - 2
      - 0
    .max_flat_workgroup_size: 64
    .name:           _ZL36rocblas_hemvn_kernel_lower_block_sumILi64EiPKdPKPddEviT1_lS5_lT2_lT0_lPT3_i
    .private_segment_fixed_size: 0
    .sgpr_count:     30
    .sgpr_spill_count: 0
    .symbol:         _ZL36rocblas_hemvn_kernel_lower_block_sumILi64EiPKdPKPddEviT1_lS5_lT2_lT0_lPT3_i.kd
    .uniform_work_group_size: 1
    .uses_dynamic_stack: false
    .vgpr_count:     7
    .vgpr_spill_count: 0
    .wavefront_size: 64
  - .agpr_count:     0
    .args:
      - .offset:         0
        .size:           4
        .value_kind:     by_value
      - .offset:         8
        .size:           8
        .value_kind:     by_value
      - .offset:         16
        .size:           8
        .value_kind:     by_value
      - .address_space:  global
        .offset:         24
        .size:           8
        .value_kind:     global_buffer
      - .offset:         32
        .size:           8
        .value_kind:     by_value
      - .offset:         40
        .size:           8
        .value_kind:     by_value
      - .offset:         48
        .size:           8
        .value_kind:     by_value
      - .address_space:  global
        .offset:         56
        .size:           8
        .value_kind:     global_buffer
      - .offset:         64
        .size:           8
        .value_kind:     by_value
      - .offset:         72
        .size:           8
        .value_kind:     by_value
      - .offset:         80
        .size:           8
        .value_kind:     by_value
      - .offset:         88
        .size:           8
        .value_kind:     by_value
      - .offset:         96
        .size:           8
        .value_kind:     by_value
      - .address_space:  global
        .offset:         104
        .size:           8
        .value_kind:     global_buffer
      - .offset:         112
        .size:           4
        .value_kind:     by_value
      - .offset:         120
        .size:           4
        .value_kind:     hidden_block_count_x
      - .offset:         124
        .size:           4
        .value_kind:     hidden_block_count_y
      - .offset:         128
        .size:           4
        .value_kind:     hidden_block_count_z
      - .offset:         132
        .size:           2
        .value_kind:     hidden_group_size_x
      - .offset:         134
        .size:           2
        .value_kind:     hidden_group_size_y
      - .offset:         136
        .size:           2
        .value_kind:     hidden_group_size_z
      - .offset:         138
        .size:           2
        .value_kind:     hidden_remainder_x
      - .offset:         140
        .size:           2
        .value_kind:     hidden_remainder_y
      - .offset:         142
        .size:           2
        .value_kind:     hidden_remainder_z
      - .offset:         160
        .size:           8
        .value_kind:     hidden_global_offset_x
      - .offset:         168
        .size:           8
        .value_kind:     hidden_global_offset_y
      - .offset:         176
        .size:           8
        .value_kind:     hidden_global_offset_z
      - .offset:         184
        .size:           2
        .value_kind:     hidden_grid_dims
    .group_segment_fixed_size: 9600
    .kernarg_segment_align: 8
    .kernarg_segment_size: 376
    .language:       OpenCL C
    .language_version:
      - 2
      - 0
    .max_flat_workgroup_size: 256
    .name:           _ZL26rocblas_hemvn_kernel_lowerILb0ELi64ELi4ELi33ELi32ELi16EldPKPKdPdEviT6_lT7_lT5_lS6_lS7_lS5_lT8_i
    .private_segment_fixed_size: 0
    .sgpr_count:     56
    .sgpr_spill_count: 0
    .symbol:         _ZL26rocblas_hemvn_kernel_lowerILb0ELi64ELi4ELi33ELi32ELi16EldPKPKdPdEviT6_lT7_lT5_lS6_lS7_lS5_lT8_i.kd
    .uniform_work_group_size: 1
    .uses_dynamic_stack: false
    .vgpr_count:     110
    .vgpr_spill_count: 0
    .wavefront_size: 64
  - .agpr_count:     0
    .args:
      - .offset:         0
        .size:           4
        .value_kind:     by_value
      - .offset:         8
        .size:           8
        .value_kind:     by_value
      - .offset:         16
        .size:           8
        .value_kind:     by_value
      - .offset:         24
        .size:           8
        .value_kind:     by_value
      - .offset:         32
        .size:           8
        .value_kind:     by_value
      - .actual_access:  read_only
        .address_space:  global
        .offset:         40
        .size:           8
        .value_kind:     global_buffer
      - .offset:         48
        .size:           8
        .value_kind:     by_value
      - .offset:         56
        .size:           8
        .value_kind:     by_value
      - .offset:         64
        .size:           8
        .value_kind:     by_value
      - .actual_access:  read_only
        .address_space:  global
        .offset:         72
        .size:           8
        .value_kind:     global_buffer
      - .offset:         80
        .size:           4
        .value_kind:     by_value
      - .offset:         88
        .size:           4
        .value_kind:     hidden_block_count_x
      - .offset:         92
        .size:           4
        .value_kind:     hidden_block_count_y
      - .offset:         96
        .size:           4
        .value_kind:     hidden_block_count_z
      - .offset:         100
        .size:           2
        .value_kind:     hidden_group_size_x
      - .offset:         102
        .size:           2
        .value_kind:     hidden_group_size_y
      - .offset:         104
        .size:           2
        .value_kind:     hidden_group_size_z
      - .offset:         106
        .size:           2
        .value_kind:     hidden_remainder_x
      - .offset:         108
        .size:           2
        .value_kind:     hidden_remainder_y
      - .offset:         110
        .size:           2
        .value_kind:     hidden_remainder_z
      - .offset:         128
        .size:           8
        .value_kind:     hidden_global_offset_x
      - .offset:         136
        .size:           8
        .value_kind:     hidden_global_offset_y
      - .offset:         144
        .size:           8
        .value_kind:     hidden_global_offset_z
      - .offset:         152
        .size:           2
        .value_kind:     hidden_grid_dims
    .group_segment_fixed_size: 0
    .kernarg_segment_align: 8
    .kernarg_segment_size: 344
    .language:       OpenCL C
    .language_version:
      - 2
      - 0
    .max_flat_workgroup_size: 64
    .name:           _ZL36rocblas_hemvn_kernel_lower_block_sumILi64EldPKPddEviT1_lS3_lT2_lT0_lPT3_i
    .private_segment_fixed_size: 0
    .sgpr_count:     30
    .sgpr_spill_count: 0
    .symbol:         _ZL36rocblas_hemvn_kernel_lower_block_sumILi64EldPKPddEviT1_lS3_lT2_lT0_lPT3_i.kd
    .uniform_work_group_size: 1
    .uses_dynamic_stack: false
    .vgpr_count:     9
    .vgpr_spill_count: 0
    .wavefront_size: 64
  - .agpr_count:     0
    .args:
      - .offset:         0
        .size:           4
        .value_kind:     by_value
      - .offset:         8
        .size:           8
        .value_kind:     by_value
      - .offset:         16
        .size:           8
        .value_kind:     by_value
      - .address_space:  global
        .offset:         24
        .size:           8
        .value_kind:     global_buffer
      - .offset:         32
        .size:           8
        .value_kind:     by_value
      - .offset:         40
        .size:           4
        .value_kind:     by_value
      - .offset:         48
        .size:           8
        .value_kind:     by_value
      - .address_space:  global
        .offset:         56
        .size:           8
        .value_kind:     global_buffer
      - .offset:         64
        .size:           8
        .value_kind:     by_value
      - .offset:         72
        .size:           4
        .value_kind:     by_value
      - .offset:         80
        .size:           8
        .value_kind:     by_value
      - .offset:         88
        .size:           8
        .value_kind:     by_value
      - .offset:         96
        .size:           8
        .value_kind:     by_value
      - .address_space:  global
        .offset:         104
        .size:           8
        .value_kind:     global_buffer
      - .offset:         112
        .size:           4
        .value_kind:     by_value
      - .offset:         120
        .size:           4
        .value_kind:     hidden_block_count_x
      - .offset:         124
        .size:           4
        .value_kind:     hidden_block_count_y
      - .offset:         128
        .size:           4
        .value_kind:     hidden_block_count_z
      - .offset:         132
        .size:           2
        .value_kind:     hidden_group_size_x
      - .offset:         134
        .size:           2
        .value_kind:     hidden_group_size_y
      - .offset:         136
        .size:           2
        .value_kind:     hidden_group_size_z
      - .offset:         138
        .size:           2
        .value_kind:     hidden_remainder_x
      - .offset:         140
        .size:           2
        .value_kind:     hidden_remainder_y
      - .offset:         142
        .size:           2
        .value_kind:     hidden_remainder_z
      - .offset:         160
        .size:           8
        .value_kind:     hidden_global_offset_x
      - .offset:         168
        .size:           8
        .value_kind:     hidden_global_offset_y
      - .offset:         176
        .size:           8
        .value_kind:     hidden_global_offset_z
      - .offset:         184
        .size:           2
        .value_kind:     hidden_grid_dims
    .group_segment_fixed_size: 9600
    .kernarg_segment_align: 8
    .kernarg_segment_size: 376
    .language:       OpenCL C
    .language_version:
      - 2
      - 0
    .max_flat_workgroup_size: 256
    .name:           _ZL26rocblas_hemvn_kernel_lowerILb0ELi64ELi4ELi33ELi32ELi16EidPKPKdPdEviT6_lT7_lT5_lS6_lS7_lS5_lT8_i
    .private_segment_fixed_size: 0
    .sgpr_count:     54
    .sgpr_spill_count: 0
    .symbol:         _ZL26rocblas_hemvn_kernel_lowerILb0ELi64ELi4ELi33ELi32ELi16EidPKPKdPdEviT6_lT7_lT5_lS6_lS7_lS5_lT8_i.kd
    .uniform_work_group_size: 1
    .uses_dynamic_stack: false
    .vgpr_count:     108
    .vgpr_spill_count: 0
    .wavefront_size: 64
  - .agpr_count:     0
    .args:
      - .offset:         0
        .size:           4
        .value_kind:     by_value
      - .offset:         8
        .size:           8
        .value_kind:     by_value
      - .offset:         16
        .size:           8
        .value_kind:     by_value
      - .offset:         24
        .size:           8
        .value_kind:     by_value
      - .offset:         32
        .size:           8
        .value_kind:     by_value
      - .actual_access:  read_only
        .address_space:  global
        .offset:         40
        .size:           8
        .value_kind:     global_buffer
      - .offset:         48
        .size:           8
        .value_kind:     by_value
      - .offset:         56
        .size:           4
        .value_kind:     by_value
      - .offset:         64
        .size:           8
        .value_kind:     by_value
      - .actual_access:  read_only
        .address_space:  global
        .offset:         72
        .size:           8
        .value_kind:     global_buffer
      - .offset:         80
        .size:           4
        .value_kind:     by_value
      - .offset:         88
        .size:           4
        .value_kind:     hidden_block_count_x
      - .offset:         92
        .size:           4
        .value_kind:     hidden_block_count_y
      - .offset:         96
        .size:           4
        .value_kind:     hidden_block_count_z
      - .offset:         100
        .size:           2
        .value_kind:     hidden_group_size_x
      - .offset:         102
        .size:           2
        .value_kind:     hidden_group_size_y
      - .offset:         104
        .size:           2
        .value_kind:     hidden_group_size_z
      - .offset:         106
        .size:           2
        .value_kind:     hidden_remainder_x
      - .offset:         108
        .size:           2
        .value_kind:     hidden_remainder_y
      - .offset:         110
        .size:           2
        .value_kind:     hidden_remainder_z
      - .offset:         128
        .size:           8
        .value_kind:     hidden_global_offset_x
      - .offset:         136
        .size:           8
        .value_kind:     hidden_global_offset_y
      - .offset:         144
        .size:           8
        .value_kind:     hidden_global_offset_z
      - .offset:         152
        .size:           2
        .value_kind:     hidden_grid_dims
    .group_segment_fixed_size: 0
    .kernarg_segment_align: 8
    .kernarg_segment_size: 344
    .language:       OpenCL C
    .language_version:
      - 2
      - 0
    .max_flat_workgroup_size: 64
    .name:           _ZL36rocblas_hemvn_kernel_lower_block_sumILi64EidPKPddEviT1_lS3_lT2_lT0_lPT3_i
    .private_segment_fixed_size: 0
    .sgpr_count:     28
    .sgpr_spill_count: 0
    .symbol:         _ZL36rocblas_hemvn_kernel_lower_block_sumILi64EidPKPddEviT1_lS3_lT2_lT0_lPT3_i.kd
    .uniform_work_group_size: 1
    .uses_dynamic_stack: false
    .vgpr_count:     7
    .vgpr_spill_count: 0
    .wavefront_size: 64
  - .agpr_count:     0
    .args:
      - .offset:         0
        .size:           4
        .value_kind:     by_value
      - .address_space:  global
        .offset:         8
        .size:           8
        .value_kind:     global_buffer
      - .offset:         16
        .size:           8
        .value_kind:     by_value
      - .address_space:  global
        .offset:         24
        .size:           8
        .value_kind:     global_buffer
      - .offset:         32
        .size:           8
        .value_kind:     by_value
      - .offset:         40
        .size:           8
        .value_kind:     by_value
      - .offset:         48
        .size:           8
        .value_kind:     by_value
      - .address_space:  global
        .offset:         56
        .size:           8
        .value_kind:     global_buffer
      - .offset:         64
        .size:           8
        .value_kind:     by_value
      - .offset:         72
        .size:           8
        .value_kind:     by_value
      - .offset:         80
        .size:           8
        .value_kind:     by_value
      - .address_space:  global
        .offset:         88
        .size:           8
        .value_kind:     global_buffer
      - .offset:         96
        .size:           8
        .value_kind:     by_value
      - .address_space:  global
        .offset:         104
        .size:           8
        .value_kind:     global_buffer
      - .offset:         112
        .size:           4
        .value_kind:     by_value
      - .offset:         120
        .size:           4
        .value_kind:     hidden_block_count_x
      - .offset:         124
        .size:           4
        .value_kind:     hidden_block_count_y
      - .offset:         128
        .size:           4
        .value_kind:     hidden_block_count_z
      - .offset:         132
        .size:           2
        .value_kind:     hidden_group_size_x
      - .offset:         134
        .size:           2
        .value_kind:     hidden_group_size_y
      - .offset:         136
        .size:           2
        .value_kind:     hidden_group_size_z
      - .offset:         138
        .size:           2
        .value_kind:     hidden_remainder_x
      - .offset:         140
        .size:           2
        .value_kind:     hidden_remainder_y
      - .offset:         142
        .size:           2
        .value_kind:     hidden_remainder_z
      - .offset:         160
        .size:           8
        .value_kind:     hidden_global_offset_x
      - .offset:         168
        .size:           8
        .value_kind:     hidden_global_offset_y
      - .offset:         176
        .size:           8
        .value_kind:     hidden_global_offset_z
      - .offset:         184
        .size:           2
        .value_kind:     hidden_grid_dims
    .group_segment_fixed_size: 9600
    .kernarg_segment_align: 8
    .kernarg_segment_size: 376
    .language:       OpenCL C
    .language_version:
      - 2
      - 0
    .max_flat_workgroup_size: 256
    .name:           _ZL26rocblas_hemvn_kernel_upperILb0ELi64ELi4ELi33ELi32ELi16ElPK19rocblas_complex_numIfEPKS3_PS1_EviT6_lT7_lT5_lS8_lS9_lS7_lT8_i
    .private_segment_fixed_size: 0
    .sgpr_count:     45
    .sgpr_spill_count: 0
    .symbol:         _ZL26rocblas_hemvn_kernel_upperILb0ELi64ELi4ELi33ELi32ELi16ElPK19rocblas_complex_numIfEPKS3_PS1_EviT6_lT7_lT5_lS8_lS9_lS7_lT8_i.kd
    .uniform_work_group_size: 1
    .uses_dynamic_stack: false
    .vgpr_count:     152
    .vgpr_spill_count: 0
    .wavefront_size: 64
  - .agpr_count:     0
    .args:
      - .offset:         0
        .size:           4
        .value_kind:     by_value
      - .address_space:  global
        .offset:         8
        .size:           8
        .value_kind:     global_buffer
      - .offset:         16
        .size:           8
        .value_kind:     by_value
      - .address_space:  global
        .offset:         24
        .size:           8
        .value_kind:     global_buffer
      - .offset:         32
        .size:           8
        .value_kind:     by_value
      - .offset:         40
        .size:           4
        .value_kind:     by_value
      - .offset:         48
        .size:           8
        .value_kind:     by_value
      - .address_space:  global
        .offset:         56
        .size:           8
        .value_kind:     global_buffer
      - .offset:         64
        .size:           8
        .value_kind:     by_value
      - .offset:         72
        .size:           4
        .value_kind:     by_value
      - .offset:         80
        .size:           8
        .value_kind:     by_value
      - .address_space:  global
        .offset:         88
        .size:           8
        .value_kind:     global_buffer
      - .offset:         96
        .size:           8
        .value_kind:     by_value
      - .address_space:  global
        .offset:         104
        .size:           8
        .value_kind:     global_buffer
      - .offset:         112
        .size:           4
        .value_kind:     by_value
      - .offset:         120
        .size:           4
        .value_kind:     hidden_block_count_x
      - .offset:         124
        .size:           4
        .value_kind:     hidden_block_count_y
      - .offset:         128
        .size:           4
        .value_kind:     hidden_block_count_z
      - .offset:         132
        .size:           2
        .value_kind:     hidden_group_size_x
      - .offset:         134
        .size:           2
        .value_kind:     hidden_group_size_y
      - .offset:         136
        .size:           2
        .value_kind:     hidden_group_size_z
      - .offset:         138
        .size:           2
        .value_kind:     hidden_remainder_x
      - .offset:         140
        .size:           2
        .value_kind:     hidden_remainder_y
      - .offset:         142
        .size:           2
        .value_kind:     hidden_remainder_z
      - .offset:         160
        .size:           8
        .value_kind:     hidden_global_offset_x
      - .offset:         168
        .size:           8
        .value_kind:     hidden_global_offset_y
      - .offset:         176
        .size:           8
        .value_kind:     hidden_global_offset_z
      - .offset:         184
        .size:           2
        .value_kind:     hidden_grid_dims
    .group_segment_fixed_size: 9600
    .kernarg_segment_align: 8
    .kernarg_segment_size: 376
    .language:       OpenCL C
    .language_version:
      - 2
      - 0
    .max_flat_workgroup_size: 256
    .name:           _ZL26rocblas_hemvn_kernel_upperILb0ELi64ELi4ELi33ELi32ELi16EiPK19rocblas_complex_numIfEPKS3_PS1_EviT6_lT7_lT5_lS8_lS9_lS7_lT8_i
    .private_segment_fixed_size: 0
    .sgpr_count:     50
    .sgpr_spill_count: 0
    .symbol:         _ZL26rocblas_hemvn_kernel_upperILb0ELi64ELi4ELi33ELi32ELi16EiPK19rocblas_complex_numIfEPKS3_PS1_EviT6_lT7_lT5_lS8_lS9_lS7_lT8_i.kd
    .uniform_work_group_size: 1
    .uses_dynamic_stack: false
    .vgpr_count:     160
    .vgpr_spill_count: 0
    .wavefront_size: 64
  - .agpr_count:     0
    .args:
      - .offset:         0
        .size:           4
        .value_kind:     by_value
      - .offset:         4
        .size:           8
        .value_kind:     by_value
      - .offset:         16
        .size:           8
        .value_kind:     by_value
      - .address_space:  global
        .offset:         24
        .size:           8
        .value_kind:     global_buffer
      - .offset:         32
        .size:           8
        .value_kind:     by_value
      - .offset:         40
        .size:           8
        .value_kind:     by_value
      - .offset:         48
        .size:           8
        .value_kind:     by_value
      - .address_space:  global
        .offset:         56
        .size:           8
        .value_kind:     global_buffer
      - .offset:         64
        .size:           8
        .value_kind:     by_value
      - .offset:         72
        .size:           8
        .value_kind:     by_value
      - .offset:         80
        .size:           8
        .value_kind:     by_value
      - .offset:         88
        .size:           8
        .value_kind:     by_value
      - .offset:         96
        .size:           8
        .value_kind:     by_value
      - .address_space:  global
        .offset:         104
        .size:           8
        .value_kind:     global_buffer
      - .offset:         112
        .size:           4
        .value_kind:     by_value
      - .offset:         120
        .size:           4
        .value_kind:     hidden_block_count_x
      - .offset:         124
        .size:           4
        .value_kind:     hidden_block_count_y
      - .offset:         128
        .size:           4
        .value_kind:     hidden_block_count_z
      - .offset:         132
        .size:           2
        .value_kind:     hidden_group_size_x
      - .offset:         134
        .size:           2
        .value_kind:     hidden_group_size_y
      - .offset:         136
        .size:           2
        .value_kind:     hidden_group_size_z
      - .offset:         138
        .size:           2
        .value_kind:     hidden_remainder_x
      - .offset:         140
        .size:           2
        .value_kind:     hidden_remainder_y
      - .offset:         142
        .size:           2
        .value_kind:     hidden_remainder_z
      - .offset:         160
        .size:           8
        .value_kind:     hidden_global_offset_x
      - .offset:         168
        .size:           8
        .value_kind:     hidden_global_offset_y
      - .offset:         176
        .size:           8
        .value_kind:     hidden_global_offset_z
      - .offset:         184
        .size:           2
        .value_kind:     hidden_grid_dims
    .group_segment_fixed_size: 9600
    .kernarg_segment_align: 8
    .kernarg_segment_size: 376
    .language:       OpenCL C
    .language_version:
      - 2
      - 0
    .max_flat_workgroup_size: 256
    .name:           _ZL26rocblas_hemvn_kernel_upperILb0ELi64ELi4ELi33ELi32ELi16El19rocblas_complex_numIfEPKPKS1_PS1_EviT6_lT7_lT5_lS8_lS9_lS7_lT8_i
    .private_segment_fixed_size: 0
    .sgpr_count:     45
    .sgpr_spill_count: 0
    .symbol:         _ZL26rocblas_hemvn_kernel_upperILb0ELi64ELi4ELi33ELi32ELi16El19rocblas_complex_numIfEPKPKS1_PS1_EviT6_lT7_lT5_lS8_lS9_lS7_lT8_i.kd
    .uniform_work_group_size: 1
    .uses_dynamic_stack: false
    .vgpr_count:     152
    .vgpr_spill_count: 0
    .wavefront_size: 64
  - .agpr_count:     0
    .args:
      - .offset:         0
        .size:           4
        .value_kind:     by_value
      - .offset:         4
        .size:           8
        .value_kind:     by_value
      - .offset:         16
        .size:           8
        .value_kind:     by_value
      - .address_space:  global
        .offset:         24
        .size:           8
        .value_kind:     global_buffer
      - .offset:         32
        .size:           8
        .value_kind:     by_value
      - .offset:         40
        .size:           4
        .value_kind:     by_value
      - .offset:         48
        .size:           8
        .value_kind:     by_value
      - .address_space:  global
        .offset:         56
        .size:           8
        .value_kind:     global_buffer
      - .offset:         64
        .size:           8
        .value_kind:     by_value
      - .offset:         72
        .size:           4
        .value_kind:     by_value
      - .offset:         80
        .size:           8
        .value_kind:     by_value
      - .offset:         88
        .size:           8
        .value_kind:     by_value
      - .offset:         96
        .size:           8
        .value_kind:     by_value
      - .address_space:  global
        .offset:         104
        .size:           8
        .value_kind:     global_buffer
      - .offset:         112
        .size:           4
        .value_kind:     by_value
      - .offset:         120
        .size:           4
        .value_kind:     hidden_block_count_x
      - .offset:         124
        .size:           4
        .value_kind:     hidden_block_count_y
      - .offset:         128
        .size:           4
        .value_kind:     hidden_block_count_z
      - .offset:         132
        .size:           2
        .value_kind:     hidden_group_size_x
      - .offset:         134
        .size:           2
        .value_kind:     hidden_group_size_y
      - .offset:         136
        .size:           2
        .value_kind:     hidden_group_size_z
      - .offset:         138
        .size:           2
        .value_kind:     hidden_remainder_x
      - .offset:         140
        .size:           2
        .value_kind:     hidden_remainder_y
      - .offset:         142
        .size:           2
        .value_kind:     hidden_remainder_z
      - .offset:         160
        .size:           8
        .value_kind:     hidden_global_offset_x
      - .offset:         168
        .size:           8
        .value_kind:     hidden_global_offset_y
      - .offset:         176
        .size:           8
        .value_kind:     hidden_global_offset_z
      - .offset:         184
        .size:           2
        .value_kind:     hidden_grid_dims
    .group_segment_fixed_size: 9600
    .kernarg_segment_align: 8
    .kernarg_segment_size: 376
    .language:       OpenCL C
    .language_version:
      - 2
      - 0
    .max_flat_workgroup_size: 256
    .name:           _ZL26rocblas_hemvn_kernel_upperILb0ELi64ELi4ELi33ELi32ELi16Ei19rocblas_complex_numIfEPKPKS1_PS1_EviT6_lT7_lT5_lS8_lS9_lS7_lT8_i
    .private_segment_fixed_size: 0
    .sgpr_count:     50
    .sgpr_spill_count: 0
    .symbol:         _ZL26rocblas_hemvn_kernel_upperILb0ELi64ELi4ELi33ELi32ELi16Ei19rocblas_complex_numIfEPKPKS1_PS1_EviT6_lT7_lT5_lS8_lS9_lS7_lT8_i.kd
    .uniform_work_group_size: 1
    .uses_dynamic_stack: false
    .vgpr_count:     160
    .vgpr_spill_count: 0
    .wavefront_size: 64
  - .agpr_count:     0
    .args:
      - .offset:         0
        .size:           4
        .value_kind:     by_value
      - .address_space:  global
        .offset:         8
        .size:           8
        .value_kind:     global_buffer
      - .offset:         16
        .size:           8
        .value_kind:     by_value
      - .address_space:  global
        .offset:         24
        .size:           8
        .value_kind:     global_buffer
      - .offset:         32
        .size:           8
        .value_kind:     by_value
      - .offset:         40
        .size:           8
        .value_kind:     by_value
      - .offset:         48
        .size:           8
        .value_kind:     by_value
      - .address_space:  global
        .offset:         56
        .size:           8
        .value_kind:     global_buffer
      - .offset:         64
        .size:           8
        .value_kind:     by_value
      - .offset:         72
        .size:           8
        .value_kind:     by_value
      - .offset:         80
        .size:           8
        .value_kind:     by_value
      - .address_space:  global
        .offset:         88
        .size:           8
        .value_kind:     global_buffer
      - .offset:         96
        .size:           8
        .value_kind:     by_value
      - .address_space:  global
        .offset:         104
        .size:           8
        .value_kind:     global_buffer
      - .offset:         112
        .size:           4
        .value_kind:     by_value
      - .offset:         120
        .size:           4
        .value_kind:     hidden_block_count_x
      - .offset:         124
        .size:           4
        .value_kind:     hidden_block_count_y
      - .offset:         128
        .size:           4
        .value_kind:     hidden_block_count_z
      - .offset:         132
        .size:           2
        .value_kind:     hidden_group_size_x
      - .offset:         134
        .size:           2
        .value_kind:     hidden_group_size_y
      - .offset:         136
        .size:           2
        .value_kind:     hidden_group_size_z
      - .offset:         138
        .size:           2
        .value_kind:     hidden_remainder_x
      - .offset:         140
        .size:           2
        .value_kind:     hidden_remainder_y
      - .offset:         142
        .size:           2
        .value_kind:     hidden_remainder_z
      - .offset:         160
        .size:           8
        .value_kind:     hidden_global_offset_x
      - .offset:         168
        .size:           8
        .value_kind:     hidden_global_offset_y
      - .offset:         176
        .size:           8
        .value_kind:     hidden_global_offset_z
      - .offset:         184
        .size:           2
        .value_kind:     hidden_grid_dims
    .group_segment_fixed_size: 9600
    .kernarg_segment_align: 8
    .kernarg_segment_size: 376
    .language:       OpenCL C
    .language_version:
      - 2
      - 0
    .max_flat_workgroup_size: 256
    .name:           _ZL26rocblas_hemvn_kernel_lowerILb0ELi64ELi4ELi33ELi32ELi16ElPK19rocblas_complex_numIfEPKS3_PS1_EviT6_lT7_lT5_lS8_lS9_lS7_lT8_i
    .private_segment_fixed_size: 0
    .sgpr_count:     56
    .sgpr_spill_count: 0
    .symbol:         _ZL26rocblas_hemvn_kernel_lowerILb0ELi64ELi4ELi33ELi32ELi16ElPK19rocblas_complex_numIfEPKS3_PS1_EviT6_lT7_lT5_lS8_lS9_lS7_lT8_i.kd
    .uniform_work_group_size: 1
    .uses_dynamic_stack: false
    .vgpr_count:     106
    .vgpr_spill_count: 0
    .wavefront_size: 64
  - .agpr_count:     0
    .args:
      - .offset:         0
        .size:           4
        .value_kind:     by_value
      - .address_space:  global
        .offset:         8
        .size:           8
        .value_kind:     global_buffer
      - .offset:         16
        .size:           8
        .value_kind:     by_value
      - .address_space:  global
        .offset:         24
        .size:           8
        .value_kind:     global_buffer
      - .offset:         32
        .size:           8
        .value_kind:     by_value
      - .offset:         40
        .size:           4
        .value_kind:     by_value
      - .offset:         48
        .size:           8
        .value_kind:     by_value
      - .address_space:  global
        .offset:         56
        .size:           8
        .value_kind:     global_buffer
      - .offset:         64
        .size:           8
        .value_kind:     by_value
      - .offset:         72
        .size:           4
        .value_kind:     by_value
      - .offset:         80
        .size:           8
        .value_kind:     by_value
      - .address_space:  global
        .offset:         88
        .size:           8
        .value_kind:     global_buffer
      - .offset:         96
        .size:           8
        .value_kind:     by_value
      - .address_space:  global
        .offset:         104
        .size:           8
        .value_kind:     global_buffer
      - .offset:         112
        .size:           4
        .value_kind:     by_value
      - .offset:         120
        .size:           4
        .value_kind:     hidden_block_count_x
      - .offset:         124
        .size:           4
        .value_kind:     hidden_block_count_y
      - .offset:         128
        .size:           4
        .value_kind:     hidden_block_count_z
      - .offset:         132
        .size:           2
        .value_kind:     hidden_group_size_x
      - .offset:         134
        .size:           2
        .value_kind:     hidden_group_size_y
      - .offset:         136
        .size:           2
        .value_kind:     hidden_group_size_z
      - .offset:         138
        .size:           2
        .value_kind:     hidden_remainder_x
      - .offset:         140
        .size:           2
        .value_kind:     hidden_remainder_y
      - .offset:         142
        .size:           2
        .value_kind:     hidden_remainder_z
      - .offset:         160
        .size:           8
        .value_kind:     hidden_global_offset_x
      - .offset:         168
        .size:           8
        .value_kind:     hidden_global_offset_y
      - .offset:         176
        .size:           8
        .value_kind:     hidden_global_offset_z
      - .offset:         184
        .size:           2
        .value_kind:     hidden_grid_dims
    .group_segment_fixed_size: 9600
    .kernarg_segment_align: 8
    .kernarg_segment_size: 376
    .language:       OpenCL C
    .language_version:
      - 2
      - 0
    .max_flat_workgroup_size: 256
    .name:           _ZL26rocblas_hemvn_kernel_lowerILb0ELi64ELi4ELi33ELi32ELi16EiPK19rocblas_complex_numIfEPKS3_PS1_EviT6_lT7_lT5_lS8_lS9_lS7_lT8_i
    .private_segment_fixed_size: 0
    .sgpr_count:     54
    .sgpr_spill_count: 0
    .symbol:         _ZL26rocblas_hemvn_kernel_lowerILb0ELi64ELi4ELi33ELi32ELi16EiPK19rocblas_complex_numIfEPKS3_PS1_EviT6_lT7_lT5_lS8_lS9_lS7_lT8_i.kd
    .uniform_work_group_size: 1
    .uses_dynamic_stack: false
    .vgpr_count:     104
    .vgpr_spill_count: 0
    .wavefront_size: 64
  - .agpr_count:     0
    .args:
      - .offset:         0
        .size:           4
        .value_kind:     by_value
      - .offset:         4
        .size:           8
        .value_kind:     by_value
      - .offset:         16
        .size:           8
        .value_kind:     by_value
      - .address_space:  global
        .offset:         24
        .size:           8
        .value_kind:     global_buffer
      - .offset:         32
        .size:           8
        .value_kind:     by_value
      - .offset:         40
        .size:           8
        .value_kind:     by_value
      - .offset:         48
        .size:           8
        .value_kind:     by_value
      - .address_space:  global
        .offset:         56
        .size:           8
        .value_kind:     global_buffer
      - .offset:         64
        .size:           8
        .value_kind:     by_value
      - .offset:         72
        .size:           8
        .value_kind:     by_value
      - .offset:         80
        .size:           8
        .value_kind:     by_value
      - .offset:         88
        .size:           8
        .value_kind:     by_value
      - .offset:         96
        .size:           8
        .value_kind:     by_value
      - .address_space:  global
        .offset:         104
        .size:           8
        .value_kind:     global_buffer
      - .offset:         112
        .size:           4
        .value_kind:     by_value
      - .offset:         120
        .size:           4
        .value_kind:     hidden_block_count_x
      - .offset:         124
        .size:           4
        .value_kind:     hidden_block_count_y
      - .offset:         128
        .size:           4
        .value_kind:     hidden_block_count_z
      - .offset:         132
        .size:           2
        .value_kind:     hidden_group_size_x
      - .offset:         134
        .size:           2
        .value_kind:     hidden_group_size_y
      - .offset:         136
        .size:           2
        .value_kind:     hidden_group_size_z
      - .offset:         138
        .size:           2
        .value_kind:     hidden_remainder_x
      - .offset:         140
        .size:           2
        .value_kind:     hidden_remainder_y
      - .offset:         142
        .size:           2
        .value_kind:     hidden_remainder_z
      - .offset:         160
        .size:           8
        .value_kind:     hidden_global_offset_x
      - .offset:         168
        .size:           8
        .value_kind:     hidden_global_offset_y
      - .offset:         176
        .size:           8
        .value_kind:     hidden_global_offset_z
      - .offset:         184
        .size:           2
        .value_kind:     hidden_grid_dims
    .group_segment_fixed_size: 9600
    .kernarg_segment_align: 8
    .kernarg_segment_size: 376
    .language:       OpenCL C
    .language_version:
      - 2
      - 0
    .max_flat_workgroup_size: 256
    .name:           _ZL26rocblas_hemvn_kernel_lowerILb0ELi64ELi4ELi33ELi32ELi16El19rocblas_complex_numIfEPKPKS1_PS1_EviT6_lT7_lT5_lS8_lS9_lS7_lT8_i
    .private_segment_fixed_size: 0
    .sgpr_count:     56
    .sgpr_spill_count: 0
    .symbol:         _ZL26rocblas_hemvn_kernel_lowerILb0ELi64ELi4ELi33ELi32ELi16El19rocblas_complex_numIfEPKPKS1_PS1_EviT6_lT7_lT5_lS8_lS9_lS7_lT8_i.kd
    .uniform_work_group_size: 1
    .uses_dynamic_stack: false
    .vgpr_count:     106
    .vgpr_spill_count: 0
    .wavefront_size: 64
  - .agpr_count:     0
    .args:
      - .offset:         0
        .size:           4
        .value_kind:     by_value
      - .offset:         4
        .size:           8
        .value_kind:     by_value
      - .offset:         16
        .size:           8
        .value_kind:     by_value
      - .address_space:  global
        .offset:         24
        .size:           8
        .value_kind:     global_buffer
      - .offset:         32
        .size:           8
        .value_kind:     by_value
      - .offset:         40
        .size:           4
        .value_kind:     by_value
      - .offset:         48
        .size:           8
        .value_kind:     by_value
      - .address_space:  global
        .offset:         56
        .size:           8
        .value_kind:     global_buffer
      - .offset:         64
        .size:           8
        .value_kind:     by_value
      - .offset:         72
        .size:           4
        .value_kind:     by_value
      - .offset:         80
        .size:           8
        .value_kind:     by_value
      - .offset:         88
        .size:           8
        .value_kind:     by_value
      - .offset:         96
        .size:           8
        .value_kind:     by_value
      - .address_space:  global
        .offset:         104
        .size:           8
        .value_kind:     global_buffer
      - .offset:         112
        .size:           4
        .value_kind:     by_value
      - .offset:         120
        .size:           4
        .value_kind:     hidden_block_count_x
      - .offset:         124
        .size:           4
        .value_kind:     hidden_block_count_y
      - .offset:         128
        .size:           4
        .value_kind:     hidden_block_count_z
      - .offset:         132
        .size:           2
        .value_kind:     hidden_group_size_x
      - .offset:         134
        .size:           2
        .value_kind:     hidden_group_size_y
      - .offset:         136
        .size:           2
        .value_kind:     hidden_group_size_z
      - .offset:         138
        .size:           2
        .value_kind:     hidden_remainder_x
      - .offset:         140
        .size:           2
        .value_kind:     hidden_remainder_y
      - .offset:         142
        .size:           2
        .value_kind:     hidden_remainder_z
      - .offset:         160
        .size:           8
        .value_kind:     hidden_global_offset_x
      - .offset:         168
        .size:           8
        .value_kind:     hidden_global_offset_y
      - .offset:         176
        .size:           8
        .value_kind:     hidden_global_offset_z
      - .offset:         184
        .size:           2
        .value_kind:     hidden_grid_dims
    .group_segment_fixed_size: 9600
    .kernarg_segment_align: 8
    .kernarg_segment_size: 376
    .language:       OpenCL C
    .language_version:
      - 2
      - 0
    .max_flat_workgroup_size: 256
    .name:           _ZL26rocblas_hemvn_kernel_lowerILb0ELi64ELi4ELi33ELi32ELi16Ei19rocblas_complex_numIfEPKPKS1_PS1_EviT6_lT7_lT5_lS8_lS9_lS7_lT8_i
    .private_segment_fixed_size: 0
    .sgpr_count:     54
    .sgpr_spill_count: 0
    .symbol:         _ZL26rocblas_hemvn_kernel_lowerILb0ELi64ELi4ELi33ELi32ELi16Ei19rocblas_complex_numIfEPKPKS1_PS1_EviT6_lT7_lT5_lS8_lS9_lS7_lT8_i.kd
    .uniform_work_group_size: 1
    .uses_dynamic_stack: false
    .vgpr_count:     104
    .vgpr_spill_count: 0
    .wavefront_size: 64
  - .agpr_count:     0
    .args:
      - .offset:         0
        .size:           4
        .value_kind:     by_value
      - .address_space:  global
        .offset:         8
        .size:           8
        .value_kind:     global_buffer
      - .offset:         16
        .size:           8
        .value_kind:     by_value
      - .address_space:  global
        .offset:         24
        .size:           8
        .value_kind:     global_buffer
      - .offset:         32
        .size:           8
        .value_kind:     by_value
      - .offset:         40
        .size:           8
        .value_kind:     by_value
      - .offset:         48
        .size:           8
        .value_kind:     by_value
      - .address_space:  global
        .offset:         56
        .size:           8
        .value_kind:     global_buffer
      - .offset:         64
        .size:           8
        .value_kind:     by_value
      - .offset:         72
        .size:           8
        .value_kind:     by_value
      - .offset:         80
        .size:           8
        .value_kind:     by_value
      - .address_space:  global
        .offset:         88
        .size:           8
        .value_kind:     global_buffer
      - .offset:         96
        .size:           8
        .value_kind:     by_value
      - .address_space:  global
        .offset:         104
        .size:           8
        .value_kind:     global_buffer
      - .offset:         112
        .size:           4
        .value_kind:     by_value
      - .offset:         120
        .size:           4
        .value_kind:     hidden_block_count_x
      - .offset:         124
        .size:           4
        .value_kind:     hidden_block_count_y
      - .offset:         128
        .size:           4
        .value_kind:     hidden_block_count_z
      - .offset:         132
        .size:           2
        .value_kind:     hidden_group_size_x
      - .offset:         134
        .size:           2
        .value_kind:     hidden_group_size_y
      - .offset:         136
        .size:           2
        .value_kind:     hidden_group_size_z
      - .offset:         138
        .size:           2
        .value_kind:     hidden_remainder_x
      - .offset:         140
        .size:           2
        .value_kind:     hidden_remainder_y
      - .offset:         142
        .size:           2
        .value_kind:     hidden_remainder_z
      - .offset:         160
        .size:           8
        .value_kind:     hidden_global_offset_x
      - .offset:         168
        .size:           8
        .value_kind:     hidden_global_offset_y
      - .offset:         176
        .size:           8
        .value_kind:     hidden_global_offset_z
      - .offset:         184
        .size:           2
        .value_kind:     hidden_grid_dims
    .group_segment_fixed_size: 19200
    .kernarg_segment_align: 8
    .kernarg_segment_size: 376
    .language:       OpenCL C
    .language_version:
      - 2
      - 0
    .max_flat_workgroup_size: 256
    .name:           _ZL26rocblas_hemvn_kernel_upperILb0ELi64ELi4ELi33ELi32ELi16ElPK19rocblas_complex_numIdEPKS3_PS1_EviT6_lT7_lT5_lS8_lS9_lS7_lT8_i
    .private_segment_fixed_size: 0
    .sgpr_count:     46
    .sgpr_spill_count: 0
    .symbol:         _ZL26rocblas_hemvn_kernel_upperILb0ELi64ELi4ELi33ELi32ELi16ElPK19rocblas_complex_numIdEPKS3_PS1_EviT6_lT7_lT5_lS8_lS9_lS7_lT8_i.kd
    .uniform_work_group_size: 1
    .uses_dynamic_stack: false
    .vgpr_count:     231
    .vgpr_spill_count: 0
    .wavefront_size: 64
  - .agpr_count:     0
    .args:
      - .offset:         0
        .size:           4
        .value_kind:     by_value
      - .address_space:  global
        .offset:         8
        .size:           8
        .value_kind:     global_buffer
      - .offset:         16
        .size:           8
        .value_kind:     by_value
      - .address_space:  global
        .offset:         24
        .size:           8
        .value_kind:     global_buffer
      - .offset:         32
        .size:           8
        .value_kind:     by_value
      - .offset:         40
        .size:           4
        .value_kind:     by_value
      - .offset:         48
        .size:           8
        .value_kind:     by_value
      - .address_space:  global
        .offset:         56
        .size:           8
        .value_kind:     global_buffer
      - .offset:         64
        .size:           8
        .value_kind:     by_value
      - .offset:         72
        .size:           4
        .value_kind:     by_value
      - .offset:         80
        .size:           8
        .value_kind:     by_value
      - .address_space:  global
        .offset:         88
        .size:           8
        .value_kind:     global_buffer
      - .offset:         96
        .size:           8
        .value_kind:     by_value
      - .address_space:  global
        .offset:         104
        .size:           8
        .value_kind:     global_buffer
      - .offset:         112
        .size:           4
        .value_kind:     by_value
      - .offset:         120
        .size:           4
        .value_kind:     hidden_block_count_x
      - .offset:         124
        .size:           4
        .value_kind:     hidden_block_count_y
      - .offset:         128
        .size:           4
        .value_kind:     hidden_block_count_z
      - .offset:         132
        .size:           2
        .value_kind:     hidden_group_size_x
      - .offset:         134
        .size:           2
        .value_kind:     hidden_group_size_y
      - .offset:         136
        .size:           2
        .value_kind:     hidden_group_size_z
      - .offset:         138
        .size:           2
        .value_kind:     hidden_remainder_x
      - .offset:         140
        .size:           2
        .value_kind:     hidden_remainder_y
      - .offset:         142
        .size:           2
        .value_kind:     hidden_remainder_z
      - .offset:         160
        .size:           8
        .value_kind:     hidden_global_offset_x
      - .offset:         168
        .size:           8
        .value_kind:     hidden_global_offset_y
      - .offset:         176
        .size:           8
        .value_kind:     hidden_global_offset_z
      - .offset:         184
        .size:           2
        .value_kind:     hidden_grid_dims
    .group_segment_fixed_size: 19200
    .kernarg_segment_align: 8
    .kernarg_segment_size: 376
    .language:       OpenCL C
    .language_version:
      - 2
      - 0
    .max_flat_workgroup_size: 256
    .name:           _ZL26rocblas_hemvn_kernel_upperILb0ELi64ELi4ELi33ELi32ELi16EiPK19rocblas_complex_numIdEPKS3_PS1_EviT6_lT7_lT5_lS8_lS9_lS7_lT8_i
    .private_segment_fixed_size: 0
    .sgpr_count:     46
    .sgpr_spill_count: 0
    .symbol:         _ZL26rocblas_hemvn_kernel_upperILb0ELi64ELi4ELi33ELi32ELi16EiPK19rocblas_complex_numIdEPKS3_PS1_EviT6_lT7_lT5_lS8_lS9_lS7_lT8_i.kd
    .uniform_work_group_size: 1
    .uses_dynamic_stack: false
    .vgpr_count:     240
    .vgpr_spill_count: 0
    .wavefront_size: 64
  - .agpr_count:     0
    .args:
      - .offset:         0
        .size:           4
        .value_kind:     by_value
      - .offset:         8
        .size:           16
        .value_kind:     by_value
      - .offset:         24
        .size:           8
        .value_kind:     by_value
      - .address_space:  global
        .offset:         32
        .size:           8
        .value_kind:     global_buffer
      - .offset:         40
        .size:           8
        .value_kind:     by_value
      - .offset:         48
        .size:           8
        .value_kind:     by_value
      - .offset:         56
        .size:           8
        .value_kind:     by_value
      - .address_space:  global
        .offset:         64
        .size:           8
        .value_kind:     global_buffer
      - .offset:         72
        .size:           8
        .value_kind:     by_value
      - .offset:         80
        .size:           8
        .value_kind:     by_value
      - .offset:         88
        .size:           8
        .value_kind:     by_value
      - .offset:         96
        .size:           16
        .value_kind:     by_value
      - .offset:         112
        .size:           8
        .value_kind:     by_value
      - .address_space:  global
        .offset:         120
        .size:           8
        .value_kind:     global_buffer
      - .offset:         128
        .size:           4
        .value_kind:     by_value
      - .offset:         136
        .size:           4
        .value_kind:     hidden_block_count_x
      - .offset:         140
        .size:           4
        .value_kind:     hidden_block_count_y
      - .offset:         144
        .size:           4
        .value_kind:     hidden_block_count_z
      - .offset:         148
        .size:           2
        .value_kind:     hidden_group_size_x
      - .offset:         150
        .size:           2
        .value_kind:     hidden_group_size_y
      - .offset:         152
        .size:           2
        .value_kind:     hidden_group_size_z
      - .offset:         154
        .size:           2
        .value_kind:     hidden_remainder_x
      - .offset:         156
        .size:           2
        .value_kind:     hidden_remainder_y
      - .offset:         158
        .size:           2
        .value_kind:     hidden_remainder_z
      - .offset:         176
        .size:           8
        .value_kind:     hidden_global_offset_x
      - .offset:         184
        .size:           8
        .value_kind:     hidden_global_offset_y
      - .offset:         192
        .size:           8
        .value_kind:     hidden_global_offset_z
      - .offset:         200
        .size:           2
        .value_kind:     hidden_grid_dims
    .group_segment_fixed_size: 19200
    .kernarg_segment_align: 8
    .kernarg_segment_size: 392
    .language:       OpenCL C
    .language_version:
      - 2
      - 0
    .max_flat_workgroup_size: 256
    .name:           _ZL26rocblas_hemvn_kernel_upperILb0ELi64ELi4ELi33ELi32ELi16El19rocblas_complex_numIdEPKPKS1_PS1_EviT6_lT7_lT5_lS8_lS9_lS7_lT8_i
    .private_segment_fixed_size: 0
    .sgpr_count:     46
    .sgpr_spill_count: 0
    .symbol:         _ZL26rocblas_hemvn_kernel_upperILb0ELi64ELi4ELi33ELi32ELi16El19rocblas_complex_numIdEPKPKS1_PS1_EviT6_lT7_lT5_lS8_lS9_lS7_lT8_i.kd
    .uniform_work_group_size: 1
    .uses_dynamic_stack: false
    .vgpr_count:     231
    .vgpr_spill_count: 0
    .wavefront_size: 64
  - .agpr_count:     0
    .args:
      - .offset:         0
        .size:           4
        .value_kind:     by_value
      - .offset:         8
        .size:           16
        .value_kind:     by_value
      - .offset:         24
        .size:           8
        .value_kind:     by_value
      - .address_space:  global
        .offset:         32
        .size:           8
        .value_kind:     global_buffer
      - .offset:         40
        .size:           8
        .value_kind:     by_value
      - .offset:         48
        .size:           4
        .value_kind:     by_value
      - .offset:         56
        .size:           8
        .value_kind:     by_value
      - .address_space:  global
        .offset:         64
        .size:           8
        .value_kind:     global_buffer
      - .offset:         72
        .size:           8
        .value_kind:     by_value
      - .offset:         80
        .size:           4
        .value_kind:     by_value
      - .offset:         88
        .size:           8
        .value_kind:     by_value
      - .offset:         96
        .size:           16
        .value_kind:     by_value
      - .offset:         112
        .size:           8
        .value_kind:     by_value
      - .address_space:  global
        .offset:         120
        .size:           8
        .value_kind:     global_buffer
      - .offset:         128
        .size:           4
        .value_kind:     by_value
      - .offset:         136
        .size:           4
        .value_kind:     hidden_block_count_x
      - .offset:         140
        .size:           4
        .value_kind:     hidden_block_count_y
      - .offset:         144
        .size:           4
        .value_kind:     hidden_block_count_z
      - .offset:         148
        .size:           2
        .value_kind:     hidden_group_size_x
      - .offset:         150
        .size:           2
        .value_kind:     hidden_group_size_y
      - .offset:         152
        .size:           2
        .value_kind:     hidden_group_size_z
      - .offset:         154
        .size:           2
        .value_kind:     hidden_remainder_x
      - .offset:         156
        .size:           2
        .value_kind:     hidden_remainder_y
      - .offset:         158
        .size:           2
        .value_kind:     hidden_remainder_z
      - .offset:         176
        .size:           8
        .value_kind:     hidden_global_offset_x
      - .offset:         184
        .size:           8
        .value_kind:     hidden_global_offset_y
      - .offset:         192
        .size:           8
        .value_kind:     hidden_global_offset_z
      - .offset:         200
        .size:           2
        .value_kind:     hidden_grid_dims
    .group_segment_fixed_size: 19200
    .kernarg_segment_align: 8
    .kernarg_segment_size: 392
    .language:       OpenCL C
    .language_version:
      - 2
      - 0
    .max_flat_workgroup_size: 256
    .name:           _ZL26rocblas_hemvn_kernel_upperILb0ELi64ELi4ELi33ELi32ELi16Ei19rocblas_complex_numIdEPKPKS1_PS1_EviT6_lT7_lT5_lS8_lS9_lS7_lT8_i
    .private_segment_fixed_size: 0
    .sgpr_count:     46
    .sgpr_spill_count: 0
    .symbol:         _ZL26rocblas_hemvn_kernel_upperILb0ELi64ELi4ELi33ELi32ELi16Ei19rocblas_complex_numIdEPKPKS1_PS1_EviT6_lT7_lT5_lS8_lS9_lS7_lT8_i.kd
    .uniform_work_group_size: 1
    .uses_dynamic_stack: false
    .vgpr_count:     240
    .vgpr_spill_count: 0
    .wavefront_size: 64
  - .agpr_count:     0
    .args:
      - .offset:         0
        .size:           4
        .value_kind:     by_value
      - .address_space:  global
        .offset:         8
        .size:           8
        .value_kind:     global_buffer
      - .offset:         16
        .size:           8
        .value_kind:     by_value
      - .address_space:  global
        .offset:         24
        .size:           8
        .value_kind:     global_buffer
      - .offset:         32
        .size:           8
        .value_kind:     by_value
      - .offset:         40
        .size:           8
        .value_kind:     by_value
      - .offset:         48
        .size:           8
        .value_kind:     by_value
      - .address_space:  global
        .offset:         56
        .size:           8
        .value_kind:     global_buffer
      - .offset:         64
        .size:           8
        .value_kind:     by_value
      - .offset:         72
        .size:           8
        .value_kind:     by_value
      - .offset:         80
        .size:           8
        .value_kind:     by_value
      - .address_space:  global
        .offset:         88
        .size:           8
        .value_kind:     global_buffer
      - .offset:         96
        .size:           8
        .value_kind:     by_value
      - .address_space:  global
        .offset:         104
        .size:           8
        .value_kind:     global_buffer
      - .offset:         112
        .size:           4
        .value_kind:     by_value
      - .offset:         120
        .size:           4
        .value_kind:     hidden_block_count_x
      - .offset:         124
        .size:           4
        .value_kind:     hidden_block_count_y
      - .offset:         128
        .size:           4
        .value_kind:     hidden_block_count_z
      - .offset:         132
        .size:           2
        .value_kind:     hidden_group_size_x
      - .offset:         134
        .size:           2
        .value_kind:     hidden_group_size_y
      - .offset:         136
        .size:           2
        .value_kind:     hidden_group_size_z
      - .offset:         138
        .size:           2
        .value_kind:     hidden_remainder_x
      - .offset:         140
        .size:           2
        .value_kind:     hidden_remainder_y
      - .offset:         142
        .size:           2
        .value_kind:     hidden_remainder_z
      - .offset:         160
        .size:           8
        .value_kind:     hidden_global_offset_x
      - .offset:         168
        .size:           8
        .value_kind:     hidden_global_offset_y
      - .offset:         176
        .size:           8
        .value_kind:     hidden_global_offset_z
      - .offset:         184
        .size:           2
        .value_kind:     hidden_grid_dims
    .group_segment_fixed_size: 19200
    .kernarg_segment_align: 8
    .kernarg_segment_size: 376
    .language:       OpenCL C
    .language_version:
      - 2
      - 0
    .max_flat_workgroup_size: 256
    .name:           _ZL26rocblas_hemvn_kernel_lowerILb0ELi64ELi4ELi33ELi32ELi16ElPK19rocblas_complex_numIdEPKS3_PS1_EviT6_lT7_lT5_lS8_lS9_lS7_lT8_i
    .private_segment_fixed_size: 0
    .sgpr_count:     48
    .sgpr_spill_count: 0
    .symbol:         _ZL26rocblas_hemvn_kernel_lowerILb0ELi64ELi4ELi33ELi32ELi16ElPK19rocblas_complex_numIdEPKS3_PS1_EviT6_lT7_lT5_lS8_lS9_lS7_lT8_i.kd
    .uniform_work_group_size: 1
    .uses_dynamic_stack: false
    .vgpr_count:     188
    .vgpr_spill_count: 0
    .wavefront_size: 64
  - .agpr_count:     0
    .args:
      - .offset:         0
        .size:           4
        .value_kind:     by_value
      - .address_space:  global
        .offset:         8
        .size:           8
        .value_kind:     global_buffer
      - .offset:         16
        .size:           8
        .value_kind:     by_value
      - .address_space:  global
        .offset:         24
        .size:           8
        .value_kind:     global_buffer
      - .offset:         32
        .size:           8
        .value_kind:     by_value
      - .offset:         40
        .size:           4
        .value_kind:     by_value
      - .offset:         48
        .size:           8
        .value_kind:     by_value
      - .address_space:  global
        .offset:         56
        .size:           8
        .value_kind:     global_buffer
      - .offset:         64
        .size:           8
        .value_kind:     by_value
      - .offset:         72
        .size:           4
        .value_kind:     by_value
      - .offset:         80
        .size:           8
        .value_kind:     by_value
      - .address_space:  global
        .offset:         88
        .size:           8
        .value_kind:     global_buffer
      - .offset:         96
        .size:           8
        .value_kind:     by_value
      - .address_space:  global
        .offset:         104
        .size:           8
        .value_kind:     global_buffer
      - .offset:         112
        .size:           4
        .value_kind:     by_value
      - .offset:         120
        .size:           4
        .value_kind:     hidden_block_count_x
      - .offset:         124
        .size:           4
        .value_kind:     hidden_block_count_y
      - .offset:         128
        .size:           4
        .value_kind:     hidden_block_count_z
      - .offset:         132
        .size:           2
        .value_kind:     hidden_group_size_x
      - .offset:         134
        .size:           2
        .value_kind:     hidden_group_size_y
      - .offset:         136
        .size:           2
        .value_kind:     hidden_group_size_z
      - .offset:         138
        .size:           2
        .value_kind:     hidden_remainder_x
      - .offset:         140
        .size:           2
        .value_kind:     hidden_remainder_y
      - .offset:         142
        .size:           2
        .value_kind:     hidden_remainder_z
      - .offset:         160
        .size:           8
        .value_kind:     hidden_global_offset_x
      - .offset:         168
        .size:           8
        .value_kind:     hidden_global_offset_y
      - .offset:         176
        .size:           8
        .value_kind:     hidden_global_offset_z
      - .offset:         184
        .size:           2
        .value_kind:     hidden_grid_dims
    .group_segment_fixed_size: 19200
    .kernarg_segment_align: 8
    .kernarg_segment_size: 376
    .language:       OpenCL C
    .language_version:
      - 2
      - 0
    .max_flat_workgroup_size: 256
    .name:           _ZL26rocblas_hemvn_kernel_lowerILb0ELi64ELi4ELi33ELi32ELi16EiPK19rocblas_complex_numIdEPKS3_PS1_EviT6_lT7_lT5_lS8_lS9_lS7_lT8_i
    .private_segment_fixed_size: 0
    .sgpr_count:     47
    .sgpr_spill_count: 0
    .symbol:         _ZL26rocblas_hemvn_kernel_lowerILb0ELi64ELi4ELi33ELi32ELi16EiPK19rocblas_complex_numIdEPKS3_PS1_EviT6_lT7_lT5_lS8_lS9_lS7_lT8_i.kd
    .uniform_work_group_size: 1
    .uses_dynamic_stack: false
    .vgpr_count:     186
    .vgpr_spill_count: 0
    .wavefront_size: 64
  - .agpr_count:     0
    .args:
      - .offset:         0
        .size:           4
        .value_kind:     by_value
      - .offset:         8
        .size:           16
        .value_kind:     by_value
      - .offset:         24
        .size:           8
        .value_kind:     by_value
      - .address_space:  global
        .offset:         32
        .size:           8
        .value_kind:     global_buffer
      - .offset:         40
        .size:           8
        .value_kind:     by_value
      - .offset:         48
        .size:           8
        .value_kind:     by_value
      - .offset:         56
        .size:           8
        .value_kind:     by_value
      - .address_space:  global
        .offset:         64
        .size:           8
        .value_kind:     global_buffer
      - .offset:         72
        .size:           8
        .value_kind:     by_value
      - .offset:         80
        .size:           8
        .value_kind:     by_value
      - .offset:         88
        .size:           8
        .value_kind:     by_value
      - .offset:         96
        .size:           16
        .value_kind:     by_value
      - .offset:         112
        .size:           8
        .value_kind:     by_value
      - .address_space:  global
        .offset:         120
        .size:           8
        .value_kind:     global_buffer
      - .offset:         128
        .size:           4
        .value_kind:     by_value
      - .offset:         136
        .size:           4
        .value_kind:     hidden_block_count_x
      - .offset:         140
        .size:           4
        .value_kind:     hidden_block_count_y
      - .offset:         144
        .size:           4
        .value_kind:     hidden_block_count_z
      - .offset:         148
        .size:           2
        .value_kind:     hidden_group_size_x
      - .offset:         150
        .size:           2
        .value_kind:     hidden_group_size_y
      - .offset:         152
        .size:           2
        .value_kind:     hidden_group_size_z
      - .offset:         154
        .size:           2
        .value_kind:     hidden_remainder_x
      - .offset:         156
        .size:           2
        .value_kind:     hidden_remainder_y
      - .offset:         158
        .size:           2
        .value_kind:     hidden_remainder_z
      - .offset:         176
        .size:           8
        .value_kind:     hidden_global_offset_x
      - .offset:         184
        .size:           8
        .value_kind:     hidden_global_offset_y
      - .offset:         192
        .size:           8
        .value_kind:     hidden_global_offset_z
      - .offset:         200
        .size:           2
        .value_kind:     hidden_grid_dims
    .group_segment_fixed_size: 19200
    .kernarg_segment_align: 8
    .kernarg_segment_size: 392
    .language:       OpenCL C
    .language_version:
      - 2
      - 0
    .max_flat_workgroup_size: 256
    .name:           _ZL26rocblas_hemvn_kernel_lowerILb0ELi64ELi4ELi33ELi32ELi16El19rocblas_complex_numIdEPKPKS1_PS1_EviT6_lT7_lT5_lS8_lS9_lS7_lT8_i
    .private_segment_fixed_size: 0
    .sgpr_count:     48
    .sgpr_spill_count: 0
    .symbol:         _ZL26rocblas_hemvn_kernel_lowerILb0ELi64ELi4ELi33ELi32ELi16El19rocblas_complex_numIdEPKPKS1_PS1_EviT6_lT7_lT5_lS8_lS9_lS7_lT8_i.kd
    .uniform_work_group_size: 1
    .uses_dynamic_stack: false
    .vgpr_count:     188
    .vgpr_spill_count: 0
    .wavefront_size: 64
  - .agpr_count:     0
    .args:
      - .offset:         0
        .size:           4
        .value_kind:     by_value
      - .offset:         8
        .size:           16
        .value_kind:     by_value
      - .offset:         24
        .size:           8
        .value_kind:     by_value
      - .address_space:  global
        .offset:         32
        .size:           8
        .value_kind:     global_buffer
      - .offset:         40
        .size:           8
        .value_kind:     by_value
      - .offset:         48
        .size:           4
        .value_kind:     by_value
      - .offset:         56
        .size:           8
        .value_kind:     by_value
      - .address_space:  global
        .offset:         64
        .size:           8
        .value_kind:     global_buffer
      - .offset:         72
        .size:           8
        .value_kind:     by_value
      - .offset:         80
        .size:           4
        .value_kind:     by_value
      - .offset:         88
        .size:           8
        .value_kind:     by_value
      - .offset:         96
        .size:           16
        .value_kind:     by_value
      - .offset:         112
        .size:           8
        .value_kind:     by_value
      - .address_space:  global
        .offset:         120
        .size:           8
        .value_kind:     global_buffer
      - .offset:         128
        .size:           4
        .value_kind:     by_value
      - .offset:         136
        .size:           4
        .value_kind:     hidden_block_count_x
      - .offset:         140
        .size:           4
        .value_kind:     hidden_block_count_y
      - .offset:         144
        .size:           4
        .value_kind:     hidden_block_count_z
      - .offset:         148
        .size:           2
        .value_kind:     hidden_group_size_x
      - .offset:         150
        .size:           2
        .value_kind:     hidden_group_size_y
      - .offset:         152
        .size:           2
        .value_kind:     hidden_group_size_z
      - .offset:         154
        .size:           2
        .value_kind:     hidden_remainder_x
      - .offset:         156
        .size:           2
        .value_kind:     hidden_remainder_y
      - .offset:         158
        .size:           2
        .value_kind:     hidden_remainder_z
      - .offset:         176
        .size:           8
        .value_kind:     hidden_global_offset_x
      - .offset:         184
        .size:           8
        .value_kind:     hidden_global_offset_y
      - .offset:         192
        .size:           8
        .value_kind:     hidden_global_offset_z
      - .offset:         200
        .size:           2
        .value_kind:     hidden_grid_dims
    .group_segment_fixed_size: 19200
    .kernarg_segment_align: 8
    .kernarg_segment_size: 392
    .language:       OpenCL C
    .language_version:
      - 2
      - 0
    .max_flat_workgroup_size: 256
    .name:           _ZL26rocblas_hemvn_kernel_lowerILb0ELi64ELi4ELi33ELi32ELi16Ei19rocblas_complex_numIdEPKPKS1_PS1_EviT6_lT7_lT5_lS8_lS9_lS7_lT8_i
    .private_segment_fixed_size: 0
    .sgpr_count:     48
    .sgpr_spill_count: 0
    .symbol:         _ZL26rocblas_hemvn_kernel_lowerILb0ELi64ELi4ELi33ELi32ELi16Ei19rocblas_complex_numIdEPKPKS1_PS1_EviT6_lT7_lT5_lS8_lS9_lS7_lT8_i.kd
    .uniform_work_group_size: 1
    .uses_dynamic_stack: false
    .vgpr_count:     186
    .vgpr_spill_count: 0
    .wavefront_size: 64
amdhsa.target:   amdgcn-amd-amdhsa--gfx942
amdhsa.version:
  - 1
  - 2
...

	.end_amdgpu_metadata
